;; amdgpu-corpus repo=ROCm/rocSPARSE kind=compiled arch=gfx1100 opt=O3
	.text
	.amdgcn_target "amdgcn-amd-amdhsa--gfx1100"
	.amdhsa_code_object_version 6
	.section	.text._ZN9rocsparseL23bsric0_binsearch_kernelILj32ELj32ELb0EfEEv20rocsparse_direction_iiPKiS3_PT2_S3_PiS3_S6_21rocsparse_index_base_,"axG",@progbits,_ZN9rocsparseL23bsric0_binsearch_kernelILj32ELj32ELb0EfEEv20rocsparse_direction_iiPKiS3_PT2_S3_PiS3_S6_21rocsparse_index_base_,comdat
	.globl	_ZN9rocsparseL23bsric0_binsearch_kernelILj32ELj32ELb0EfEEv20rocsparse_direction_iiPKiS3_PT2_S3_PiS3_S6_21rocsparse_index_base_ ; -- Begin function _ZN9rocsparseL23bsric0_binsearch_kernelILj32ELj32ELb0EfEEv20rocsparse_direction_iiPKiS3_PT2_S3_PiS3_S6_21rocsparse_index_base_
	.p2align	8
	.type	_ZN9rocsparseL23bsric0_binsearch_kernelILj32ELj32ELb0EfEEv20rocsparse_direction_iiPKiS3_PT2_S3_PiS3_S6_21rocsparse_index_base_,@function
_ZN9rocsparseL23bsric0_binsearch_kernelILj32ELj32ELb0EfEEv20rocsparse_direction_iiPKiS3_PT2_S3_PiS3_S6_21rocsparse_index_base_: ; @_ZN9rocsparseL23bsric0_binsearch_kernelILj32ELj32ELb0EfEEv20rocsparse_direction_iiPKiS3_PT2_S3_PiS3_S6_21rocsparse_index_base_
; %bb.0:
	s_mov_b32 s2, s15
	s_load_b256 s[8:15], s[0:1], 0x28
	s_ashr_i32 s3, s2, 31
	s_delay_alu instid0(SALU_CYCLE_1)
	s_lshl_b64 s[2:3], s[2:3], 2
	s_waitcnt lgkmcnt(0)
	s_add_u32 s2, s12, s2
	s_addc_u32 s3, s13, s3
	s_load_b32 s12, s[2:3], 0x0
	s_waitcnt lgkmcnt(0)
	s_ashr_i32 s13, s12, 31
	s_delay_alu instid0(SALU_CYCLE_1) | instskip(SKIP_1) | instid1(SALU_CYCLE_1)
	v_dual_mov_b32 v2, s12 :: v_dual_mov_b32 v3, s13
	s_lshl_b64 s[2:3], s[12:13], 2
	s_add_u32 s2, s8, s2
	s_addc_u32 s3, s9, s3
	s_load_b32 s24, s[2:3], 0x0
	s_load_b32 s7, s[0:1], 0x48
	s_mov_b32 s2, 0
	s_waitcnt lgkmcnt(0)
	s_cmp_lg_u32 s24, -1
	s_cselect_b32 s3, -1, 0
	s_delay_alu instid0(SALU_CYCLE_1) | instskip(NEXT) | instid1(SALU_CYCLE_1)
	s_and_saveexec_b32 s4, s3
	s_xor_b32 s23, exec_lo, s4
	s_cbranch_execnz .LBB0_4
; %bb.1:
	s_and_not1_saveexec_b32 s0, s23
	s_cbranch_execnz .LBB0_70
.LBB0_2:
	s_or_b32 exec_lo, exec_lo, s0
	s_and_saveexec_b32 s0, s2
	s_cbranch_execnz .LBB0_77
.LBB0_3:
	s_nop 0
	s_sendmsg sendmsg(MSG_DEALLOC_VGPRS)
	s_endpgm
.LBB0_4:
	s_load_b32 s25, s[0:1], 0x8
	s_mov_b32 s26, exec_lo
	s_waitcnt lgkmcnt(0)
	v_cmpx_gt_i32_e64 s25, v0
	s_cbranch_execz .LBB0_69
; %bb.5:
	s_clause 0x1
	s_load_b128 s[16:19], s[0:1], 0x10
	s_load_b32 s5, s[0:1], 0x0
	v_lshlrev_b64 v[3:4], 2, s[12:13]
	s_load_b64 s[20:21], s[0:1], 0x20
	v_dual_mov_b32 v20, v0 :: v_dual_add_nc_u32 v15, s7, v2
	s_mul_i32 s27, s25, s25
	v_cmp_ne_u32_e64 s0, 0, v0
	v_mul_lo_u32 v18, s24, s27
	s_mov_b32 s28, 0
	v_mov_b32_e32 v16, 0
	s_waitcnt lgkmcnt(0)
	v_add_co_u32 v3, vcc_lo, s16, v3
	v_add_co_ci_u32_e32 v4, vcc_lo, s17, v4, vcc_lo
	s_cmp_eq_u32 s5, 0
	s_cselect_b32 s1, -1, 0
	global_load_b64 v[3:4], v[3:4], off
	s_cmp_lg_u32 s5, 0
	s_cselect_b32 s29, -1, 0
	s_waitcnt vmcnt(0)
	v_subrev_nc_u32_e32 v13, s7, v3
	v_xad_u32 v14, s7, -1, v4
	s_delay_alu instid0(VALU_DEP_2) | instskip(NEXT) | instid1(VALU_DEP_2)
	v_mul_lo_u32 v17, s27, v13
	v_add_nc_u32_e32 v1, v14, v13
	v_cmp_gt_i32_e64 s2, s24, v13
	v_cmp_le_i32_e64 s3, s24, v13
	v_cmp_lt_i32_e64 s4, v13, v14
	s_delay_alu instid0(VALU_DEP_4) | instskip(SKIP_1) | instid1(VALU_DEP_2)
	v_ashrrev_i32_e32 v1, 1, v1
	v_add_nc_u32_e32 v19, v17, v0
	v_ashrrev_i32_e32 v2, 31, v1
	s_delay_alu instid0(VALU_DEP_1) | instskip(NEXT) | instid1(VALU_DEP_1)
	v_lshlrev_b64 v[2:3], 2, v[1:2]
	v_add_co_u32 v2, vcc_lo, s18, v2
	s_delay_alu instid0(VALU_DEP_2)
	v_add_co_ci_u32_e32 v3, vcc_lo, s19, v3, vcc_lo
	s_branch .LBB0_7
.LBB0_6:                                ;   in Loop: Header=BB0_7 Depth=1
	v_add_nc_u32_e32 v20, 32, v20
	v_add_nc_u32_e32 v19, 32, v19
	s_delay_alu instid0(VALU_DEP_2) | instskip(SKIP_1) | instid1(SALU_CYCLE_1)
	v_cmp_le_i32_e32 vcc_lo, s25, v20
	s_or_b32 s28, vcc_lo, s28
	s_and_not1_b32 exec_lo, exec_lo, s28
	s_cbranch_execz .LBB0_69
.LBB0_7:                                ; =>This Loop Header: Depth=1
                                        ;     Child Loop BB0_12 Depth 2
                                        ;       Child Loop BB0_15 Depth 3
                                        ;       Child Loop BB0_19 Depth 3
                                        ;         Child Loop BB0_21 Depth 4
                                        ;         Child Loop BB0_28 Depth 4
                                        ;           Child Loop BB0_30 Depth 5
                                        ;           Child Loop BB0_36 Depth 5
                                        ;     Child Loop BB0_43 Depth 2
                                        ;       Child Loop BB0_47 Depth 3
                                        ;       Child Loop BB0_55 Depth 3
                                        ;         Child Loop BB0_57 Depth 4
                                        ;       Child Loop BB0_65 Depth 3
	v_mul_lo_u32 v21, v20, s25
                                        ; implicit-def: $sgpr5
	s_and_saveexec_b32 s6, s3
	s_delay_alu instid0(SALU_CYCLE_1)
	s_xor_b32 s6, exec_lo, s6
; %bb.8:                                ;   in Loop: Header=BB0_7 Depth=1
	v_mul_lo_u32 v21, v20, s25
	s_mov_b32 s5, 0
; %bb.9:                                ;   in Loop: Header=BB0_7 Depth=1
	s_or_saveexec_b32 s30, s6
	v_mov_b32_e32 v22, s5
	s_xor_b32 exec_lo, exec_lo, s30
	s_cbranch_execz .LBB0_40
; %bb.10:                               ;   in Loop: Header=BB0_7 Depth=1
	v_mov_b32_e32 v22, 0
	v_mov_b32_e32 v4, v13
	s_mov_b32 s31, 0
	s_branch .LBB0_12
.LBB0_11:                               ;   in Loop: Header=BB0_12 Depth=2
	s_or_b32 exec_lo, exec_lo, s33
	v_add_nc_u32_e32 v4, 1, v4
	s_xor_b32 s5, s5, -1
	s_delay_alu instid0(VALU_DEP_1) | instskip(SKIP_1) | instid1(SALU_CYCLE_1)
	v_cmp_le_i32_e32 vcc_lo, s24, v4
	s_or_b32 s5, s5, vcc_lo
	s_and_b32 s5, exec_lo, s5
	s_delay_alu instid0(SALU_CYCLE_1) | instskip(NEXT) | instid1(SALU_CYCLE_1)
	s_or_b32 s31, s5, s31
	s_and_not1_b32 exec_lo, exec_lo, s31
	s_cbranch_execz .LBB0_39
.LBB0_12:                               ;   Parent Loop BB0_7 Depth=1
                                        ; =>  This Loop Header: Depth=2
                                        ;       Child Loop BB0_15 Depth 3
                                        ;       Child Loop BB0_19 Depth 3
                                        ;         Child Loop BB0_21 Depth 4
                                        ;         Child Loop BB0_28 Depth 4
                                        ;           Child Loop BB0_30 Depth 5
                                        ;           Child Loop BB0_36 Depth 5
	s_delay_alu instid0(VALU_DEP_1) | instskip(NEXT) | instid1(VALU_DEP_1)
	v_ashrrev_i32_e32 v5, 31, v4
	v_lshlrev_b64 v[5:6], 2, v[4:5]
	s_delay_alu instid0(VALU_DEP_1) | instskip(NEXT) | instid1(VALU_DEP_2)
	v_add_co_u32 v5, vcc_lo, s18, v5
	v_add_co_ci_u32_e32 v6, vcc_lo, s19, v6, vcc_lo
	global_load_b32 v23, v[5:6], off
	s_waitcnt vmcnt(0)
	v_subrev_nc_u32_e32 v5, s7, v23
	s_delay_alu instid0(VALU_DEP_1) | instskip(NEXT) | instid1(VALU_DEP_1)
	v_ashrrev_i32_e32 v6, 31, v5
	v_lshlrev_b64 v[6:7], 2, v[5:6]
	s_delay_alu instid0(VALU_DEP_1) | instskip(NEXT) | instid1(VALU_DEP_2)
	v_add_co_u32 v8, vcc_lo, s8, v6
	v_add_co_ci_u32_e32 v9, vcc_lo, s9, v7, vcc_lo
	global_load_b32 v24, v[8:9], off
	s_waitcnt vmcnt(0)
	v_cmp_ne_u32_e64 s5, -1, v24
	s_delay_alu instid0(VALU_DEP_1)
	s_and_saveexec_b32 s33, s5
	s_cbranch_execz .LBB0_11
; %bb.13:                               ;   in Loop: Header=BB0_12 Depth=2
	v_add_co_u32 v8, vcc_lo, s16, v6
	v_add_co_ci_u32_e32 v9, vcc_lo, s17, v7, vcc_lo
	v_add_co_u32 v6, vcc_lo, s10, v6
	v_add_co_ci_u32_e32 v7, vcc_lo, s11, v7, vcc_lo
	s_mov_b32 s6, exec_lo
	global_load_b32 v8, v[8:9], off
	global_load_b32 v9, v[6:7], off glc
	s_waitcnt vmcnt(0)
	v_cmpx_eq_u32_e32 0, v9
	s_cbranch_execz .LBB0_16
; %bb.14:                               ;   in Loop: Header=BB0_12 Depth=2
	s_mov_b32 s22, 0
.LBB0_15:                               ;   Parent Loop BB0_7 Depth=1
                                        ;     Parent Loop BB0_12 Depth=2
                                        ; =>    This Inner Loop Header: Depth=3
	global_load_b32 v9, v[6:7], off glc
	s_waitcnt vmcnt(0)
	v_cmp_ne_u32_e32 vcc_lo, 0, v9
	s_or_b32 s22, vcc_lo, s22
	s_delay_alu instid0(SALU_CYCLE_1)
	s_and_not1_b32 exec_lo, exec_lo, s22
	s_cbranch_execnz .LBB0_15
.LBB0_16:                               ;   in Loop: Header=BB0_12 Depth=2
	s_or_b32 exec_lo, exec_lo, s6
	v_mul_lo_u32 v6, v4, s27
	v_subrev_nc_u32_e32 v25, s7, v8
	v_mul_lo_u32 v26, v5, s25
	v_mul_lo_u32 v27, v24, s27
	s_mov_b32 s34, 0
	buffer_gl1_inv
	buffer_gl0_inv
	v_mul_lo_u32 v28, s27, v25
	v_cmp_le_i32_e64 s6, v25, v24
	v_add_nc_u32_e32 v29, v6, v20
	v_add_nc_u32_e32 v30, v6, v21
	s_branch .LBB0_19
.LBB0_17:                               ;   in Loop: Header=BB0_19 Depth=3
	s_or_b32 exec_lo, exec_lo, s36
.LBB0_18:                               ;   in Loop: Header=BB0_19 Depth=3
	s_delay_alu instid0(SALU_CYCLE_1) | instskip(SKIP_3) | instid1(SALU_CYCLE_1)
	s_or_b32 exec_lo, exec_lo, s35
	s_waitcnt vmcnt(0)
	v_dual_sub_f32 v7, v32, v33 :: v_dual_add_nc_u32 v28, 1, v28
	s_add_i32 s34, s34, 1
	s_cmp_eq_u32 s34, s25
	s_delay_alu instid0(VALU_DEP_1) | instskip(SKIP_1) | instid1(VALU_DEP_2)
	v_div_scale_f32 v8, null, v31, v31, v7
	v_div_scale_f32 v11, vcc_lo, v7, v31, v7
	v_rcp_f32_e32 v9, v8
	s_waitcnt_depctr 0xfff
	v_fma_f32 v10, -v8, v9, 1.0
	s_delay_alu instid0(VALU_DEP_1) | instskip(NEXT) | instid1(VALU_DEP_1)
	v_fmac_f32_e32 v9, v10, v9
	v_mul_f32_e32 v10, v11, v9
	s_delay_alu instid0(VALU_DEP_1) | instskip(NEXT) | instid1(VALU_DEP_1)
	v_fma_f32 v12, -v8, v10, v11
	v_fmac_f32_e32 v10, v12, v9
	s_delay_alu instid0(VALU_DEP_1) | instskip(NEXT) | instid1(VALU_DEP_1)
	v_fma_f32 v8, -v8, v10, v11
	v_div_fmas_f32 v8, v8, v9, v10
	s_delay_alu instid0(VALU_DEP_1) | instskip(NEXT) | instid1(VALU_DEP_1)
	v_div_fixup_f32 v7, v8, v31, v7
	v_fmac_f32_e32 v22, v7, v7
	global_store_b32 v[5:6], v7, off
	s_cbranch_scc1 .LBB0_11
.LBB0_19:                               ;   Parent Loop BB0_7 Depth=1
                                        ;     Parent Loop BB0_12 Depth=2
                                        ; =>    This Loop Header: Depth=3
                                        ;         Child Loop BB0_21 Depth 4
                                        ;         Child Loop BB0_28 Depth 4
                                        ;           Child Loop BB0_30 Depth 5
                                        ;           Child Loop BB0_36 Depth 5
	s_mul_i32 s22, s34, s25
	s_delay_alu instid0(SALU_CYCLE_1) | instskip(NEXT) | instid1(VALU_DEP_1)
	v_add3_u32 v5, s22, s34, v27
	v_ashrrev_i32_e32 v6, 31, v5
	s_delay_alu instid0(VALU_DEP_1) | instskip(NEXT) | instid1(VALU_DEP_1)
	v_lshlrev_b64 v[5:6], 2, v[5:6]
	v_add_co_u32 v5, vcc_lo, s20, v5
	s_delay_alu instid0(VALU_DEP_2)
	v_add_co_ci_u32_e32 v6, vcc_lo, s21, v6, vcc_lo
	global_load_b32 v5, v[5:6], off
	s_waitcnt vmcnt(0)
	v_cmp_neq_f32_e32 vcc_lo, 0, v5
	v_cndmask_b32_e32 v31, 1.0, v5, vcc_lo
	s_or_b32 s35, vcc_lo, s0
	s_delay_alu instid0(SALU_CYCLE_1) | instskip(NEXT) | instid1(SALU_CYCLE_1)
	s_xor_b32 s36, s35, -1
	s_and_saveexec_b32 s35, s36
	s_cbranch_execz .LBB0_25
; %bb.20:                               ;   in Loop: Header=BB0_19 Depth=3
	s_mov_b32 s37, exec_lo
	s_brev_b32 s36, -2
.LBB0_21:                               ;   Parent Loop BB0_7 Depth=1
                                        ;     Parent Loop BB0_12 Depth=2
                                        ;       Parent Loop BB0_19 Depth=3
                                        ; =>      This Inner Loop Header: Depth=4
	s_ctz_i32_b32 s38, s37
	s_delay_alu instid0(SALU_CYCLE_1) | instskip(SKIP_1) | instid1(SALU_CYCLE_1)
	v_readlane_b32 s39, v23, s38
	s_lshl_b32 s38, 1, s38
	s_and_not1_b32 s37, s37, s38
	s_delay_alu instid0(VALU_DEP_1)
	s_min_i32 s36, s36, s39
	s_cmp_lg_u32 s37, 0
	s_cbranch_scc1 .LBB0_21
; %bb.22:                               ;   in Loop: Header=BB0_19 Depth=3
	v_mbcnt_lo_u32_b32 v5, exec_lo, 0
	s_mov_b32 s37, exec_lo
	s_delay_alu instid0(VALU_DEP_1)
	v_cmpx_eq_u32_e32 0, v5
	s_xor_b32 s37, exec_lo, s37
	s_cbranch_execz .LBB0_24
; %bb.23:                               ;   in Loop: Header=BB0_19 Depth=3
	v_mov_b32_e32 v5, s36
	global_atomic_min_i32 v16, v5, s[14:15]
.LBB0_24:                               ;   in Loop: Header=BB0_19 Depth=3
	s_or_b32 exec_lo, exec_lo, s37
	v_mov_b32_e32 v31, 1.0
.LBB0_25:                               ;   in Loop: Header=BB0_19 Depth=3
	s_or_b32 exec_lo, exec_lo, s35
	v_add_nc_u32_e32 v5, s22, v29
	v_dual_mov_b32 v33, 0 :: v_dual_add_nc_u32 v6, s34, v30
	s_delay_alu instid0(VALU_DEP_1) | instskip(NEXT) | instid1(VALU_DEP_1)
	v_cndmask_b32_e64 v5, v5, v6, s1
	v_ashrrev_i32_e32 v6, 31, v5
	s_delay_alu instid0(VALU_DEP_1) | instskip(NEXT) | instid1(VALU_DEP_1)
	v_lshlrev_b64 v[5:6], 2, v[5:6]
	v_add_co_u32 v5, vcc_lo, s20, v5
	s_delay_alu instid0(VALU_DEP_2)
	v_add_co_ci_u32_e32 v6, vcc_lo, s21, v6, vcc_lo
	global_load_b32 v32, v[5:6], off
	s_and_saveexec_b32 s35, s6
	s_cbranch_execz .LBB0_18
; %bb.26:                               ;   in Loop: Header=BB0_19 Depth=3
	global_load_b32 v34, v[2:3], off
	v_dual_mov_b32 v36, v28 :: v_dual_add_nc_u32 v35, s34, v26
	v_mov_b32_e32 v33, 0
	v_mov_b32_e32 v7, v25
	s_mov_b32 s36, 0
	s_branch .LBB0_28
.LBB0_27:                               ;   in Loop: Header=BB0_28 Depth=4
	s_set_inst_prefetch_distance 0x2
	s_or_b32 exec_lo, exec_lo, s37
	v_add_nc_u32_e32 v8, 1, v7
	v_cmp_ge_i32_e32 vcc_lo, v7, v24
	s_delay_alu instid0(VALU_DEP_2) | instskip(SKIP_1) | instid1(SALU_CYCLE_1)
	v_dual_mov_b32 v7, v8 :: v_dual_add_nc_u32 v36, s27, v36
	s_or_b32 s36, vcc_lo, s36
	s_and_not1_b32 exec_lo, exec_lo, s36
	s_cbranch_execz .LBB0_17
.LBB0_28:                               ;   Parent Loop BB0_7 Depth=1
                                        ;     Parent Loop BB0_12 Depth=2
                                        ;       Parent Loop BB0_19 Depth=3
                                        ; =>      This Loop Header: Depth=4
                                        ;           Child Loop BB0_30 Depth 5
                                        ;           Child Loop BB0_36 Depth 5
	s_delay_alu instid0(VALU_DEP_1) | instskip(NEXT) | instid1(VALU_DEP_1)
	v_ashrrev_i32_e32 v8, 31, v7
	v_lshlrev_b64 v[8:9], 2, v[7:8]
	s_delay_alu instid0(VALU_DEP_1) | instskip(NEXT) | instid1(VALU_DEP_2)
	v_add_co_u32 v8, vcc_lo, s18, v8
	v_add_co_ci_u32_e32 v9, vcc_lo, s19, v9, vcc_lo
	global_load_b32 v10, v[8:9], off
	s_waitcnt vmcnt(1)
	v_dual_mov_b32 v9, v34 :: v_dual_mov_b32 v8, v1
	s_and_saveexec_b32 s37, s4
	s_cbranch_execz .LBB0_32
; %bb.29:                               ;   in Loop: Header=BB0_28 Depth=4
	v_dual_mov_b32 v9, v34 :: v_dual_mov_b32 v8, v1
	v_dual_mov_b32 v11, v14 :: v_dual_mov_b32 v12, v13
	s_mov_b32 s38, 0
	.p2align	6
.LBB0_30:                               ;   Parent Loop BB0_7 Depth=1
                                        ;     Parent Loop BB0_12 Depth=2
                                        ;       Parent Loop BB0_19 Depth=3
                                        ;         Parent Loop BB0_28 Depth=4
                                        ; =>        This Inner Loop Header: Depth=5
	s_delay_alu instid0(VALU_DEP_2) | instskip(SKIP_2) | instid1(VALU_DEP_2)
	v_add_nc_u32_e32 v37, 1, v8
	s_waitcnt vmcnt(0)
	v_cmp_lt_i32_e32 vcc_lo, v9, v10
	v_cndmask_b32_e32 v12, v12, v37, vcc_lo
	v_cndmask_b32_e32 v11, v8, v11, vcc_lo
	s_delay_alu instid0(VALU_DEP_1) | instskip(NEXT) | instid1(VALU_DEP_1)
	v_add_nc_u32_e32 v8, v11, v12
	v_ashrrev_i32_e32 v8, 1, v8
	s_delay_alu instid0(VALU_DEP_1) | instskip(NEXT) | instid1(VALU_DEP_1)
	v_ashrrev_i32_e32 v9, 31, v8
	v_lshlrev_b64 v[37:38], 2, v[8:9]
	s_delay_alu instid0(VALU_DEP_1) | instskip(NEXT) | instid1(VALU_DEP_2)
	v_add_co_u32 v37, vcc_lo, s18, v37
	v_add_co_ci_u32_e32 v38, vcc_lo, s19, v38, vcc_lo
	v_cmp_ge_i32_e32 vcc_lo, v12, v11
	global_load_b32 v9, v[37:38], off
	s_or_b32 s38, vcc_lo, s38
	s_delay_alu instid0(SALU_CYCLE_1)
	s_and_not1_b32 exec_lo, exec_lo, s38
	s_cbranch_execnz .LBB0_30
; %bb.31:                               ;   in Loop: Header=BB0_28 Depth=4
	s_or_b32 exec_lo, exec_lo, s38
.LBB0_32:                               ;   in Loop: Header=BB0_28 Depth=4
	s_delay_alu instid0(SALU_CYCLE_1) | instskip(NEXT) | instid1(SALU_CYCLE_1)
	s_or_b32 exec_lo, exec_lo, s37
	s_mov_b32 s37, exec_lo
	s_waitcnt vmcnt(0)
	v_cmpx_eq_u32_e64 v9, v10
	s_cbranch_execz .LBB0_27
; %bb.33:                               ;   in Loop: Header=BB0_28 Depth=4
	v_mul_lo_u32 v11, v8, s27
	v_subrev_nc_u32_e32 v10, s7, v10
	v_mad_u64_u32 v[8:9], null, v7, s27, s[22:23]
	v_mov_b32_e32 v40, v36
	s_mov_b32 s38, 0
	s_delay_alu instid0(VALU_DEP_3)
	v_mul_lo_u32 v37, v10, s25
	v_add_nc_u32_e32 v38, v11, v21
	v_add_nc_u32_e32 v39, v20, v11
	s_set_inst_prefetch_distance 0x1
	s_branch .LBB0_36
	.p2align	6
.LBB0_34:                               ;   in Loop: Header=BB0_36 Depth=5
	s_delay_alu instid0(VALU_DEP_1) | instskip(NEXT) | instid1(VALU_DEP_2)
	v_ashrrev_i32_e32 v12, 31, v11
	v_ashrrev_i32_e32 v10, 31, v9
	s_delay_alu instid0(VALU_DEP_2) | instskip(NEXT) | instid1(VALU_DEP_2)
	v_lshlrev_b64 v[11:12], 2, v[11:12]
	v_lshlrev_b64 v[9:10], 2, v[9:10]
	s_delay_alu instid0(VALU_DEP_2) | instskip(NEXT) | instid1(VALU_DEP_3)
	v_add_co_u32 v11, vcc_lo, s20, v11
	v_add_co_ci_u32_e32 v12, vcc_lo, s21, v12, vcc_lo
	s_delay_alu instid0(VALU_DEP_3) | instskip(NEXT) | instid1(VALU_DEP_4)
	v_add_co_u32 v9, vcc_lo, s20, v9
	v_add_co_ci_u32_e32 v10, vcc_lo, s21, v10, vcc_lo
	s_clause 0x1
	global_load_b32 v11, v[11:12], off
	global_load_b32 v9, v[9:10], off
	s_waitcnt vmcnt(0)
	v_fmac_f32_e32 v33, v11, v9
.LBB0_35:                               ;   in Loop: Header=BB0_36 Depth=5
	s_or_b32 exec_lo, exec_lo, s39
	v_add_nc_u32_e32 v39, s25, v39
	v_add_nc_u32_e32 v40, s25, v40
	s_add_i32 s38, s38, 1
	s_delay_alu instid0(SALU_CYCLE_1)
	s_cmp_lg_u32 s25, s38
	s_cbranch_scc0 .LBB0_27
.LBB0_36:                               ;   Parent Loop BB0_7 Depth=1
                                        ;     Parent Loop BB0_12 Depth=2
                                        ;       Parent Loop BB0_19 Depth=3
                                        ;         Parent Loop BB0_28 Depth=4
                                        ; =>        This Inner Loop Header: Depth=5
	s_delay_alu instid0(VALU_DEP_3) | instskip(SKIP_1) | instid1(VALU_DEP_1)
	v_add_nc_u32_e32 v9, s38, v37
	s_mov_b32 s39, exec_lo
	v_cmpx_lt_i32_e64 v9, v35
	s_cbranch_execz .LBB0_35
; %bb.37:                               ;   in Loop: Header=BB0_36 Depth=5
	v_mov_b32_e32 v9, v39
	v_mov_b32_e32 v11, v40
	s_and_not1_b32 vcc_lo, exec_lo, s1
	s_cbranch_vccnz .LBB0_34
; %bb.38:                               ;   in Loop: Header=BB0_36 Depth=5
	v_add_nc_u32_e32 v11, s38, v8
	v_add_nc_u32_e32 v9, s38, v38
	s_branch .LBB0_34
.LBB0_39:                               ;   in Loop: Header=BB0_7 Depth=1
	s_or_b32 exec_lo, exec_lo, s31
.LBB0_40:                               ;   in Loop: Header=BB0_7 Depth=1
	s_delay_alu instid0(SALU_CYCLE_1) | instskip(NEXT) | instid1(VALU_DEP_2)
	s_or_b32 exec_lo, exec_lo, s30
	v_add_nc_u32_e32 v10, v21, v18
	v_mov_b32_e32 v11, v17
	s_mov_b32 s6, 0
	s_branch .LBB0_43
.LBB0_41:                               ;   in Loop: Header=BB0_43 Depth=2
	s_set_inst_prefetch_distance 0x2
	s_waitcnt vmcnt(0)
	s_delay_alu instid0(VALU_DEP_1) | instskip(NEXT) | instid1(VALU_DEP_1)
	v_sub_f32_e32 v6, v24, v25
	v_div_scale_f32 v7, null, v23, v23, v6
	s_delay_alu instid0(VALU_DEP_1) | instskip(SKIP_2) | instid1(VALU_DEP_1)
	v_rcp_f32_e32 v8, v7
	s_waitcnt_depctr 0xfff
	v_fma_f32 v9, -v7, v8, 1.0
	v_fmac_f32_e32 v8, v9, v8
	v_div_scale_f32 v9, vcc_lo, v6, v23, v6
	s_delay_alu instid0(VALU_DEP_1) | instskip(NEXT) | instid1(VALU_DEP_1)
	v_mul_f32_e32 v12, v9, v8
	v_fma_f32 v24, -v7, v12, v9
	s_delay_alu instid0(VALU_DEP_1) | instskip(NEXT) | instid1(VALU_DEP_1)
	v_fmac_f32_e32 v12, v24, v8
	v_fma_f32 v7, -v7, v12, v9
	s_delay_alu instid0(VALU_DEP_1) | instskip(NEXT) | instid1(VALU_DEP_1)
	v_div_fmas_f32 v7, v7, v8, v12
	v_div_fixup_f32 v6, v7, v23, v6
	s_delay_alu instid0(VALU_DEP_1)
	v_fmac_f32_e32 v22, v6, v6
	global_store_b32 v[4:5], v6, off
.LBB0_42:                               ;   in Loop: Header=BB0_43 Depth=2
	s_or_b32 exec_lo, exec_lo, s5
	v_add_nc_u32_e32 v11, 1, v11
	s_add_i32 s6, s6, 1
	s_waitcnt_vscnt null, 0x0
	buffer_gl1_inv
	buffer_gl0_inv
	s_cmp_eq_u32 s6, s25
	s_cbranch_scc1 .LBB0_6
.LBB0_43:                               ;   Parent Loop BB0_7 Depth=1
                                        ; =>  This Loop Header: Depth=2
                                        ;       Child Loop BB0_47 Depth 3
                                        ;       Child Loop BB0_55 Depth 3
                                        ;         Child Loop BB0_57 Depth 4
                                        ;       Child Loop BB0_65 Depth 3
	s_mul_i32 s22, s6, s25
	s_mov_b32 s30, exec_lo
	v_add_nc_u32_e32 v12, s22, v18
	s_delay_alu instid0(VALU_DEP_1) | instskip(NEXT) | instid1(VALU_DEP_1)
	v_add_nc_u32_e32 v4, s6, v12
	v_ashrrev_i32_e32 v5, 31, v4
	s_delay_alu instid0(VALU_DEP_1)
	v_lshlrev_b64 v[4:5], 2, v[4:5]
	v_cmpx_eq_u32_e64 s6, v20
	s_cbranch_execz .LBB0_45
; %bb.44:                               ;   in Loop: Header=BB0_43 Depth=2
	s_delay_alu instid0(VALU_DEP_2) | instskip(NEXT) | instid1(VALU_DEP_3)
	v_add_co_u32 v6, vcc_lo, s20, v4
	v_add_co_ci_u32_e32 v7, vcc_lo, s21, v5, vcc_lo
	global_load_b32 v8, v[6:7], off
	s_waitcnt vmcnt(0)
	v_sub_f32_e32 v8, v8, v22
	s_delay_alu instid0(VALU_DEP_1) | instskip(SKIP_1) | instid1(VALU_DEP_1)
	v_cmp_gt_f32_e32 vcc_lo, 0, v8
	v_cndmask_b32_e64 v8, v8, -v8, vcc_lo
	v_mul_f32_e32 v9, 0x4f800000, v8
	v_cmp_gt_f32_e32 vcc_lo, 0xf800000, v8
	s_delay_alu instid0(VALU_DEP_2) | instskip(NEXT) | instid1(VALU_DEP_1)
	v_cndmask_b32_e32 v8, v8, v9, vcc_lo
	v_sqrt_f32_e32 v9, v8
	s_waitcnt_depctr 0xfff
	v_add_nc_u32_e32 v23, -1, v9
	v_add_nc_u32_e32 v24, 1, v9
	s_delay_alu instid0(VALU_DEP_2) | instskip(NEXT) | instid1(VALU_DEP_2)
	v_fma_f32 v25, -v23, v9, v8
	v_fma_f32 v26, -v24, v9, v8
	s_delay_alu instid0(VALU_DEP_2) | instskip(NEXT) | instid1(VALU_DEP_1)
	v_cmp_ge_f32_e64 s5, 0, v25
	v_cndmask_b32_e64 v9, v9, v23, s5
	s_delay_alu instid0(VALU_DEP_3) | instskip(NEXT) | instid1(VALU_DEP_1)
	v_cmp_lt_f32_e64 s5, 0, v26
	v_cndmask_b32_e64 v9, v9, v24, s5
	s_delay_alu instid0(VALU_DEP_1) | instskip(NEXT) | instid1(VALU_DEP_1)
	v_mul_f32_e32 v23, 0x37800000, v9
	v_cndmask_b32_e32 v9, v9, v23, vcc_lo
	v_cmp_class_f32_e64 vcc_lo, v8, 0x260
	s_delay_alu instid0(VALU_DEP_2)
	v_cndmask_b32_e32 v8, v9, v8, vcc_lo
	global_store_b32 v[6:7], v8, off
.LBB0_45:                               ;   in Loop: Header=BB0_43 Depth=2
	s_or_b32 exec_lo, exec_lo, s30
	s_delay_alu instid0(VALU_DEP_2) | instskip(NEXT) | instid1(VALU_DEP_3)
	v_add_co_u32 v4, vcc_lo, s20, v4
	v_add_co_ci_u32_e32 v5, vcc_lo, s21, v5, vcc_lo
	s_waitcnt_vscnt null, 0x0
	buffer_gl1_inv
	buffer_gl0_inv
	global_load_b32 v4, v[4:5], off
	s_waitcnt vmcnt(0)
	v_cmp_neq_f32_e32 vcc_lo, 0, v4
	v_cndmask_b32_e32 v23, 1.0, v4, vcc_lo
	s_or_b32 s5, vcc_lo, s0
	s_delay_alu instid0(SALU_CYCLE_1) | instskip(NEXT) | instid1(SALU_CYCLE_1)
	s_xor_b32 s30, s5, -1
	s_and_saveexec_b32 s5, s30
	s_cbranch_execz .LBB0_51
; %bb.46:                               ;   in Loop: Header=BB0_43 Depth=2
	s_mov_b32 s31, exec_lo
	s_brev_b32 s30, -2
.LBB0_47:                               ;   Parent Loop BB0_7 Depth=1
                                        ;     Parent Loop BB0_43 Depth=2
                                        ; =>    This Inner Loop Header: Depth=3
	s_ctz_i32_b32 s33, s31
	s_delay_alu instid0(SALU_CYCLE_1) | instskip(SKIP_1) | instid1(SALU_CYCLE_1)
	v_readlane_b32 s34, v15, s33
	s_lshl_b32 s33, 1, s33
	s_and_not1_b32 s31, s31, s33
	s_delay_alu instid0(VALU_DEP_1)
	s_min_i32 s30, s30, s34
	s_cmp_lg_u32 s31, 0
	s_cbranch_scc1 .LBB0_47
; %bb.48:                               ;   in Loop: Header=BB0_43 Depth=2
	v_mbcnt_lo_u32_b32 v4, exec_lo, 0
	s_mov_b32 s31, exec_lo
	s_delay_alu instid0(VALU_DEP_1)
	v_cmpx_eq_u32_e32 0, v4
	s_xor_b32 s31, exec_lo, s31
	s_cbranch_execz .LBB0_50
; %bb.49:                               ;   in Loop: Header=BB0_43 Depth=2
	v_mov_b32_e32 v4, s30
	global_atomic_min_i32 v16, v4, s[14:15]
.LBB0_50:                               ;   in Loop: Header=BB0_43 Depth=2
	s_or_b32 exec_lo, exec_lo, s31
	v_mov_b32_e32 v23, 1.0
.LBB0_51:                               ;   in Loop: Header=BB0_43 Depth=2
	s_or_b32 exec_lo, exec_lo, s5
	s_delay_alu instid0(SALU_CYCLE_1)
	s_mov_b32 s5, exec_lo
	v_cmpx_lt_i32_e64 s6, v20
	s_cbranch_execz .LBB0_42
; %bb.52:                               ;   in Loop: Header=BB0_43 Depth=2
	v_dual_mov_b32 v25, 0 :: v_dual_add_nc_u32 v4, v12, v20
	v_add_nc_u32_e32 v5, s6, v10
	s_delay_alu instid0(VALU_DEP_1) | instskip(NEXT) | instid1(VALU_DEP_1)
	v_cndmask_b32_e64 v4, v4, v5, s1
	v_ashrrev_i32_e32 v5, 31, v4
	s_delay_alu instid0(VALU_DEP_1) | instskip(NEXT) | instid1(VALU_DEP_1)
	v_lshlrev_b64 v[4:5], 2, v[4:5]
	v_add_co_u32 v4, vcc_lo, s20, v4
	s_delay_alu instid0(VALU_DEP_2)
	v_add_co_ci_u32_e32 v5, vcc_lo, s21, v5, vcc_lo
	global_load_b32 v24, v[4:5], off
	s_and_saveexec_b32 s30, s2
	s_cbranch_execz .LBB0_62
; %bb.53:                               ;   in Loop: Header=BB0_43 Depth=2
	v_dual_mov_b32 v25, 0 :: v_dual_mov_b32 v26, v11
	v_dual_mov_b32 v27, v19 :: v_dual_mov_b32 v28, v13
	s_mov_b32 s31, 0
	s_branch .LBB0_55
.LBB0_54:                               ;   in Loop: Header=BB0_55 Depth=3
	s_set_inst_prefetch_distance 0x2
	v_add_nc_u32_e32 v28, 1, v28
	v_add_nc_u32_e32 v27, s27, v27
	;; [unrolled: 1-line block ×3, first 2 shown]
	s_delay_alu instid0(VALU_DEP_3) | instskip(SKIP_1) | instid1(SALU_CYCLE_1)
	v_cmp_le_i32_e32 vcc_lo, s24, v28
	s_or_b32 s31, vcc_lo, s31
	s_and_not1_b32 exec_lo, exec_lo, s31
	s_cbranch_execz .LBB0_61
.LBB0_55:                               ;   Parent Loop BB0_7 Depth=1
                                        ;     Parent Loop BB0_43 Depth=2
                                        ; =>    This Loop Header: Depth=3
                                        ;         Child Loop BB0_57 Depth 4
	s_delay_alu instid0(VALU_DEP_1) | instskip(SKIP_3) | instid1(VALU_DEP_1)
	v_mul_lo_u32 v6, v28, s27
	s_mov_b32 s33, s25
	s_mov_b32 s34, 0
	;; [unrolled: 1-line block ×3, first 2 shown]
	v_add_nc_u32_e32 v29, s22, v6
	v_add_nc_u32_e32 v30, v6, v21
	s_set_inst_prefetch_distance 0x1
	s_branch .LBB0_57
	.p2align	6
.LBB0_56:                               ;   in Loop: Header=BB0_57 Depth=4
	s_delay_alu instid0(VALU_DEP_2) | instskip(NEXT) | instid1(VALU_DEP_2)
	v_ashrrev_i32_e32 v7, 31, v6
	v_ashrrev_i32_e32 v9, 31, v8
	s_add_i32 s33, s33, -1
	s_add_i32 s35, s35, 1
	s_add_i32 s34, s34, s25
	v_lshlrev_b64 v[6:7], 2, v[6:7]
	v_lshlrev_b64 v[8:9], 2, v[8:9]
	s_cmp_eq_u32 s33, 0
	s_delay_alu instid0(VALU_DEP_2) | instskip(NEXT) | instid1(VALU_DEP_3)
	v_add_co_u32 v6, vcc_lo, s20, v6
	v_add_co_ci_u32_e32 v7, vcc_lo, s21, v7, vcc_lo
	s_delay_alu instid0(VALU_DEP_3) | instskip(NEXT) | instid1(VALU_DEP_4)
	v_add_co_u32 v8, vcc_lo, s20, v8
	v_add_co_ci_u32_e32 v9, vcc_lo, s21, v9, vcc_lo
	s_clause 0x1
	global_load_b32 v6, v[6:7], off
	global_load_b32 v7, v[8:9], off
	s_waitcnt vmcnt(0)
	v_fmac_f32_e32 v25, v6, v7
	s_cbranch_scc1 .LBB0_54
.LBB0_57:                               ;   Parent Loop BB0_7 Depth=1
                                        ;     Parent Loop BB0_43 Depth=2
                                        ;       Parent Loop BB0_55 Depth=3
                                        ; =>      This Inner Loop Header: Depth=4
	s_and_b32 vcc_lo, exec_lo, s29
	s_cbranch_vccz .LBB0_59
; %bb.58:                               ;   in Loop: Header=BB0_57 Depth=4
	v_add_nc_u32_e32 v6, s34, v26
	v_add_nc_u32_e32 v8, s34, v27
	s_cbranch_execnz .LBB0_56
	s_branch .LBB0_60
	.p2align	6
.LBB0_59:                               ;   in Loop: Header=BB0_57 Depth=4
                                        ; implicit-def: $vgpr6
                                        ; implicit-def: $vgpr8
.LBB0_60:                               ;   in Loop: Header=BB0_57 Depth=4
	v_add_nc_u32_e32 v6, s35, v29
	v_add_nc_u32_e32 v8, s35, v30
	s_branch .LBB0_56
.LBB0_61:                               ;   in Loop: Header=BB0_43 Depth=2
	s_or_b32 exec_lo, exec_lo, s31
.LBB0_62:                               ;   in Loop: Header=BB0_43 Depth=2
	s_delay_alu instid0(SALU_CYCLE_1)
	s_or_b32 exec_lo, exec_lo, s30
	s_cmp_eq_u32 s6, 0
	s_cbranch_scc1 .LBB0_41
; %bb.63:                               ;   in Loop: Header=BB0_43 Depth=2
	v_mov_b32_e32 v26, v18
	s_mov_b32 s22, 0
	s_set_inst_prefetch_distance 0x1
	s_branch .LBB0_65
	.p2align	6
.LBB0_64:                               ;   in Loop: Header=BB0_65 Depth=3
	s_delay_alu instid0(VALU_DEP_2) | instskip(NEXT) | instid1(VALU_DEP_2)
	v_ashrrev_i32_e32 v7, 31, v6
	v_ashrrev_i32_e32 v9, 31, v8
	s_add_i32 s22, s22, 1
	v_add_nc_u32_e32 v26, s25, v26
	s_cmp_ge_u32 s22, s6
	v_lshlrev_b64 v[6:7], 2, v[6:7]
	v_lshlrev_b64 v[8:9], 2, v[8:9]
	s_delay_alu instid0(VALU_DEP_2) | instskip(NEXT) | instid1(VALU_DEP_3)
	v_add_co_u32 v6, vcc_lo, s20, v6
	v_add_co_ci_u32_e32 v7, vcc_lo, s21, v7, vcc_lo
	s_delay_alu instid0(VALU_DEP_3) | instskip(NEXT) | instid1(VALU_DEP_4)
	v_add_co_u32 v8, vcc_lo, s20, v8
	v_add_co_ci_u32_e32 v9, vcc_lo, s21, v9, vcc_lo
	s_clause 0x1
	global_load_b32 v6, v[6:7], off
	global_load_b32 v7, v[8:9], off
	s_waitcnt vmcnt(0)
	v_fmac_f32_e32 v25, v6, v7
	s_cbranch_scc1 .LBB0_41
.LBB0_65:                               ;   Parent Loop BB0_7 Depth=1
                                        ;     Parent Loop BB0_43 Depth=2
                                        ; =>    This Inner Loop Header: Depth=3
	s_and_b32 vcc_lo, exec_lo, s29
	s_cbranch_vccz .LBB0_67
; %bb.66:                               ;   in Loop: Header=BB0_65 Depth=3
	v_add_nc_u32_e32 v6, s6, v26
	v_add_nc_u32_e32 v8, v20, v26
	s_cbranch_execnz .LBB0_64
	s_branch .LBB0_68
	.p2align	6
.LBB0_67:                               ;   in Loop: Header=BB0_65 Depth=3
                                        ; implicit-def: $vgpr6
                                        ; implicit-def: $vgpr8
.LBB0_68:                               ;   in Loop: Header=BB0_65 Depth=3
	v_add_nc_u32_e32 v6, s22, v12
	v_add_nc_u32_e32 v8, s22, v10
	s_branch .LBB0_64
.LBB0_69:
	s_or_b32 exec_lo, exec_lo, s26
	v_cmp_eq_u32_e32 vcc_lo, 31, v0
                                        ; implicit-def: $vgpr0
                                        ; implicit-def: $vgpr2_vgpr3
	s_and_b32 s2, vcc_lo, exec_lo
	s_and_not1_saveexec_b32 s0, s23
	s_cbranch_execz .LBB0_2
.LBB0_70:
	s_mov_b32 s3, s2
	s_mov_b32 s1, exec_lo
	v_cmpx_eq_u32_e32 31, v0
	s_cbranch_execz .LBB0_76
; %bb.71:
	v_add_nc_u32_e32 v0, s7, v2
	s_mov_b32 s4, exec_lo
	s_brev_b32 s3, -2
.LBB0_72:                               ; =>This Inner Loop Header: Depth=1
	s_ctz_i32_b32 s5, s4
	s_delay_alu instid0(VALU_DEP_1) | instid1(SALU_CYCLE_1)
	v_readlane_b32 s6, v0, s5
	s_lshl_b32 s5, 1, s5
	s_delay_alu instid0(SALU_CYCLE_1) | instskip(NEXT) | instid1(VALU_DEP_1)
	s_and_not1_b32 s4, s4, s5
	s_min_i32 s3, s3, s6
	s_cmp_lg_u32 s4, 0
	s_cbranch_scc1 .LBB0_72
; %bb.73:
	v_mbcnt_lo_u32_b32 v0, exec_lo, 0
	s_mov_b32 s4, exec_lo
	s_delay_alu instid0(VALU_DEP_1)
	v_cmpx_eq_u32_e32 0, v0
	s_xor_b32 s4, exec_lo, s4
	s_cbranch_execz .LBB0_75
; %bb.74:
	v_dual_mov_b32 v0, 0 :: v_dual_mov_b32 v1, s3
	global_atomic_min_i32 v0, v1, s[14:15]
.LBB0_75:
	s_or_b32 exec_lo, exec_lo, s4
	s_delay_alu instid0(SALU_CYCLE_1)
	s_or_b32 s3, s2, exec_lo
.LBB0_76:
	s_or_b32 exec_lo, exec_lo, s1
	s_delay_alu instid0(SALU_CYCLE_1) | instskip(SKIP_1) | instid1(SALU_CYCLE_1)
	s_and_not1_b32 s1, s2, exec_lo
	s_and_b32 s2, s3, exec_lo
	s_or_b32 s2, s1, s2
	s_or_b32 exec_lo, exec_lo, s0
	s_and_saveexec_b32 s0, s2
	s_cbranch_execz .LBB0_3
.LBB0_77:
	v_lshlrev_b64 v[0:1], 2, s[12:13]
	v_mov_b32_e32 v2, 1
	s_delay_alu instid0(VALU_DEP_2) | instskip(NEXT) | instid1(VALU_DEP_3)
	v_add_co_u32 v0, vcc_lo, s10, v0
	v_add_co_ci_u32_e32 v1, vcc_lo, s11, v1, vcc_lo
	s_waitcnt_vscnt null, 0x0
	global_store_b32 v[0:1], v2, off
	s_nop 0
	s_sendmsg sendmsg(MSG_DEALLOC_VGPRS)
	s_endpgm
	.section	.rodata,"a",@progbits
	.p2align	6, 0x0
	.amdhsa_kernel _ZN9rocsparseL23bsric0_binsearch_kernelILj32ELj32ELb0EfEEv20rocsparse_direction_iiPKiS3_PT2_S3_PiS3_S6_21rocsparse_index_base_
		.amdhsa_group_segment_fixed_size 0
		.amdhsa_private_segment_fixed_size 0
		.amdhsa_kernarg_size 76
		.amdhsa_user_sgpr_count 15
		.amdhsa_user_sgpr_dispatch_ptr 0
		.amdhsa_user_sgpr_queue_ptr 0
		.amdhsa_user_sgpr_kernarg_segment_ptr 1
		.amdhsa_user_sgpr_dispatch_id 0
		.amdhsa_user_sgpr_private_segment_size 0
		.amdhsa_wavefront_size32 1
		.amdhsa_uses_dynamic_stack 0
		.amdhsa_enable_private_segment 0
		.amdhsa_system_sgpr_workgroup_id_x 1
		.amdhsa_system_sgpr_workgroup_id_y 0
		.amdhsa_system_sgpr_workgroup_id_z 0
		.amdhsa_system_sgpr_workgroup_info 0
		.amdhsa_system_vgpr_workitem_id 0
		.amdhsa_next_free_vgpr 41
		.amdhsa_next_free_sgpr 40
		.amdhsa_reserve_vcc 1
		.amdhsa_float_round_mode_32 0
		.amdhsa_float_round_mode_16_64 0
		.amdhsa_float_denorm_mode_32 3
		.amdhsa_float_denorm_mode_16_64 3
		.amdhsa_dx10_clamp 1
		.amdhsa_ieee_mode 1
		.amdhsa_fp16_overflow 0
		.amdhsa_workgroup_processor_mode 1
		.amdhsa_memory_ordered 1
		.amdhsa_forward_progress 0
		.amdhsa_shared_vgpr_count 0
		.amdhsa_exception_fp_ieee_invalid_op 0
		.amdhsa_exception_fp_denorm_src 0
		.amdhsa_exception_fp_ieee_div_zero 0
		.amdhsa_exception_fp_ieee_overflow 0
		.amdhsa_exception_fp_ieee_underflow 0
		.amdhsa_exception_fp_ieee_inexact 0
		.amdhsa_exception_int_div_zero 0
	.end_amdhsa_kernel
	.section	.text._ZN9rocsparseL23bsric0_binsearch_kernelILj32ELj32ELb0EfEEv20rocsparse_direction_iiPKiS3_PT2_S3_PiS3_S6_21rocsparse_index_base_,"axG",@progbits,_ZN9rocsparseL23bsric0_binsearch_kernelILj32ELj32ELb0EfEEv20rocsparse_direction_iiPKiS3_PT2_S3_PiS3_S6_21rocsparse_index_base_,comdat
.Lfunc_end0:
	.size	_ZN9rocsparseL23bsric0_binsearch_kernelILj32ELj32ELb0EfEEv20rocsparse_direction_iiPKiS3_PT2_S3_PiS3_S6_21rocsparse_index_base_, .Lfunc_end0-_ZN9rocsparseL23bsric0_binsearch_kernelILj32ELj32ELb0EfEEv20rocsparse_direction_iiPKiS3_PT2_S3_PiS3_S6_21rocsparse_index_base_
                                        ; -- End function
	.section	.AMDGPU.csdata,"",@progbits
; Kernel info:
; codeLenInByte = 3084
; NumSgprs: 42
; NumVgprs: 41
; ScratchSize: 0
; MemoryBound: 0
; FloatMode: 240
; IeeeMode: 1
; LDSByteSize: 0 bytes/workgroup (compile time only)
; SGPRBlocks: 5
; VGPRBlocks: 5
; NumSGPRsForWavesPerEU: 42
; NumVGPRsForWavesPerEU: 41
; Occupancy: 16
; WaveLimiterHint : 1
; COMPUTE_PGM_RSRC2:SCRATCH_EN: 0
; COMPUTE_PGM_RSRC2:USER_SGPR: 15
; COMPUTE_PGM_RSRC2:TRAP_HANDLER: 0
; COMPUTE_PGM_RSRC2:TGID_X_EN: 1
; COMPUTE_PGM_RSRC2:TGID_Y_EN: 0
; COMPUTE_PGM_RSRC2:TGID_Z_EN: 0
; COMPUTE_PGM_RSRC2:TIDIG_COMP_CNT: 0
	.section	.text._ZN9rocsparseL23bsric0_binsearch_kernelILj64ELj64ELb1EfEEv20rocsparse_direction_iiPKiS3_PT2_S3_PiS3_S6_21rocsparse_index_base_,"axG",@progbits,_ZN9rocsparseL23bsric0_binsearch_kernelILj64ELj64ELb1EfEEv20rocsparse_direction_iiPKiS3_PT2_S3_PiS3_S6_21rocsparse_index_base_,comdat
	.globl	_ZN9rocsparseL23bsric0_binsearch_kernelILj64ELj64ELb1EfEEv20rocsparse_direction_iiPKiS3_PT2_S3_PiS3_S6_21rocsparse_index_base_ ; -- Begin function _ZN9rocsparseL23bsric0_binsearch_kernelILj64ELj64ELb1EfEEv20rocsparse_direction_iiPKiS3_PT2_S3_PiS3_S6_21rocsparse_index_base_
	.p2align	8
	.type	_ZN9rocsparseL23bsric0_binsearch_kernelILj64ELj64ELb1EfEEv20rocsparse_direction_iiPKiS3_PT2_S3_PiS3_S6_21rocsparse_index_base_,@function
_ZN9rocsparseL23bsric0_binsearch_kernelILj64ELj64ELb1EfEEv20rocsparse_direction_iiPKiS3_PT2_S3_PiS3_S6_21rocsparse_index_base_: ; @_ZN9rocsparseL23bsric0_binsearch_kernelILj64ELj64ELb1EfEEv20rocsparse_direction_iiPKiS3_PT2_S3_PiS3_S6_21rocsparse_index_base_
; %bb.0:
	s_mov_b32 s2, s15
	s_load_b256 s[8:15], s[0:1], 0x28
	s_ashr_i32 s3, s2, 31
	s_delay_alu instid0(SALU_CYCLE_1)
	s_lshl_b64 s[2:3], s[2:3], 2
	s_waitcnt lgkmcnt(0)
	s_add_u32 s2, s12, s2
	s_addc_u32 s3, s13, s3
	s_load_b32 s12, s[2:3], 0x0
	s_waitcnt lgkmcnt(0)
	s_ashr_i32 s13, s12, 31
	s_delay_alu instid0(SALU_CYCLE_1) | instskip(SKIP_1) | instid1(SALU_CYCLE_1)
	v_dual_mov_b32 v2, s12 :: v_dual_mov_b32 v3, s13
	s_lshl_b64 s[2:3], s[12:13], 2
	s_add_u32 s2, s8, s2
	s_addc_u32 s3, s9, s3
	s_load_b32 s24, s[2:3], 0x0
	s_load_b32 s7, s[0:1], 0x48
	s_mov_b32 s2, 0
	s_waitcnt lgkmcnt(0)
	s_cmp_lg_u32 s24, -1
	s_cselect_b32 s3, -1, 0
	s_delay_alu instid0(SALU_CYCLE_1) | instskip(NEXT) | instid1(SALU_CYCLE_1)
	s_and_saveexec_b32 s4, s3
	s_xor_b32 s23, exec_lo, s4
	s_cbranch_execnz .LBB1_4
; %bb.1:
	s_and_not1_saveexec_b32 s0, s23
	s_cbranch_execnz .LBB1_72
.LBB1_2:
	s_or_b32 exec_lo, exec_lo, s0
	s_and_saveexec_b32 s0, s2
	s_cbranch_execnz .LBB1_79
.LBB1_3:
	s_nop 0
	s_sendmsg sendmsg(MSG_DEALLOC_VGPRS)
	s_endpgm
.LBB1_4:
	s_load_b32 s25, s[0:1], 0x8
	s_mov_b32 s26, exec_lo
	s_waitcnt lgkmcnt(0)
	v_cmpx_gt_i32_e64 s25, v0
	s_cbranch_execz .LBB1_71
; %bb.5:
	s_clause 0x1
	s_load_b128 s[16:19], s[0:1], 0x10
	s_load_b32 s5, s[0:1], 0x0
	v_lshlrev_b64 v[3:4], 2, s[12:13]
	s_load_b64 s[20:21], s[0:1], 0x20
	v_dual_mov_b32 v20, v0 :: v_dual_add_nc_u32 v15, s7, v2
	s_mul_i32 s27, s25, s25
	v_cmp_ne_u32_e64 s0, 0, v0
	v_mul_lo_u32 v18, s24, s27
	s_mov_b32 s28, 0
	v_mov_b32_e32 v16, 0
	s_waitcnt lgkmcnt(0)
	v_add_co_u32 v3, vcc_lo, s16, v3
	v_add_co_ci_u32_e32 v4, vcc_lo, s17, v4, vcc_lo
	s_cmp_eq_u32 s5, 0
	s_cselect_b32 s1, -1, 0
	global_load_b64 v[3:4], v[3:4], off
	s_cmp_lg_u32 s5, 0
	s_cselect_b32 s29, -1, 0
	s_waitcnt vmcnt(0)
	v_subrev_nc_u32_e32 v13, s7, v3
	v_xad_u32 v14, s7, -1, v4
	s_delay_alu instid0(VALU_DEP_2) | instskip(NEXT) | instid1(VALU_DEP_2)
	v_mul_lo_u32 v17, s27, v13
	v_add_nc_u32_e32 v1, v14, v13
	v_cmp_gt_i32_e64 s2, s24, v13
	v_cmp_le_i32_e64 s3, s24, v13
	v_cmp_lt_i32_e64 s4, v13, v14
	s_delay_alu instid0(VALU_DEP_4) | instskip(SKIP_1) | instid1(VALU_DEP_2)
	v_ashrrev_i32_e32 v1, 1, v1
	v_add_nc_u32_e32 v19, v17, v0
	v_ashrrev_i32_e32 v2, 31, v1
	s_delay_alu instid0(VALU_DEP_1) | instskip(NEXT) | instid1(VALU_DEP_1)
	v_lshlrev_b64 v[2:3], 2, v[1:2]
	v_add_co_u32 v2, vcc_lo, s18, v2
	s_delay_alu instid0(VALU_DEP_2)
	v_add_co_ci_u32_e32 v3, vcc_lo, s19, v3, vcc_lo
	s_branch .LBB1_7
.LBB1_6:                                ;   in Loop: Header=BB1_7 Depth=1
	v_add_nc_u32_e32 v20, 64, v20
	v_add_nc_u32_e32 v19, 64, v19
	s_delay_alu instid0(VALU_DEP_2) | instskip(SKIP_1) | instid1(SALU_CYCLE_1)
	v_cmp_le_i32_e32 vcc_lo, s25, v20
	s_or_b32 s28, vcc_lo, s28
	s_and_not1_b32 exec_lo, exec_lo, s28
	s_cbranch_execz .LBB1_71
.LBB1_7:                                ; =>This Loop Header: Depth=1
                                        ;     Child Loop BB1_12 Depth 2
                                        ;       Child Loop BB1_16 Depth 3
                                        ;         Child Loop BB1_17 Depth 4
                                        ;       Child Loop BB1_21 Depth 3
                                        ;         Child Loop BB1_23 Depth 4
                                        ;         Child Loop BB1_30 Depth 4
                                        ;           Child Loop BB1_32 Depth 5
                                        ;           Child Loop BB1_38 Depth 5
                                        ;     Child Loop BB1_45 Depth 2
                                        ;       Child Loop BB1_49 Depth 3
                                        ;       Child Loop BB1_57 Depth 3
                                        ;         Child Loop BB1_59 Depth 4
                                        ;       Child Loop BB1_67 Depth 3
	v_mul_lo_u32 v21, v20, s25
                                        ; implicit-def: $sgpr5
	s_and_saveexec_b32 s6, s3
	s_delay_alu instid0(SALU_CYCLE_1)
	s_xor_b32 s6, exec_lo, s6
; %bb.8:                                ;   in Loop: Header=BB1_7 Depth=1
	v_mul_lo_u32 v21, v20, s25
	s_mov_b32 s5, 0
; %bb.9:                                ;   in Loop: Header=BB1_7 Depth=1
	s_or_saveexec_b32 s30, s6
	v_mov_b32_e32 v22, s5
	s_xor_b32 exec_lo, exec_lo, s30
	s_cbranch_execz .LBB1_42
; %bb.10:                               ;   in Loop: Header=BB1_7 Depth=1
	v_mov_b32_e32 v22, 0
	v_mov_b32_e32 v4, v13
	s_mov_b32 s31, 0
	s_branch .LBB1_12
.LBB1_11:                               ;   in Loop: Header=BB1_12 Depth=2
	s_or_b32 exec_lo, exec_lo, s33
	v_add_nc_u32_e32 v4, 1, v4
	s_xor_b32 s5, s5, -1
	s_delay_alu instid0(VALU_DEP_1) | instskip(SKIP_1) | instid1(SALU_CYCLE_1)
	v_cmp_le_i32_e32 vcc_lo, s24, v4
	s_or_b32 s5, s5, vcc_lo
	s_and_b32 s5, exec_lo, s5
	s_delay_alu instid0(SALU_CYCLE_1) | instskip(NEXT) | instid1(SALU_CYCLE_1)
	s_or_b32 s31, s5, s31
	s_and_not1_b32 exec_lo, exec_lo, s31
	s_cbranch_execz .LBB1_41
.LBB1_12:                               ;   Parent Loop BB1_7 Depth=1
                                        ; =>  This Loop Header: Depth=2
                                        ;       Child Loop BB1_16 Depth 3
                                        ;         Child Loop BB1_17 Depth 4
                                        ;       Child Loop BB1_21 Depth 3
                                        ;         Child Loop BB1_23 Depth 4
                                        ;         Child Loop BB1_30 Depth 4
                                        ;           Child Loop BB1_32 Depth 5
                                        ;           Child Loop BB1_38 Depth 5
	s_delay_alu instid0(VALU_DEP_1) | instskip(NEXT) | instid1(VALU_DEP_1)
	v_ashrrev_i32_e32 v5, 31, v4
	v_lshlrev_b64 v[5:6], 2, v[4:5]
	s_delay_alu instid0(VALU_DEP_1) | instskip(NEXT) | instid1(VALU_DEP_2)
	v_add_co_u32 v5, vcc_lo, s18, v5
	v_add_co_ci_u32_e32 v6, vcc_lo, s19, v6, vcc_lo
	global_load_b32 v23, v[5:6], off
	s_waitcnt vmcnt(0)
	v_subrev_nc_u32_e32 v5, s7, v23
	s_delay_alu instid0(VALU_DEP_1) | instskip(NEXT) | instid1(VALU_DEP_1)
	v_ashrrev_i32_e32 v6, 31, v5
	v_lshlrev_b64 v[6:7], 2, v[5:6]
	s_delay_alu instid0(VALU_DEP_1) | instskip(NEXT) | instid1(VALU_DEP_2)
	v_add_co_u32 v8, vcc_lo, s8, v6
	v_add_co_ci_u32_e32 v9, vcc_lo, s9, v7, vcc_lo
	global_load_b32 v24, v[8:9], off
	s_waitcnt vmcnt(0)
	v_cmp_ne_u32_e64 s5, -1, v24
	s_delay_alu instid0(VALU_DEP_1)
	s_and_saveexec_b32 s33, s5
	s_cbranch_execz .LBB1_11
; %bb.13:                               ;   in Loop: Header=BB1_12 Depth=2
	v_add_co_u32 v8, vcc_lo, s16, v6
	v_add_co_ci_u32_e32 v9, vcc_lo, s17, v7, vcc_lo
	v_add_co_u32 v6, vcc_lo, s10, v6
	v_add_co_ci_u32_e32 v7, vcc_lo, s11, v7, vcc_lo
	s_mov_b32 s6, exec_lo
	global_load_b32 v8, v[8:9], off
	global_load_b32 v9, v[6:7], off glc
	s_waitcnt vmcnt(0)
	v_cmpx_eq_u32_e32 0, v9
	s_cbranch_execz .LBB1_18
; %bb.14:                               ;   in Loop: Header=BB1_12 Depth=2
	s_mov_b32 s22, 0
	s_mov_b32 s34, 0
	s_branch .LBB1_16
	.p2align	6
.LBB1_15:                               ;   in Loop: Header=BB1_16 Depth=3
	global_load_b32 v9, v[6:7], off glc
	s_cmpk_lt_u32 s34, 0xf43
	s_cselect_b32 s35, -1, 0
	s_delay_alu instid0(SALU_CYCLE_1) | instskip(SKIP_4) | instid1(SALU_CYCLE_1)
	s_cmp_lg_u32 s35, 0
	s_addc_u32 s34, s34, 0
	s_waitcnt vmcnt(0)
	v_cmp_ne_u32_e32 vcc_lo, 0, v9
	s_or_b32 s22, vcc_lo, s22
	s_and_not1_b32 exec_lo, exec_lo, s22
	s_cbranch_execz .LBB1_18
.LBB1_16:                               ;   Parent Loop BB1_7 Depth=1
                                        ;     Parent Loop BB1_12 Depth=2
                                        ; =>    This Loop Header: Depth=3
                                        ;         Child Loop BB1_17 Depth 4
	s_cmp_eq_u32 s34, 0
	s_mov_b32 s35, s34
	s_cbranch_scc1 .LBB1_15
.LBB1_17:                               ;   Parent Loop BB1_7 Depth=1
                                        ;     Parent Loop BB1_12 Depth=2
                                        ;       Parent Loop BB1_16 Depth=3
                                        ; =>      This Inner Loop Header: Depth=4
	s_add_i32 s35, s35, -1
	s_sleep 1
	s_cmp_eq_u32 s35, 0
	s_cbranch_scc0 .LBB1_17
	s_branch .LBB1_15
.LBB1_18:                               ;   in Loop: Header=BB1_12 Depth=2
	s_or_b32 exec_lo, exec_lo, s6
	v_mul_lo_u32 v6, v4, s27
	v_subrev_nc_u32_e32 v25, s7, v8
	v_mul_lo_u32 v26, v5, s25
	v_mul_lo_u32 v27, v24, s27
	s_mov_b32 s34, 0
	buffer_gl1_inv
	buffer_gl0_inv
	v_mul_lo_u32 v28, s27, v25
	v_cmp_le_i32_e64 s6, v25, v24
	v_add_nc_u32_e32 v29, v6, v20
	v_add_nc_u32_e32 v30, v6, v21
	s_branch .LBB1_21
.LBB1_19:                               ;   in Loop: Header=BB1_21 Depth=3
	s_or_b32 exec_lo, exec_lo, s36
.LBB1_20:                               ;   in Loop: Header=BB1_21 Depth=3
	s_delay_alu instid0(SALU_CYCLE_1) | instskip(SKIP_3) | instid1(SALU_CYCLE_1)
	s_or_b32 exec_lo, exec_lo, s35
	s_waitcnt vmcnt(0)
	v_dual_sub_f32 v7, v32, v33 :: v_dual_add_nc_u32 v28, 1, v28
	s_add_i32 s34, s34, 1
	s_cmp_eq_u32 s34, s25
	s_delay_alu instid0(VALU_DEP_1) | instskip(SKIP_1) | instid1(VALU_DEP_2)
	v_div_scale_f32 v8, null, v31, v31, v7
	v_div_scale_f32 v11, vcc_lo, v7, v31, v7
	v_rcp_f32_e32 v9, v8
	s_waitcnt_depctr 0xfff
	v_fma_f32 v10, -v8, v9, 1.0
	s_delay_alu instid0(VALU_DEP_1) | instskip(NEXT) | instid1(VALU_DEP_1)
	v_fmac_f32_e32 v9, v10, v9
	v_mul_f32_e32 v10, v11, v9
	s_delay_alu instid0(VALU_DEP_1) | instskip(NEXT) | instid1(VALU_DEP_1)
	v_fma_f32 v12, -v8, v10, v11
	v_fmac_f32_e32 v10, v12, v9
	s_delay_alu instid0(VALU_DEP_1) | instskip(NEXT) | instid1(VALU_DEP_1)
	v_fma_f32 v8, -v8, v10, v11
	v_div_fmas_f32 v8, v8, v9, v10
	s_delay_alu instid0(VALU_DEP_1) | instskip(NEXT) | instid1(VALU_DEP_1)
	v_div_fixup_f32 v7, v8, v31, v7
	v_fmac_f32_e32 v22, v7, v7
	global_store_b32 v[5:6], v7, off
	s_cbranch_scc1 .LBB1_11
.LBB1_21:                               ;   Parent Loop BB1_7 Depth=1
                                        ;     Parent Loop BB1_12 Depth=2
                                        ; =>    This Loop Header: Depth=3
                                        ;         Child Loop BB1_23 Depth 4
                                        ;         Child Loop BB1_30 Depth 4
                                        ;           Child Loop BB1_32 Depth 5
                                        ;           Child Loop BB1_38 Depth 5
	s_mul_i32 s22, s34, s25
	s_delay_alu instid0(SALU_CYCLE_1) | instskip(NEXT) | instid1(VALU_DEP_1)
	v_add3_u32 v5, s22, s34, v27
	v_ashrrev_i32_e32 v6, 31, v5
	s_delay_alu instid0(VALU_DEP_1) | instskip(NEXT) | instid1(VALU_DEP_1)
	v_lshlrev_b64 v[5:6], 2, v[5:6]
	v_add_co_u32 v5, vcc_lo, s20, v5
	s_delay_alu instid0(VALU_DEP_2)
	v_add_co_ci_u32_e32 v6, vcc_lo, s21, v6, vcc_lo
	global_load_b32 v5, v[5:6], off
	s_waitcnt vmcnt(0)
	v_cmp_neq_f32_e32 vcc_lo, 0, v5
	v_cndmask_b32_e32 v31, 1.0, v5, vcc_lo
	s_or_b32 s35, vcc_lo, s0
	s_delay_alu instid0(SALU_CYCLE_1) | instskip(NEXT) | instid1(SALU_CYCLE_1)
	s_xor_b32 s36, s35, -1
	s_and_saveexec_b32 s35, s36
	s_cbranch_execz .LBB1_27
; %bb.22:                               ;   in Loop: Header=BB1_21 Depth=3
	s_mov_b32 s37, exec_lo
	s_brev_b32 s36, -2
.LBB1_23:                               ;   Parent Loop BB1_7 Depth=1
                                        ;     Parent Loop BB1_12 Depth=2
                                        ;       Parent Loop BB1_21 Depth=3
                                        ; =>      This Inner Loop Header: Depth=4
	s_ctz_i32_b32 s38, s37
	s_delay_alu instid0(SALU_CYCLE_1) | instskip(SKIP_1) | instid1(SALU_CYCLE_1)
	v_readlane_b32 s39, v23, s38
	s_lshl_b32 s38, 1, s38
	s_and_not1_b32 s37, s37, s38
	s_delay_alu instid0(VALU_DEP_1)
	s_min_i32 s36, s36, s39
	s_cmp_lg_u32 s37, 0
	s_cbranch_scc1 .LBB1_23
; %bb.24:                               ;   in Loop: Header=BB1_21 Depth=3
	v_mbcnt_lo_u32_b32 v5, exec_lo, 0
	s_mov_b32 s37, exec_lo
	s_delay_alu instid0(VALU_DEP_1)
	v_cmpx_eq_u32_e32 0, v5
	s_xor_b32 s37, exec_lo, s37
	s_cbranch_execz .LBB1_26
; %bb.25:                               ;   in Loop: Header=BB1_21 Depth=3
	v_mov_b32_e32 v5, s36
	global_atomic_min_i32 v16, v5, s[14:15]
.LBB1_26:                               ;   in Loop: Header=BB1_21 Depth=3
	s_or_b32 exec_lo, exec_lo, s37
	v_mov_b32_e32 v31, 1.0
.LBB1_27:                               ;   in Loop: Header=BB1_21 Depth=3
	s_or_b32 exec_lo, exec_lo, s35
	v_add_nc_u32_e32 v5, s22, v29
	v_dual_mov_b32 v33, 0 :: v_dual_add_nc_u32 v6, s34, v30
	s_delay_alu instid0(VALU_DEP_1) | instskip(NEXT) | instid1(VALU_DEP_1)
	v_cndmask_b32_e64 v5, v5, v6, s1
	v_ashrrev_i32_e32 v6, 31, v5
	s_delay_alu instid0(VALU_DEP_1) | instskip(NEXT) | instid1(VALU_DEP_1)
	v_lshlrev_b64 v[5:6], 2, v[5:6]
	v_add_co_u32 v5, vcc_lo, s20, v5
	s_delay_alu instid0(VALU_DEP_2)
	v_add_co_ci_u32_e32 v6, vcc_lo, s21, v6, vcc_lo
	global_load_b32 v32, v[5:6], off
	s_and_saveexec_b32 s35, s6
	s_cbranch_execz .LBB1_20
; %bb.28:                               ;   in Loop: Header=BB1_21 Depth=3
	global_load_b32 v34, v[2:3], off
	v_dual_mov_b32 v36, v28 :: v_dual_add_nc_u32 v35, s34, v26
	v_mov_b32_e32 v33, 0
	v_mov_b32_e32 v7, v25
	s_mov_b32 s36, 0
	s_branch .LBB1_30
.LBB1_29:                               ;   in Loop: Header=BB1_30 Depth=4
	s_set_inst_prefetch_distance 0x2
	s_or_b32 exec_lo, exec_lo, s37
	v_add_nc_u32_e32 v8, 1, v7
	v_cmp_ge_i32_e32 vcc_lo, v7, v24
	s_delay_alu instid0(VALU_DEP_2) | instskip(SKIP_1) | instid1(SALU_CYCLE_1)
	v_dual_mov_b32 v7, v8 :: v_dual_add_nc_u32 v36, s27, v36
	s_or_b32 s36, vcc_lo, s36
	s_and_not1_b32 exec_lo, exec_lo, s36
	s_cbranch_execz .LBB1_19
.LBB1_30:                               ;   Parent Loop BB1_7 Depth=1
                                        ;     Parent Loop BB1_12 Depth=2
                                        ;       Parent Loop BB1_21 Depth=3
                                        ; =>      This Loop Header: Depth=4
                                        ;           Child Loop BB1_32 Depth 5
                                        ;           Child Loop BB1_38 Depth 5
	s_delay_alu instid0(VALU_DEP_1) | instskip(NEXT) | instid1(VALU_DEP_1)
	v_ashrrev_i32_e32 v8, 31, v7
	v_lshlrev_b64 v[8:9], 2, v[7:8]
	s_delay_alu instid0(VALU_DEP_1) | instskip(NEXT) | instid1(VALU_DEP_2)
	v_add_co_u32 v8, vcc_lo, s18, v8
	v_add_co_ci_u32_e32 v9, vcc_lo, s19, v9, vcc_lo
	global_load_b32 v10, v[8:9], off
	s_waitcnt vmcnt(1)
	v_dual_mov_b32 v9, v34 :: v_dual_mov_b32 v8, v1
	s_and_saveexec_b32 s37, s4
	s_cbranch_execz .LBB1_34
; %bb.31:                               ;   in Loop: Header=BB1_30 Depth=4
	v_dual_mov_b32 v9, v34 :: v_dual_mov_b32 v8, v1
	v_dual_mov_b32 v11, v14 :: v_dual_mov_b32 v12, v13
	s_mov_b32 s38, 0
	.p2align	6
.LBB1_32:                               ;   Parent Loop BB1_7 Depth=1
                                        ;     Parent Loop BB1_12 Depth=2
                                        ;       Parent Loop BB1_21 Depth=3
                                        ;         Parent Loop BB1_30 Depth=4
                                        ; =>        This Inner Loop Header: Depth=5
	s_delay_alu instid0(VALU_DEP_2) | instskip(SKIP_2) | instid1(VALU_DEP_2)
	v_add_nc_u32_e32 v37, 1, v8
	s_waitcnt vmcnt(0)
	v_cmp_lt_i32_e32 vcc_lo, v9, v10
	v_cndmask_b32_e32 v12, v12, v37, vcc_lo
	v_cndmask_b32_e32 v11, v8, v11, vcc_lo
	s_delay_alu instid0(VALU_DEP_1) | instskip(NEXT) | instid1(VALU_DEP_1)
	v_add_nc_u32_e32 v8, v11, v12
	v_ashrrev_i32_e32 v8, 1, v8
	s_delay_alu instid0(VALU_DEP_1) | instskip(NEXT) | instid1(VALU_DEP_1)
	v_ashrrev_i32_e32 v9, 31, v8
	v_lshlrev_b64 v[37:38], 2, v[8:9]
	s_delay_alu instid0(VALU_DEP_1) | instskip(NEXT) | instid1(VALU_DEP_2)
	v_add_co_u32 v37, vcc_lo, s18, v37
	v_add_co_ci_u32_e32 v38, vcc_lo, s19, v38, vcc_lo
	v_cmp_ge_i32_e32 vcc_lo, v12, v11
	global_load_b32 v9, v[37:38], off
	s_or_b32 s38, vcc_lo, s38
	s_delay_alu instid0(SALU_CYCLE_1)
	s_and_not1_b32 exec_lo, exec_lo, s38
	s_cbranch_execnz .LBB1_32
; %bb.33:                               ;   in Loop: Header=BB1_30 Depth=4
	s_or_b32 exec_lo, exec_lo, s38
.LBB1_34:                               ;   in Loop: Header=BB1_30 Depth=4
	s_delay_alu instid0(SALU_CYCLE_1) | instskip(NEXT) | instid1(SALU_CYCLE_1)
	s_or_b32 exec_lo, exec_lo, s37
	s_mov_b32 s37, exec_lo
	s_waitcnt vmcnt(0)
	v_cmpx_eq_u32_e64 v9, v10
	s_cbranch_execz .LBB1_29
; %bb.35:                               ;   in Loop: Header=BB1_30 Depth=4
	v_mul_lo_u32 v11, v8, s27
	v_subrev_nc_u32_e32 v10, s7, v10
	v_mad_u64_u32 v[8:9], null, v7, s27, s[22:23]
	v_mov_b32_e32 v40, v36
	s_mov_b32 s38, 0
	s_delay_alu instid0(VALU_DEP_3)
	v_mul_lo_u32 v37, v10, s25
	v_add_nc_u32_e32 v38, v11, v21
	v_add_nc_u32_e32 v39, v20, v11
	s_set_inst_prefetch_distance 0x1
	s_branch .LBB1_38
	.p2align	6
.LBB1_36:                               ;   in Loop: Header=BB1_38 Depth=5
	s_delay_alu instid0(VALU_DEP_1) | instskip(NEXT) | instid1(VALU_DEP_2)
	v_ashrrev_i32_e32 v12, 31, v11
	v_ashrrev_i32_e32 v10, 31, v9
	s_delay_alu instid0(VALU_DEP_2) | instskip(NEXT) | instid1(VALU_DEP_2)
	v_lshlrev_b64 v[11:12], 2, v[11:12]
	v_lshlrev_b64 v[9:10], 2, v[9:10]
	s_delay_alu instid0(VALU_DEP_2) | instskip(NEXT) | instid1(VALU_DEP_3)
	v_add_co_u32 v11, vcc_lo, s20, v11
	v_add_co_ci_u32_e32 v12, vcc_lo, s21, v12, vcc_lo
	s_delay_alu instid0(VALU_DEP_3) | instskip(NEXT) | instid1(VALU_DEP_4)
	v_add_co_u32 v9, vcc_lo, s20, v9
	v_add_co_ci_u32_e32 v10, vcc_lo, s21, v10, vcc_lo
	s_clause 0x1
	global_load_b32 v11, v[11:12], off
	global_load_b32 v9, v[9:10], off
	s_waitcnt vmcnt(0)
	v_fmac_f32_e32 v33, v11, v9
.LBB1_37:                               ;   in Loop: Header=BB1_38 Depth=5
	s_or_b32 exec_lo, exec_lo, s39
	v_add_nc_u32_e32 v39, s25, v39
	v_add_nc_u32_e32 v40, s25, v40
	s_add_i32 s38, s38, 1
	s_delay_alu instid0(SALU_CYCLE_1)
	s_cmp_lg_u32 s25, s38
	s_cbranch_scc0 .LBB1_29
.LBB1_38:                               ;   Parent Loop BB1_7 Depth=1
                                        ;     Parent Loop BB1_12 Depth=2
                                        ;       Parent Loop BB1_21 Depth=3
                                        ;         Parent Loop BB1_30 Depth=4
                                        ; =>        This Inner Loop Header: Depth=5
	s_delay_alu instid0(VALU_DEP_3) | instskip(SKIP_1) | instid1(VALU_DEP_1)
	v_add_nc_u32_e32 v9, s38, v37
	s_mov_b32 s39, exec_lo
	v_cmpx_lt_i32_e64 v9, v35
	s_cbranch_execz .LBB1_37
; %bb.39:                               ;   in Loop: Header=BB1_38 Depth=5
	v_mov_b32_e32 v9, v39
	v_mov_b32_e32 v11, v40
	s_and_not1_b32 vcc_lo, exec_lo, s1
	s_cbranch_vccnz .LBB1_36
; %bb.40:                               ;   in Loop: Header=BB1_38 Depth=5
	v_add_nc_u32_e32 v11, s38, v8
	v_add_nc_u32_e32 v9, s38, v38
	s_branch .LBB1_36
.LBB1_41:                               ;   in Loop: Header=BB1_7 Depth=1
	s_or_b32 exec_lo, exec_lo, s31
.LBB1_42:                               ;   in Loop: Header=BB1_7 Depth=1
	s_delay_alu instid0(SALU_CYCLE_1) | instskip(NEXT) | instid1(VALU_DEP_2)
	s_or_b32 exec_lo, exec_lo, s30
	v_add_nc_u32_e32 v10, v21, v18
	v_mov_b32_e32 v11, v17
	s_mov_b32 s6, 0
	s_branch .LBB1_45
.LBB1_43:                               ;   in Loop: Header=BB1_45 Depth=2
	s_set_inst_prefetch_distance 0x2
	s_waitcnt vmcnt(0)
	s_delay_alu instid0(VALU_DEP_1) | instskip(NEXT) | instid1(VALU_DEP_1)
	v_sub_f32_e32 v6, v24, v25
	v_div_scale_f32 v7, null, v23, v23, v6
	s_delay_alu instid0(VALU_DEP_1) | instskip(SKIP_2) | instid1(VALU_DEP_1)
	v_rcp_f32_e32 v8, v7
	s_waitcnt_depctr 0xfff
	v_fma_f32 v9, -v7, v8, 1.0
	v_fmac_f32_e32 v8, v9, v8
	v_div_scale_f32 v9, vcc_lo, v6, v23, v6
	s_delay_alu instid0(VALU_DEP_1) | instskip(NEXT) | instid1(VALU_DEP_1)
	v_mul_f32_e32 v12, v9, v8
	v_fma_f32 v24, -v7, v12, v9
	s_delay_alu instid0(VALU_DEP_1) | instskip(NEXT) | instid1(VALU_DEP_1)
	v_fmac_f32_e32 v12, v24, v8
	v_fma_f32 v7, -v7, v12, v9
	s_delay_alu instid0(VALU_DEP_1) | instskip(NEXT) | instid1(VALU_DEP_1)
	v_div_fmas_f32 v7, v7, v8, v12
	v_div_fixup_f32 v6, v7, v23, v6
	s_delay_alu instid0(VALU_DEP_1)
	v_fmac_f32_e32 v22, v6, v6
	global_store_b32 v[4:5], v6, off
.LBB1_44:                               ;   in Loop: Header=BB1_45 Depth=2
	s_or_b32 exec_lo, exec_lo, s5
	v_add_nc_u32_e32 v11, 1, v11
	s_add_i32 s6, s6, 1
	s_waitcnt_vscnt null, 0x0
	buffer_gl1_inv
	buffer_gl0_inv
	s_cmp_eq_u32 s6, s25
	s_cbranch_scc1 .LBB1_6
.LBB1_45:                               ;   Parent Loop BB1_7 Depth=1
                                        ; =>  This Loop Header: Depth=2
                                        ;       Child Loop BB1_49 Depth 3
                                        ;       Child Loop BB1_57 Depth 3
                                        ;         Child Loop BB1_59 Depth 4
                                        ;       Child Loop BB1_67 Depth 3
	s_mul_i32 s22, s6, s25
	s_mov_b32 s30, exec_lo
	v_add_nc_u32_e32 v12, s22, v18
	s_delay_alu instid0(VALU_DEP_1) | instskip(NEXT) | instid1(VALU_DEP_1)
	v_add_nc_u32_e32 v4, s6, v12
	v_ashrrev_i32_e32 v5, 31, v4
	s_delay_alu instid0(VALU_DEP_1)
	v_lshlrev_b64 v[4:5], 2, v[4:5]
	v_cmpx_eq_u32_e64 s6, v20
	s_cbranch_execz .LBB1_47
; %bb.46:                               ;   in Loop: Header=BB1_45 Depth=2
	s_delay_alu instid0(VALU_DEP_2) | instskip(NEXT) | instid1(VALU_DEP_3)
	v_add_co_u32 v6, vcc_lo, s20, v4
	v_add_co_ci_u32_e32 v7, vcc_lo, s21, v5, vcc_lo
	global_load_b32 v8, v[6:7], off
	s_waitcnt vmcnt(0)
	v_sub_f32_e32 v8, v8, v22
	s_delay_alu instid0(VALU_DEP_1) | instskip(SKIP_1) | instid1(VALU_DEP_1)
	v_cmp_gt_f32_e32 vcc_lo, 0, v8
	v_cndmask_b32_e64 v8, v8, -v8, vcc_lo
	v_mul_f32_e32 v9, 0x4f800000, v8
	v_cmp_gt_f32_e32 vcc_lo, 0xf800000, v8
	s_delay_alu instid0(VALU_DEP_2) | instskip(NEXT) | instid1(VALU_DEP_1)
	v_cndmask_b32_e32 v8, v8, v9, vcc_lo
	v_sqrt_f32_e32 v9, v8
	s_waitcnt_depctr 0xfff
	v_add_nc_u32_e32 v23, -1, v9
	v_add_nc_u32_e32 v24, 1, v9
	s_delay_alu instid0(VALU_DEP_2) | instskip(NEXT) | instid1(VALU_DEP_2)
	v_fma_f32 v25, -v23, v9, v8
	v_fma_f32 v26, -v24, v9, v8
	s_delay_alu instid0(VALU_DEP_2) | instskip(NEXT) | instid1(VALU_DEP_1)
	v_cmp_ge_f32_e64 s5, 0, v25
	v_cndmask_b32_e64 v9, v9, v23, s5
	s_delay_alu instid0(VALU_DEP_3) | instskip(NEXT) | instid1(VALU_DEP_1)
	v_cmp_lt_f32_e64 s5, 0, v26
	v_cndmask_b32_e64 v9, v9, v24, s5
	s_delay_alu instid0(VALU_DEP_1) | instskip(NEXT) | instid1(VALU_DEP_1)
	v_mul_f32_e32 v23, 0x37800000, v9
	v_cndmask_b32_e32 v9, v9, v23, vcc_lo
	v_cmp_class_f32_e64 vcc_lo, v8, 0x260
	s_delay_alu instid0(VALU_DEP_2)
	v_cndmask_b32_e32 v8, v9, v8, vcc_lo
	global_store_b32 v[6:7], v8, off
.LBB1_47:                               ;   in Loop: Header=BB1_45 Depth=2
	s_or_b32 exec_lo, exec_lo, s30
	s_delay_alu instid0(VALU_DEP_2) | instskip(NEXT) | instid1(VALU_DEP_3)
	v_add_co_u32 v4, vcc_lo, s20, v4
	v_add_co_ci_u32_e32 v5, vcc_lo, s21, v5, vcc_lo
	s_waitcnt_vscnt null, 0x0
	buffer_gl1_inv
	buffer_gl0_inv
	global_load_b32 v4, v[4:5], off
	s_waitcnt vmcnt(0)
	v_cmp_neq_f32_e32 vcc_lo, 0, v4
	v_cndmask_b32_e32 v23, 1.0, v4, vcc_lo
	s_or_b32 s5, vcc_lo, s0
	s_delay_alu instid0(SALU_CYCLE_1) | instskip(NEXT) | instid1(SALU_CYCLE_1)
	s_xor_b32 s30, s5, -1
	s_and_saveexec_b32 s5, s30
	s_cbranch_execz .LBB1_53
; %bb.48:                               ;   in Loop: Header=BB1_45 Depth=2
	s_mov_b32 s31, exec_lo
	s_brev_b32 s30, -2
.LBB1_49:                               ;   Parent Loop BB1_7 Depth=1
                                        ;     Parent Loop BB1_45 Depth=2
                                        ; =>    This Inner Loop Header: Depth=3
	s_ctz_i32_b32 s33, s31
	s_delay_alu instid0(SALU_CYCLE_1) | instskip(SKIP_1) | instid1(SALU_CYCLE_1)
	v_readlane_b32 s34, v15, s33
	s_lshl_b32 s33, 1, s33
	s_and_not1_b32 s31, s31, s33
	s_delay_alu instid0(VALU_DEP_1)
	s_min_i32 s30, s30, s34
	s_cmp_lg_u32 s31, 0
	s_cbranch_scc1 .LBB1_49
; %bb.50:                               ;   in Loop: Header=BB1_45 Depth=2
	v_mbcnt_lo_u32_b32 v4, exec_lo, 0
	s_mov_b32 s31, exec_lo
	s_delay_alu instid0(VALU_DEP_1)
	v_cmpx_eq_u32_e32 0, v4
	s_xor_b32 s31, exec_lo, s31
	s_cbranch_execz .LBB1_52
; %bb.51:                               ;   in Loop: Header=BB1_45 Depth=2
	v_mov_b32_e32 v4, s30
	global_atomic_min_i32 v16, v4, s[14:15]
.LBB1_52:                               ;   in Loop: Header=BB1_45 Depth=2
	s_or_b32 exec_lo, exec_lo, s31
	v_mov_b32_e32 v23, 1.0
.LBB1_53:                               ;   in Loop: Header=BB1_45 Depth=2
	s_or_b32 exec_lo, exec_lo, s5
	s_delay_alu instid0(SALU_CYCLE_1)
	s_mov_b32 s5, exec_lo
	v_cmpx_lt_i32_e64 s6, v20
	s_cbranch_execz .LBB1_44
; %bb.54:                               ;   in Loop: Header=BB1_45 Depth=2
	v_dual_mov_b32 v25, 0 :: v_dual_add_nc_u32 v4, v12, v20
	v_add_nc_u32_e32 v5, s6, v10
	s_delay_alu instid0(VALU_DEP_1) | instskip(NEXT) | instid1(VALU_DEP_1)
	v_cndmask_b32_e64 v4, v4, v5, s1
	v_ashrrev_i32_e32 v5, 31, v4
	s_delay_alu instid0(VALU_DEP_1) | instskip(NEXT) | instid1(VALU_DEP_1)
	v_lshlrev_b64 v[4:5], 2, v[4:5]
	v_add_co_u32 v4, vcc_lo, s20, v4
	s_delay_alu instid0(VALU_DEP_2)
	v_add_co_ci_u32_e32 v5, vcc_lo, s21, v5, vcc_lo
	global_load_b32 v24, v[4:5], off
	s_and_saveexec_b32 s30, s2
	s_cbranch_execz .LBB1_64
; %bb.55:                               ;   in Loop: Header=BB1_45 Depth=2
	v_dual_mov_b32 v25, 0 :: v_dual_mov_b32 v26, v11
	v_dual_mov_b32 v27, v19 :: v_dual_mov_b32 v28, v13
	s_mov_b32 s31, 0
	s_branch .LBB1_57
.LBB1_56:                               ;   in Loop: Header=BB1_57 Depth=3
	s_set_inst_prefetch_distance 0x2
	v_add_nc_u32_e32 v28, 1, v28
	v_add_nc_u32_e32 v27, s27, v27
	;; [unrolled: 1-line block ×3, first 2 shown]
	s_delay_alu instid0(VALU_DEP_3) | instskip(SKIP_1) | instid1(SALU_CYCLE_1)
	v_cmp_le_i32_e32 vcc_lo, s24, v28
	s_or_b32 s31, vcc_lo, s31
	s_and_not1_b32 exec_lo, exec_lo, s31
	s_cbranch_execz .LBB1_63
.LBB1_57:                               ;   Parent Loop BB1_7 Depth=1
                                        ;     Parent Loop BB1_45 Depth=2
                                        ; =>    This Loop Header: Depth=3
                                        ;         Child Loop BB1_59 Depth 4
	s_delay_alu instid0(VALU_DEP_1) | instskip(SKIP_3) | instid1(VALU_DEP_1)
	v_mul_lo_u32 v6, v28, s27
	s_mov_b32 s33, s25
	s_mov_b32 s34, 0
	;; [unrolled: 1-line block ×3, first 2 shown]
	v_add_nc_u32_e32 v29, s22, v6
	v_add_nc_u32_e32 v30, v6, v21
	s_set_inst_prefetch_distance 0x1
	s_branch .LBB1_59
	.p2align	6
.LBB1_58:                               ;   in Loop: Header=BB1_59 Depth=4
	s_delay_alu instid0(VALU_DEP_2) | instskip(NEXT) | instid1(VALU_DEP_2)
	v_ashrrev_i32_e32 v7, 31, v6
	v_ashrrev_i32_e32 v9, 31, v8
	s_add_i32 s33, s33, -1
	s_add_i32 s35, s35, 1
	s_add_i32 s34, s34, s25
	v_lshlrev_b64 v[6:7], 2, v[6:7]
	v_lshlrev_b64 v[8:9], 2, v[8:9]
	s_cmp_eq_u32 s33, 0
	s_delay_alu instid0(VALU_DEP_2) | instskip(NEXT) | instid1(VALU_DEP_3)
	v_add_co_u32 v6, vcc_lo, s20, v6
	v_add_co_ci_u32_e32 v7, vcc_lo, s21, v7, vcc_lo
	s_delay_alu instid0(VALU_DEP_3) | instskip(NEXT) | instid1(VALU_DEP_4)
	v_add_co_u32 v8, vcc_lo, s20, v8
	v_add_co_ci_u32_e32 v9, vcc_lo, s21, v9, vcc_lo
	s_clause 0x1
	global_load_b32 v6, v[6:7], off
	global_load_b32 v7, v[8:9], off
	s_waitcnt vmcnt(0)
	v_fmac_f32_e32 v25, v6, v7
	s_cbranch_scc1 .LBB1_56
.LBB1_59:                               ;   Parent Loop BB1_7 Depth=1
                                        ;     Parent Loop BB1_45 Depth=2
                                        ;       Parent Loop BB1_57 Depth=3
                                        ; =>      This Inner Loop Header: Depth=4
	s_and_b32 vcc_lo, exec_lo, s29
	s_cbranch_vccz .LBB1_61
; %bb.60:                               ;   in Loop: Header=BB1_59 Depth=4
	v_add_nc_u32_e32 v6, s34, v26
	v_add_nc_u32_e32 v8, s34, v27
	s_cbranch_execnz .LBB1_58
	s_branch .LBB1_62
	.p2align	6
.LBB1_61:                               ;   in Loop: Header=BB1_59 Depth=4
                                        ; implicit-def: $vgpr6
                                        ; implicit-def: $vgpr8
.LBB1_62:                               ;   in Loop: Header=BB1_59 Depth=4
	v_add_nc_u32_e32 v6, s35, v29
	v_add_nc_u32_e32 v8, s35, v30
	s_branch .LBB1_58
.LBB1_63:                               ;   in Loop: Header=BB1_45 Depth=2
	s_or_b32 exec_lo, exec_lo, s31
.LBB1_64:                               ;   in Loop: Header=BB1_45 Depth=2
	s_delay_alu instid0(SALU_CYCLE_1)
	s_or_b32 exec_lo, exec_lo, s30
	s_cmp_eq_u32 s6, 0
	s_cbranch_scc1 .LBB1_43
; %bb.65:                               ;   in Loop: Header=BB1_45 Depth=2
	v_mov_b32_e32 v26, v18
	s_mov_b32 s22, 0
	s_set_inst_prefetch_distance 0x1
	s_branch .LBB1_67
	.p2align	6
.LBB1_66:                               ;   in Loop: Header=BB1_67 Depth=3
	s_delay_alu instid0(VALU_DEP_2) | instskip(NEXT) | instid1(VALU_DEP_2)
	v_ashrrev_i32_e32 v7, 31, v6
	v_ashrrev_i32_e32 v9, 31, v8
	s_add_i32 s22, s22, 1
	v_add_nc_u32_e32 v26, s25, v26
	s_cmp_ge_u32 s22, s6
	v_lshlrev_b64 v[6:7], 2, v[6:7]
	v_lshlrev_b64 v[8:9], 2, v[8:9]
	s_delay_alu instid0(VALU_DEP_2) | instskip(NEXT) | instid1(VALU_DEP_3)
	v_add_co_u32 v6, vcc_lo, s20, v6
	v_add_co_ci_u32_e32 v7, vcc_lo, s21, v7, vcc_lo
	s_delay_alu instid0(VALU_DEP_3) | instskip(NEXT) | instid1(VALU_DEP_4)
	v_add_co_u32 v8, vcc_lo, s20, v8
	v_add_co_ci_u32_e32 v9, vcc_lo, s21, v9, vcc_lo
	s_clause 0x1
	global_load_b32 v6, v[6:7], off
	global_load_b32 v7, v[8:9], off
	s_waitcnt vmcnt(0)
	v_fmac_f32_e32 v25, v6, v7
	s_cbranch_scc1 .LBB1_43
.LBB1_67:                               ;   Parent Loop BB1_7 Depth=1
                                        ;     Parent Loop BB1_45 Depth=2
                                        ; =>    This Inner Loop Header: Depth=3
	s_and_b32 vcc_lo, exec_lo, s29
	s_cbranch_vccz .LBB1_69
; %bb.68:                               ;   in Loop: Header=BB1_67 Depth=3
	v_add_nc_u32_e32 v6, s6, v26
	v_add_nc_u32_e32 v8, v20, v26
	s_cbranch_execnz .LBB1_66
	s_branch .LBB1_70
	.p2align	6
.LBB1_69:                               ;   in Loop: Header=BB1_67 Depth=3
                                        ; implicit-def: $vgpr6
                                        ; implicit-def: $vgpr8
.LBB1_70:                               ;   in Loop: Header=BB1_67 Depth=3
	v_add_nc_u32_e32 v6, s22, v12
	v_add_nc_u32_e32 v8, s22, v10
	s_branch .LBB1_66
.LBB1_71:
	s_or_b32 exec_lo, exec_lo, s26
	v_cmp_eq_u32_e32 vcc_lo, 63, v0
                                        ; implicit-def: $vgpr0
                                        ; implicit-def: $vgpr2_vgpr3
	s_and_b32 s2, vcc_lo, exec_lo
	s_and_not1_saveexec_b32 s0, s23
	s_cbranch_execz .LBB1_2
.LBB1_72:
	s_mov_b32 s3, s2
	s_mov_b32 s1, exec_lo
	v_cmpx_eq_u32_e32 63, v0
	s_cbranch_execz .LBB1_78
; %bb.73:
	v_add_nc_u32_e32 v0, s7, v2
	s_mov_b32 s4, exec_lo
	s_brev_b32 s3, -2
.LBB1_74:                               ; =>This Inner Loop Header: Depth=1
	s_ctz_i32_b32 s5, s4
	s_delay_alu instid0(VALU_DEP_1) | instid1(SALU_CYCLE_1)
	v_readlane_b32 s6, v0, s5
	s_lshl_b32 s5, 1, s5
	s_delay_alu instid0(SALU_CYCLE_1) | instskip(NEXT) | instid1(VALU_DEP_1)
	s_and_not1_b32 s4, s4, s5
	s_min_i32 s3, s3, s6
	s_cmp_lg_u32 s4, 0
	s_cbranch_scc1 .LBB1_74
; %bb.75:
	v_mbcnt_lo_u32_b32 v0, exec_lo, 0
	s_mov_b32 s4, exec_lo
	s_delay_alu instid0(VALU_DEP_1)
	v_cmpx_eq_u32_e32 0, v0
	s_xor_b32 s4, exec_lo, s4
	s_cbranch_execz .LBB1_77
; %bb.76:
	v_dual_mov_b32 v0, 0 :: v_dual_mov_b32 v1, s3
	global_atomic_min_i32 v0, v1, s[14:15]
.LBB1_77:
	s_or_b32 exec_lo, exec_lo, s4
	s_delay_alu instid0(SALU_CYCLE_1)
	s_or_b32 s3, s2, exec_lo
.LBB1_78:
	s_or_b32 exec_lo, exec_lo, s1
	s_delay_alu instid0(SALU_CYCLE_1) | instskip(SKIP_1) | instid1(SALU_CYCLE_1)
	s_and_not1_b32 s1, s2, exec_lo
	s_and_b32 s2, s3, exec_lo
	s_or_b32 s2, s1, s2
	s_or_b32 exec_lo, exec_lo, s0
	s_and_saveexec_b32 s0, s2
	s_cbranch_execz .LBB1_3
.LBB1_79:
	v_lshlrev_b64 v[0:1], 2, s[12:13]
	v_mov_b32_e32 v2, 1
	s_delay_alu instid0(VALU_DEP_2) | instskip(NEXT) | instid1(VALU_DEP_3)
	v_add_co_u32 v0, vcc_lo, s10, v0
	v_add_co_ci_u32_e32 v1, vcc_lo, s11, v1, vcc_lo
	s_waitcnt_vscnt null, 0x0
	global_store_b32 v[0:1], v2, off
	s_nop 0
	s_sendmsg sendmsg(MSG_DEALLOC_VGPRS)
	s_endpgm
	.section	.rodata,"a",@progbits
	.p2align	6, 0x0
	.amdhsa_kernel _ZN9rocsparseL23bsric0_binsearch_kernelILj64ELj64ELb1EfEEv20rocsparse_direction_iiPKiS3_PT2_S3_PiS3_S6_21rocsparse_index_base_
		.amdhsa_group_segment_fixed_size 0
		.amdhsa_private_segment_fixed_size 0
		.amdhsa_kernarg_size 76
		.amdhsa_user_sgpr_count 15
		.amdhsa_user_sgpr_dispatch_ptr 0
		.amdhsa_user_sgpr_queue_ptr 0
		.amdhsa_user_sgpr_kernarg_segment_ptr 1
		.amdhsa_user_sgpr_dispatch_id 0
		.amdhsa_user_sgpr_private_segment_size 0
		.amdhsa_wavefront_size32 1
		.amdhsa_uses_dynamic_stack 0
		.amdhsa_enable_private_segment 0
		.amdhsa_system_sgpr_workgroup_id_x 1
		.amdhsa_system_sgpr_workgroup_id_y 0
		.amdhsa_system_sgpr_workgroup_id_z 0
		.amdhsa_system_sgpr_workgroup_info 0
		.amdhsa_system_vgpr_workitem_id 0
		.amdhsa_next_free_vgpr 41
		.amdhsa_next_free_sgpr 40
		.amdhsa_reserve_vcc 1
		.amdhsa_float_round_mode_32 0
		.amdhsa_float_round_mode_16_64 0
		.amdhsa_float_denorm_mode_32 3
		.amdhsa_float_denorm_mode_16_64 3
		.amdhsa_dx10_clamp 1
		.amdhsa_ieee_mode 1
		.amdhsa_fp16_overflow 0
		.amdhsa_workgroup_processor_mode 1
		.amdhsa_memory_ordered 1
		.amdhsa_forward_progress 0
		.amdhsa_shared_vgpr_count 0
		.amdhsa_exception_fp_ieee_invalid_op 0
		.amdhsa_exception_fp_denorm_src 0
		.amdhsa_exception_fp_ieee_div_zero 0
		.amdhsa_exception_fp_ieee_overflow 0
		.amdhsa_exception_fp_ieee_underflow 0
		.amdhsa_exception_fp_ieee_inexact 0
		.amdhsa_exception_int_div_zero 0
	.end_amdhsa_kernel
	.section	.text._ZN9rocsparseL23bsric0_binsearch_kernelILj64ELj64ELb1EfEEv20rocsparse_direction_iiPKiS3_PT2_S3_PiS3_S6_21rocsparse_index_base_,"axG",@progbits,_ZN9rocsparseL23bsric0_binsearch_kernelILj64ELj64ELb1EfEEv20rocsparse_direction_iiPKiS3_PT2_S3_PiS3_S6_21rocsparse_index_base_,comdat
.Lfunc_end1:
	.size	_ZN9rocsparseL23bsric0_binsearch_kernelILj64ELj64ELb1EfEEv20rocsparse_direction_iiPKiS3_PT2_S3_PiS3_S6_21rocsparse_index_base_, .Lfunc_end1-_ZN9rocsparseL23bsric0_binsearch_kernelILj64ELj64ELb1EfEEv20rocsparse_direction_iiPKiS3_PT2_S3_PiS3_S6_21rocsparse_index_base_
                                        ; -- End function
	.section	.AMDGPU.csdata,"",@progbits
; Kernel info:
; codeLenInByte = 3140
; NumSgprs: 42
; NumVgprs: 41
; ScratchSize: 0
; MemoryBound: 0
; FloatMode: 240
; IeeeMode: 1
; LDSByteSize: 0 bytes/workgroup (compile time only)
; SGPRBlocks: 5
; VGPRBlocks: 5
; NumSGPRsForWavesPerEU: 42
; NumVGPRsForWavesPerEU: 41
; Occupancy: 16
; WaveLimiterHint : 1
; COMPUTE_PGM_RSRC2:SCRATCH_EN: 0
; COMPUTE_PGM_RSRC2:USER_SGPR: 15
; COMPUTE_PGM_RSRC2:TRAP_HANDLER: 0
; COMPUTE_PGM_RSRC2:TGID_X_EN: 1
; COMPUTE_PGM_RSRC2:TGID_Y_EN: 0
; COMPUTE_PGM_RSRC2:TGID_Z_EN: 0
; COMPUTE_PGM_RSRC2:TIDIG_COMP_CNT: 0
	.section	.text._ZN9rocsparseL26bsric0_2_8_unrolled_kernelILi1ELi32ELi1EfEEv20rocsparse_direction_iiPKiS3_PT2_S3_PiS3_S6_21rocsparse_index_base_,"axG",@progbits,_ZN9rocsparseL26bsric0_2_8_unrolled_kernelILi1ELi32ELi1EfEEv20rocsparse_direction_iiPKiS3_PT2_S3_PiS3_S6_21rocsparse_index_base_,comdat
	.globl	_ZN9rocsparseL26bsric0_2_8_unrolled_kernelILi1ELi32ELi1EfEEv20rocsparse_direction_iiPKiS3_PT2_S3_PiS3_S6_21rocsparse_index_base_ ; -- Begin function _ZN9rocsparseL26bsric0_2_8_unrolled_kernelILi1ELi32ELi1EfEEv20rocsparse_direction_iiPKiS3_PT2_S3_PiS3_S6_21rocsparse_index_base_
	.p2align	8
	.type	_ZN9rocsparseL26bsric0_2_8_unrolled_kernelILi1ELi32ELi1EfEEv20rocsparse_direction_iiPKiS3_PT2_S3_PiS3_S6_21rocsparse_index_base_,@function
_ZN9rocsparseL26bsric0_2_8_unrolled_kernelILi1ELi32ELi1EfEEv20rocsparse_direction_iiPKiS3_PT2_S3_PiS3_S6_21rocsparse_index_base_: ; @_ZN9rocsparseL26bsric0_2_8_unrolled_kernelILi1ELi32ELi1EfEEv20rocsparse_direction_iiPKiS3_PT2_S3_PiS3_S6_21rocsparse_index_base_
; %bb.0:
	s_load_b256 s[4:11], s[0:1], 0x28
	s_mov_b32 s12, s15
	s_mov_b32 s13, 0
	s_delay_alu instid0(SALU_CYCLE_1)
	s_lshl_b64 s[2:3], s[12:13], 2
	s_waitcnt lgkmcnt(0)
	s_add_u32 s2, s8, s2
	s_addc_u32 s3, s9, s3
	s_load_b32 s8, s[2:3], 0x0
	s_waitcnt lgkmcnt(0)
	s_ashr_i32 s9, s8, 31
	s_delay_alu instid0(SALU_CYCLE_1) | instskip(NEXT) | instid1(SALU_CYCLE_1)
	s_lshl_b64 s[2:3], s[8:9], 2
	s_add_u32 s14, s4, s2
	s_addc_u32 s15, s5, s3
	s_load_b32 s16, s[14:15], 0x0
	s_load_b32 s9, s[0:1], 0x48
	s_waitcnt lgkmcnt(0)
	s_cmp_lg_u32 s16, -1
	s_cbranch_scc0 .LBB2_56
; %bb.1:
	s_clause 0x1
	s_load_b128 s[12:15], s[0:1], 0x10
	s_load_b64 s[18:19], s[0:1], 0x20
	s_waitcnt lgkmcnt(0)
	s_add_u32 s20, s12, s2
	s_addc_u32 s21, s13, s3
	s_load_b32 s17, s[20:21], 0x0
	s_waitcnt lgkmcnt(0)
	s_sub_i32 s20, s17, s9
	s_delay_alu instid0(SALU_CYCLE_1)
	s_cmp_gt_i32 s20, s16
	s_cbranch_scc1 .LBB2_4
; %bb.2:
	s_not_b32 s22, s9
	s_ashr_i32 s21, s20, 31
	s_add_i32 s17, s22, s17
	s_lshl_b64 s[22:23], s[20:21], 2
	s_movk_i32 s21, 0x100
	s_add_u32 s22, s14, s22
	s_addc_u32 s23, s15, s23
.LBB2_3:                                ; =>This Inner Loop Header: Depth=1
	s_load_b32 s24, s[22:23], 0x0
	s_add_i32 s17, s17, 1
	s_waitcnt lgkmcnt(0)
	s_sub_i32 s24, s24, s9
	s_delay_alu instid0(SALU_CYCLE_1)
	v_dual_mov_b32 v0, s21 :: v_dual_mov_b32 v1, s24
	s_add_i32 s21, s21, 4
	s_add_u32 s22, s22, 4
	s_addc_u32 s23, s23, 0
	s_cmp_ge_i32 s17, s16
	ds_store_b32 v0, v1
	s_cbranch_scc0 .LBB2_3
.LBB2_4:
	v_mov_b32_e32 v0, 0
	s_cmp_ge_i32 s20, s16
	ds_store_b32 v0, v0 offset:408
	s_waitcnt lgkmcnt(0)
	buffer_gl0_inv
	s_cbranch_scc1 .LBB2_46
; %bb.5:
	s_load_b32 s0, s[0:1], 0x0
	v_mov_b32_e32 v1, 0x190
	v_mov_b32_e32 v2, 0x188
	;; [unrolled: 1-line block ×3, first 2 shown]
	s_mov_b32 s22, s20
	s_waitcnt lgkmcnt(0)
	s_cmp_lg_u32 s0, 0
	s_cselect_b32 s0, -1, 0
	s_delay_alu instid0(SALU_CYCLE_1) | instskip(NEXT) | instid1(VALU_DEP_1)
	v_cndmask_b32_e64 v4, 0, 1, s0
	v_cmp_ne_u32_e64 s0, 1, v4
	v_mov_b32_e32 v4, 0x198
	s_branch .LBB2_9
.LBB2_6:                                ;   in Loop: Header=BB2_9 Depth=1
	v_cmp_neq_f32_e32 vcc_lo, 0, v6
	v_cndmask_b32_e32 v6, 1.0, v6, vcc_lo
.LBB2_7:                                ;   in Loop: Header=BB2_9 Depth=1
	ds_load_b32 v7, v2
	s_add_i32 s22, s22, 1
	s_delay_alu instid0(SALU_CYCLE_1) | instskip(SKIP_3) | instid1(VALU_DEP_1)
	s_cmp_ge_i32 s22, s16
	s_cselect_b32 s17, -1, 0
	s_waitcnt lgkmcnt(0)
	v_sub_f32_e32 v5, v5, v7
	v_div_scale_f32 v7, null, v6, v6, v5
	v_div_scale_f32 v10, vcc_lo, v5, v6, v5
	s_delay_alu instid0(VALU_DEP_2) | instskip(SKIP_2) | instid1(VALU_DEP_1)
	v_rcp_f32_e32 v8, v7
	s_waitcnt_depctr 0xfff
	v_fma_f32 v9, -v7, v8, 1.0
	v_fmac_f32_e32 v8, v9, v8
	s_delay_alu instid0(VALU_DEP_1) | instskip(NEXT) | instid1(VALU_DEP_1)
	v_mul_f32_e32 v9, v10, v8
	v_fma_f32 v11, -v7, v9, v10
	s_delay_alu instid0(VALU_DEP_1) | instskip(NEXT) | instid1(VALU_DEP_1)
	v_fmac_f32_e32 v9, v11, v8
	v_fma_f32 v7, -v7, v9, v10
	s_delay_alu instid0(VALU_DEP_1) | instskip(NEXT) | instid1(VALU_DEP_1)
	v_div_fmas_f32 v7, v7, v8, v9
	v_div_fixup_f32 v5, v7, v6, v5
	ds_store_b32 v1, v5
	s_waitcnt lgkmcnt(0)
	s_waitcnt_vscnt null, 0x0
	buffer_gl0_inv
	ds_load_b32 v6, v1
	ds_load_b32 v7, v4
	s_waitcnt lgkmcnt(0)
	v_fmac_f32_e32 v7, v5, v6
	ds_store_b32 v4, v7
	s_waitcnt lgkmcnt(0)
	buffer_gl0_inv
	ds_load_b32 v5, v1
	s_waitcnt lgkmcnt(0)
	global_store_b32 v0, v5, s[24:25]
	s_waitcnt_vscnt null, 0x0
	buffer_gl1_inv
	buffer_gl0_inv
.LBB2_8:                                ;   in Loop: Header=BB2_9 Depth=1
	s_and_b32 vcc_lo, exec_lo, s17
	s_cbranch_vccnz .LBB2_46
.LBB2_9:                                ; =>This Loop Header: Depth=1
                                        ;     Child Loop BB2_12 Depth 2
                                        ;     Child Loop BB2_23 Depth 2
                                        ;     Child Loop BB2_37 Depth 2
                                        ;     Child Loop BB2_41 Depth 2
                                        ;     Child Loop BB2_28 Depth 2
                                        ;     Child Loop BB2_33 Depth 2
	s_ashr_i32 s23, s22, 31
	s_mov_b32 s17, -1
	s_lshl_b64 s[24:25], s[22:23], 2
	s_delay_alu instid0(SALU_CYCLE_1) | instskip(SKIP_4) | instid1(SALU_CYCLE_1)
	s_add_u32 s26, s14, s24
	s_addc_u32 s27, s15, s25
	s_load_b32 s1, s[26:27], 0x0
	s_waitcnt lgkmcnt(0)
	s_sub_i32 s30, s1, s9
	s_ashr_i32 s31, s30, 31
	s_delay_alu instid0(SALU_CYCLE_1) | instskip(NEXT) | instid1(SALU_CYCLE_1)
	s_lshl_b64 s[28:29], s[30:31], 2
	s_add_u32 s26, s4, s28
	s_addc_u32 s27, s5, s29
	s_load_b32 s26, s[26:27], 0x0
	s_waitcnt lgkmcnt(0)
	s_cmp_eq_u32 s26, -1
	s_cbranch_scc1 .LBB2_8
; %bb.10:                               ;   in Loop: Header=BB2_9 Depth=1
	s_add_u32 s34, s12, s28
	s_addc_u32 s35, s13, s29
	s_mov_b32 s21, 0
	s_load_b32 s17, s[34:35], 0x0
	ds_load_b32 v6, v0 offset:256
	s_waitcnt lgkmcnt(0)
	s_sub_i32 s34, s17, s9
	s_add_u32 s24, s18, s24
	s_addc_u32 s25, s19, s25
	s_cmp_le_i32 s34, s26
	global_load_b32 v5, v0, s[24:25]
	s_cselect_b32 s17, -1, 0
	v_cmp_ge_i32_e32 vcc_lo, s30, v6
	s_and_b32 s17, s17, vcc_lo
	s_delay_alu instid0(SALU_CYCLE_1)
	s_and_not1_b32 vcc_lo, exec_lo, s17
	s_waitcnt vmcnt(0)
	ds_store_b32 v1, v5
	s_cbranch_vccnz .LBB2_22
; %bb.11:                               ;   in Loop: Header=BB2_9 Depth=1
	s_mov_b32 s17, 0
	s_mov_b32 s23, 0
.LBB2_12:                               ;   Parent Loop BB2_9 Depth=1
                                        ; =>  This Inner Loop Header: Depth=2
	s_ashr_i32 s35, s34, 31
                                        ; implicit-def: $sgpr33
                                        ; implicit-def: $sgpr31
	s_delay_alu instid0(SALU_CYCLE_1) | instskip(SKIP_4) | instid1(SALU_CYCLE_1)
	s_lshl_b64 s[36:37], s[34:35], 2
	s_mov_b32 s35, -1
	s_add_u32 s36, s14, s36
	s_addc_u32 s37, s15, s37
	s_lshl_b32 s21, s23, 2
	v_mov_b32_e32 v5, s21
	s_load_b32 s21, s[36:37], 0x0
	ds_load_b32 v5, v5 offset:256
	s_waitcnt lgkmcnt(0)
	s_sub_i32 s36, s21, s9
                                        ; implicit-def: $sgpr21
	s_delay_alu instid0(SALU_CYCLE_1)
	v_cmp_ge_i32_e32 vcc_lo, s36, v5
	v_readfirstlane_b32 s27, v5
	s_cbranch_vccz .LBB2_18
; %bb.13:                               ;   in Loop: Header=BB2_12 Depth=2
	s_delay_alu instid0(VALU_DEP_1)
	s_cmp_le_i32 s36, s27
                                        ; implicit-def: $sgpr21
                                        ; implicit-def: $sgpr33
                                        ; implicit-def: $sgpr31
	s_cbranch_scc0 .LBB2_15
; %bb.14:                               ;   in Loop: Header=BB2_12 Depth=2
	s_lshl_b32 s21, s17, 2
	s_add_i32 s31, s23, s20
	s_delay_alu instid0(SALU_CYCLE_1)
	v_dual_mov_b32 v5, s21 :: v_dual_mov_b32 v6, s31
	v_mov_b32_e32 v7, s34
	s_add_i32 s31, s23, 1
	s_add_i32 s33, s34, 1
	;; [unrolled: 1-line block ×3, first 2 shown]
	s_mov_b32 s35, 0
	ds_store_2addr_b32 v5, v7, v6 offset1:32
.LBB2_15:                               ;   in Loop: Header=BB2_12 Depth=2
	s_and_not1_b32 vcc_lo, exec_lo, s35
	s_cbranch_vccnz .LBB2_17
; %bb.16:                               ;   in Loop: Header=BB2_12 Depth=2
	s_add_i32 s31, s23, 1
	s_mov_b32 s21, s17
	s_mov_b32 s33, s34
.LBB2_17:                               ;   in Loop: Header=BB2_12 Depth=2
	s_mov_b32 s35, 0
.LBB2_18:                               ;   in Loop: Header=BB2_12 Depth=2
	s_delay_alu instid0(SALU_CYCLE_1)
	s_and_not1_b32 vcc_lo, exec_lo, s35
	s_cbranch_vccnz .LBB2_20
; %bb.19:                               ;   in Loop: Header=BB2_12 Depth=2
	s_add_i32 s33, s34, 1
	s_mov_b32 s31, s23
	s_mov_b32 s21, s17
.LBB2_20:                               ;   in Loop: Header=BB2_12 Depth=2
	s_cmp_le_i32 s33, s26
	s_cselect_b32 s17, -1, 0
	s_cmp_le_i32 s27, s30
	s_cselect_b32 s23, -1, 0
	s_delay_alu instid0(SALU_CYCLE_1) | instskip(NEXT) | instid1(SALU_CYCLE_1)
	s_and_b32 s17, s17, s23
	s_and_b32 vcc_lo, exec_lo, s17
	s_cbranch_vccz .LBB2_22
; %bb.21:                               ;   in Loop: Header=BB2_12 Depth=2
	s_mov_b32 s17, s21
	s_mov_b32 s34, s33
	;; [unrolled: 1-line block ×3, first 2 shown]
	s_branch .LBB2_12
.LBB2_22:                               ;   in Loop: Header=BB2_9 Depth=1
	s_add_u32 s28, s6, s28
	s_addc_u32 s29, s7, s29
	s_waitcnt lgkmcnt(0)
	buffer_gl0_inv
.LBB2_23:                               ;   Parent Loop BB2_9 Depth=1
                                        ; =>  This Inner Loop Header: Depth=2
	global_load_b32 v5, v0, s[28:29] glc
	s_waitcnt vmcnt(0)
	v_cmp_eq_u32_e32 vcc_lo, 0, v5
	s_cbranch_vccnz .LBB2_23
; %bb.24:                               ;   in Loop: Header=BB2_9 Depth=1
	s_ashr_i32 s27, s26, 31
	buffer_gl1_inv
	buffer_gl0_inv
	s_lshl_b64 s[26:27], s[26:27], 2
	v_mov_b32_e32 v5, 0
	s_add_u32 s26, s18, s26
	s_addc_u32 s27, s19, s27
	s_cmp_lt_i32 s21, 2
	global_load_b32 v6, v0, s[26:27]
	s_waitcnt vmcnt(0)
	ds_store_b32 v3, v6
	s_waitcnt lgkmcnt(0)
	buffer_gl0_inv
	s_cbranch_scc1 .LBB2_42
; %bb.25:                               ;   in Loop: Header=BB2_9 Depth=1
	s_and_b32 vcc_lo, exec_lo, s0
	s_add_i32 s17, s21, -1
	s_cbranch_vccnz .LBB2_30
; %bb.26:                               ;   in Loop: Header=BB2_9 Depth=1
	v_mov_b32_e32 v5, 0
	s_add_i32 s23, s21, -2
	s_delay_alu instid0(SALU_CYCLE_1)
	s_cmp_lt_u32 s23, 7
	s_cbranch_scc1 .LBB2_31
; %bb.27:                               ;   in Loop: Header=BB2_9 Depth=1
	s_and_b32 s23, s17, -8
	s_mov_b32 s26, 0
	s_mov_b32 s27, 0
.LBB2_28:                               ;   Parent Loop BB2_9 Depth=1
                                        ; =>  This Inner Loop Header: Depth=2
	v_mov_b32_e32 v18, s26
	s_add_i32 s27, s27, 8
	s_add_i32 s26, s26, 32
	s_cmp_eq_u32 s23, s27
	ds_load_b128 v[6:9], v18
	ds_load_b128 v[10:13], v18 offset:128
	ds_load_b128 v[14:17], v18 offset:16
	;; [unrolled: 1-line block ×3, first 2 shown]
	s_waitcnt lgkmcnt(3)
	v_ashrrev_i32_e32 v23, 31, v6
	v_mov_b32_e32 v22, v6
	s_waitcnt lgkmcnt(2)
	v_ashrrev_i32_e32 v25, 31, v10
	v_mov_b32_e32 v24, v10
	v_ashrrev_i32_e32 v27, 31, v7
	v_mov_b32_e32 v26, v7
	;; [unrolled: 2-line block ×7, first 2 shown]
	s_waitcnt lgkmcnt(1)
	v_ashrrev_i32_e32 v13, 31, v14
	v_mov_b32_e32 v12, v14
	s_waitcnt lgkmcnt(0)
	v_ashrrev_i32_e32 v33, 31, v18
	v_mov_b32_e32 v32, v18
	v_ashrrev_i32_e32 v35, 31, v15
	v_mov_b32_e32 v34, v15
	;; [unrolled: 2-line block ×7, first 2 shown]
	v_lshlrev_b64 v[20:21], 2, v[22:23]
	v_lshlrev_b64 v[22:23], 2, v[24:25]
	;; [unrolled: 1-line block ×6, first 2 shown]
	v_add_co_u32 v20, vcc_lo, s18, v20
	v_add_co_ci_u32_e32 v21, vcc_lo, s19, v21, vcc_lo
	v_add_co_u32 v22, vcc_lo, s18, v22
	v_add_co_ci_u32_e32 v23, vcc_lo, s19, v23, vcc_lo
	;; [unrolled: 2-line block ×4, first 2 shown]
	v_lshlrev_b64 v[28:29], 2, v[30:31]
	v_add_co_u32 v10, vcc_lo, s18, v10
	v_add_co_ci_u32_e32 v11, vcc_lo, s19, v11, vcc_lo
	v_lshlrev_b64 v[8:9], 2, v[8:9]
	v_add_co_u32 v26, vcc_lo, s18, v26
	v_add_co_ci_u32_e32 v27, vcc_lo, s19, v27, vcc_lo
	;; [unrolled: 3-line block ×5, first 2 shown]
	s_clause 0x1
	global_load_b32 v20, v[20:21], off
	global_load_b32 v21, v[22:23], off
	v_lshlrev_b64 v[14:15], 2, v[14:15]
	v_add_co_u32 v30, vcc_lo, s18, v30
	v_add_co_ci_u32_e32 v31, vcc_lo, s19, v31, vcc_lo
	v_lshlrev_b64 v[18:19], 2, v[18:19]
	v_add_co_u32 v32, vcc_lo, s18, v32
	s_clause 0x3
	global_load_b32 v22, v[24:25], off
	global_load_b32 v23, v[10:11], off
	;; [unrolled: 1-line block ×4, first 2 shown]
	v_add_co_ci_u32_e32 v33, vcc_lo, s19, v33, vcc_lo
	v_add_co_u32 v14, vcc_lo, s18, v14
	v_add_co_ci_u32_e32 v15, vcc_lo, s19, v15, vcc_lo
	v_add_co_u32 v6, vcc_lo, s18, v18
	global_load_b32 v18, v[26:27], off
	v_lshlrev_b64 v[34:35], 2, v[36:37]
	v_lshlrev_b64 v[36:37], 2, v[38:39]
	v_add_co_ci_u32_e32 v7, vcc_lo, s19, v19, vcc_lo
	global_load_b32 v19, v[8:9], off
	v_lshlrev_b64 v[16:17], 2, v[16:17]
	s_clause 0x1
	global_load_b32 v12, v[12:13], off
	global_load_b32 v13, v[30:31], off
	v_add_co_u32 v10, vcc_lo, s18, v36
	v_add_co_ci_u32_e32 v11, vcc_lo, s19, v37, vcc_lo
	v_add_co_u32 v8, vcc_lo, s18, v34
	v_add_co_ci_u32_e32 v9, vcc_lo, s19, v35, vcc_lo
	s_clause 0x3
	global_load_b32 v26, v[32:33], off
	global_load_b32 v27, v[6:7], off
	;; [unrolled: 1-line block ×4, first 2 shown]
	v_add_co_u32 v6, vcc_lo, s18, v16
	v_add_co_ci_u32_e32 v7, vcc_lo, s19, v17, vcc_lo
	s_clause 0x1
	global_load_b32 v8, v[8:9], off
	global_load_b32 v6, v[6:7], off
	s_waitcnt vmcnt(14)
	v_fmac_f32_e32 v5, v20, v21
	s_waitcnt vmcnt(10)
	s_delay_alu instid0(VALU_DEP_1) | instskip(SKIP_1) | instid1(VALU_DEP_1)
	v_fmac_f32_e32 v5, v22, v25
	s_waitcnt vmcnt(9)
	v_fmac_f32_e32 v5, v23, v18
	s_waitcnt vmcnt(8)
	s_delay_alu instid0(VALU_DEP_1) | instskip(SKIP_1) | instid1(VALU_DEP_1)
	v_fmac_f32_e32 v5, v24, v19
	;; [unrolled: 5-line block ×3, first 2 shown]
	s_waitcnt vmcnt(1)
	v_fmac_f32_e32 v5, v27, v8
	s_waitcnt vmcnt(0)
	s_delay_alu instid0(VALU_DEP_1)
	v_fmac_f32_e32 v5, v10, v6
	s_cbranch_scc0 .LBB2_28
; %bb.29:                               ;   in Loop: Header=BB2_9 Depth=1
	s_and_b32 s26, s17, 7
	s_delay_alu instid0(SALU_CYCLE_1)
	s_cmp_eq_u32 s26, 0
	s_cbranch_scc0 .LBB2_32
	s_branch .LBB2_34
.LBB2_30:                               ;   in Loop: Header=BB2_9 Depth=1
                                        ; implicit-def: $vgpr5
	s_cbranch_execnz .LBB2_35
	s_branch .LBB2_42
.LBB2_31:                               ;   in Loop: Header=BB2_9 Depth=1
	s_mov_b32 s23, 0
	s_and_b32 s26, s17, 7
	s_delay_alu instid0(SALU_CYCLE_1)
	s_cmp_eq_u32 s26, 0
	s_cbranch_scc1 .LBB2_34
.LBB2_32:                               ;   in Loop: Header=BB2_9 Depth=1
	s_lshl_b32 s23, s23, 2
	.p2align	6
.LBB2_33:                               ;   Parent Loop BB2_9 Depth=1
                                        ; =>  This Inner Loop Header: Depth=2
	s_delay_alu instid0(SALU_CYCLE_1)
	v_mov_b32_e32 v6, s23
	s_add_i32 s26, s26, -1
	s_add_i32 s23, s23, 4
	s_cmp_lg_u32 s26, 0
	ds_load_2addr_b32 v[6:7], v6 offset1:32
	s_waitcnt lgkmcnt(0)
	v_ashrrev_i32_e32 v9, 31, v6
	v_mov_b32_e32 v8, v6
	v_ashrrev_i32_e32 v11, 31, v7
	v_mov_b32_e32 v10, v7
	s_delay_alu instid0(VALU_DEP_3) | instskip(NEXT) | instid1(VALU_DEP_2)
	v_lshlrev_b64 v[6:7], 2, v[8:9]
	v_lshlrev_b64 v[8:9], 2, v[10:11]
	s_delay_alu instid0(VALU_DEP_2) | instskip(NEXT) | instid1(VALU_DEP_3)
	v_add_co_u32 v6, vcc_lo, s18, v6
	v_add_co_ci_u32_e32 v7, vcc_lo, s19, v7, vcc_lo
	s_delay_alu instid0(VALU_DEP_3) | instskip(NEXT) | instid1(VALU_DEP_4)
	v_add_co_u32 v8, vcc_lo, s18, v8
	v_add_co_ci_u32_e32 v9, vcc_lo, s19, v9, vcc_lo
	s_clause 0x1
	global_load_b32 v6, v[6:7], off
	global_load_b32 v7, v[8:9], off
	s_waitcnt vmcnt(0)
	v_fmac_f32_e32 v5, v6, v7
	s_cbranch_scc1 .LBB2_33
.LBB2_34:                               ;   in Loop: Header=BB2_9 Depth=1
	s_branch .LBB2_42
.LBB2_35:                               ;   in Loop: Header=BB2_9 Depth=1
	v_mov_b32_e32 v5, 0
	s_add_i32 s21, s21, -2
	s_delay_alu instid0(SALU_CYCLE_1)
	s_cmp_lt_u32 s21, 7
	s_cbranch_scc1 .LBB2_39
; %bb.36:                               ;   in Loop: Header=BB2_9 Depth=1
	s_and_b32 s21, s17, -8
	s_mov_b32 s23, 0
	s_mov_b32 s26, 0
.LBB2_37:                               ;   Parent Loop BB2_9 Depth=1
                                        ; =>  This Inner Loop Header: Depth=2
	v_mov_b32_e32 v18, s23
	s_add_i32 s26, s26, 8
	s_add_i32 s23, s23, 32
	s_cmp_lg_u32 s21, s26
	ds_load_b128 v[6:9], v18
	ds_load_b128 v[10:13], v18 offset:128
	ds_load_b128 v[14:17], v18 offset:16
	;; [unrolled: 1-line block ×3, first 2 shown]
	s_waitcnt lgkmcnt(3)
	v_ashrrev_i32_e32 v23, 31, v6
	v_mov_b32_e32 v22, v6
	s_waitcnt lgkmcnt(2)
	v_ashrrev_i32_e32 v25, 31, v10
	v_mov_b32_e32 v24, v10
	v_ashrrev_i32_e32 v27, 31, v7
	v_mov_b32_e32 v26, v7
	;; [unrolled: 2-line block ×7, first 2 shown]
	s_waitcnt lgkmcnt(1)
	v_ashrrev_i32_e32 v13, 31, v14
	v_mov_b32_e32 v12, v14
	s_waitcnt lgkmcnt(0)
	v_ashrrev_i32_e32 v33, 31, v18
	v_mov_b32_e32 v32, v18
	v_ashrrev_i32_e32 v35, 31, v15
	v_mov_b32_e32 v34, v15
	;; [unrolled: 2-line block ×7, first 2 shown]
	v_lshlrev_b64 v[20:21], 2, v[22:23]
	v_lshlrev_b64 v[22:23], 2, v[24:25]
	;; [unrolled: 1-line block ×6, first 2 shown]
	v_add_co_u32 v20, vcc_lo, s18, v20
	v_add_co_ci_u32_e32 v21, vcc_lo, s19, v21, vcc_lo
	v_add_co_u32 v22, vcc_lo, s18, v22
	v_add_co_ci_u32_e32 v23, vcc_lo, s19, v23, vcc_lo
	;; [unrolled: 2-line block ×4, first 2 shown]
	v_lshlrev_b64 v[28:29], 2, v[30:31]
	v_add_co_u32 v10, vcc_lo, s18, v10
	v_add_co_ci_u32_e32 v11, vcc_lo, s19, v11, vcc_lo
	v_lshlrev_b64 v[8:9], 2, v[8:9]
	v_add_co_u32 v26, vcc_lo, s18, v26
	v_add_co_ci_u32_e32 v27, vcc_lo, s19, v27, vcc_lo
	;; [unrolled: 3-line block ×5, first 2 shown]
	s_clause 0x1
	global_load_b32 v20, v[20:21], off
	global_load_b32 v21, v[22:23], off
	v_lshlrev_b64 v[14:15], 2, v[14:15]
	v_add_co_u32 v30, vcc_lo, s18, v30
	v_add_co_ci_u32_e32 v31, vcc_lo, s19, v31, vcc_lo
	v_lshlrev_b64 v[18:19], 2, v[18:19]
	v_add_co_u32 v32, vcc_lo, s18, v32
	s_clause 0x3
	global_load_b32 v22, v[24:25], off
	global_load_b32 v23, v[10:11], off
	;; [unrolled: 1-line block ×4, first 2 shown]
	v_add_co_ci_u32_e32 v33, vcc_lo, s19, v33, vcc_lo
	v_add_co_u32 v14, vcc_lo, s18, v14
	v_add_co_ci_u32_e32 v15, vcc_lo, s19, v15, vcc_lo
	v_add_co_u32 v6, vcc_lo, s18, v18
	global_load_b32 v18, v[26:27], off
	v_lshlrev_b64 v[34:35], 2, v[36:37]
	v_lshlrev_b64 v[36:37], 2, v[38:39]
	v_add_co_ci_u32_e32 v7, vcc_lo, s19, v19, vcc_lo
	global_load_b32 v19, v[8:9], off
	v_lshlrev_b64 v[16:17], 2, v[16:17]
	s_clause 0x1
	global_load_b32 v12, v[12:13], off
	global_load_b32 v13, v[30:31], off
	v_add_co_u32 v10, vcc_lo, s18, v36
	v_add_co_ci_u32_e32 v11, vcc_lo, s19, v37, vcc_lo
	v_add_co_u32 v8, vcc_lo, s18, v34
	v_add_co_ci_u32_e32 v9, vcc_lo, s19, v35, vcc_lo
	s_clause 0x3
	global_load_b32 v26, v[32:33], off
	global_load_b32 v27, v[6:7], off
	;; [unrolled: 1-line block ×4, first 2 shown]
	v_add_co_u32 v6, vcc_lo, s18, v16
	v_add_co_ci_u32_e32 v7, vcc_lo, s19, v17, vcc_lo
	s_clause 0x1
	global_load_b32 v8, v[8:9], off
	global_load_b32 v6, v[6:7], off
	s_waitcnt vmcnt(14)
	v_fmac_f32_e32 v5, v20, v21
	s_waitcnt vmcnt(10)
	s_delay_alu instid0(VALU_DEP_1) | instskip(SKIP_1) | instid1(VALU_DEP_1)
	v_fmac_f32_e32 v5, v22, v25
	s_waitcnt vmcnt(9)
	v_fmac_f32_e32 v5, v23, v18
	s_waitcnt vmcnt(8)
	s_delay_alu instid0(VALU_DEP_1) | instskip(SKIP_1) | instid1(VALU_DEP_1)
	v_fmac_f32_e32 v5, v24, v19
	;; [unrolled: 5-line block ×3, first 2 shown]
	s_waitcnt vmcnt(1)
	v_fmac_f32_e32 v5, v27, v8
	s_waitcnt vmcnt(0)
	s_delay_alu instid0(VALU_DEP_1)
	v_fmac_f32_e32 v5, v10, v6
	s_cbranch_scc1 .LBB2_37
; %bb.38:                               ;   in Loop: Header=BB2_9 Depth=1
	s_and_b32 s17, s17, 7
	s_delay_alu instid0(SALU_CYCLE_1)
	s_cmp_eq_u32 s17, 0
	s_cbranch_scc0 .LBB2_40
	s_branch .LBB2_42
.LBB2_39:                               ;   in Loop: Header=BB2_9 Depth=1
	s_mov_b32 s21, 0
	s_and_b32 s17, s17, 7
	s_delay_alu instid0(SALU_CYCLE_1)
	s_cmp_eq_u32 s17, 0
	s_cbranch_scc1 .LBB2_42
.LBB2_40:                               ;   in Loop: Header=BB2_9 Depth=1
	s_lshl_b32 s21, s21, 2
	.p2align	6
.LBB2_41:                               ;   Parent Loop BB2_9 Depth=1
                                        ; =>  This Inner Loop Header: Depth=2
	s_delay_alu instid0(SALU_CYCLE_1)
	v_mov_b32_e32 v6, s21
	s_add_i32 s17, s17, -1
	s_add_i32 s21, s21, 4
	s_cmp_eq_u32 s17, 0
	ds_load_2addr_b32 v[6:7], v6 offset1:32
	s_waitcnt lgkmcnt(0)
	v_ashrrev_i32_e32 v9, 31, v6
	v_mov_b32_e32 v8, v6
	v_ashrrev_i32_e32 v11, 31, v7
	v_mov_b32_e32 v10, v7
	s_delay_alu instid0(VALU_DEP_3) | instskip(NEXT) | instid1(VALU_DEP_2)
	v_lshlrev_b64 v[6:7], 2, v[8:9]
	v_lshlrev_b64 v[8:9], 2, v[10:11]
	s_delay_alu instid0(VALU_DEP_2) | instskip(NEXT) | instid1(VALU_DEP_3)
	v_add_co_u32 v6, vcc_lo, s18, v6
	v_add_co_ci_u32_e32 v7, vcc_lo, s19, v7, vcc_lo
	s_delay_alu instid0(VALU_DEP_3) | instskip(NEXT) | instid1(VALU_DEP_4)
	v_add_co_u32 v8, vcc_lo, s18, v8
	v_add_co_ci_u32_e32 v9, vcc_lo, s19, v9, vcc_lo
	s_clause 0x1
	global_load_b32 v6, v[6:7], off
	global_load_b32 v7, v[8:9], off
	s_waitcnt vmcnt(0)
	v_fmac_f32_e32 v5, v6, v7
	s_cbranch_scc0 .LBB2_41
.LBB2_42:                               ;   in Loop: Header=BB2_9 Depth=1
	ds_store_b32 v2, v5
	s_waitcnt lgkmcnt(0)
	buffer_gl0_inv
	ds_load_b32 v6, v0 offset:384
	ds_load_b32 v5, v1
	s_waitcnt lgkmcnt(1)
	v_cmp_eq_f32_e32 vcc_lo, 0, v6
	s_cbranch_vccz .LBB2_6
; %bb.43:                               ;   in Loop: Header=BB2_9 Depth=1
	v_mbcnt_lo_u32_b32 v6, exec_lo, 0
	s_delay_alu instid0(VALU_DEP_1)
	v_cmp_ne_u32_e32 vcc_lo, 0, v6
	s_and_b32 s17, vcc_lo, exec_lo
	s_cbranch_scc1 .LBB2_45
; %bb.44:                               ;   in Loop: Header=BB2_9 Depth=1
	v_mov_b32_e32 v6, s1
	global_atomic_min_i32 v0, v6, s[10:11]
.LBB2_45:                               ;   in Loop: Header=BB2_9 Depth=1
	v_mov_b32_e32 v6, 1.0
	s_branch .LBB2_7
.LBB2_46:
	s_ashr_i32 s17, s16, 31
	s_mov_b32 vcc_lo, 0
	s_lshl_b64 s[0:1], s[16:17], 2
	s_delay_alu instid0(SALU_CYCLE_1)
	s_add_u32 s4, s18, s0
	s_addc_u32 s5, s19, s1
	global_load_b32 v1, v0, s[4:5]
	s_waitcnt vmcnt(0)
	ds_store_b32 v0, v1 offset:400
	s_waitcnt lgkmcnt(0)
	buffer_gl0_inv
	s_cbranch_vccnz .LBB2_48
; %bb.47:
	v_mov_b32_e32 v2, 0
	ds_load_2addr_b32 v[0:1], v2 offset0:100 offset1:102
	s_waitcnt lgkmcnt(0)
	v_sub_f32_e32 v0, v0, v1
	s_delay_alu instid0(VALU_DEP_1) | instskip(SKIP_1) | instid1(VALU_DEP_1)
	v_cmp_gt_f32_e32 vcc_lo, 0, v0
	v_cndmask_b32_e64 v0, v0, -v0, vcc_lo
	v_mul_f32_e32 v1, 0x4f800000, v0
	v_cmp_gt_f32_e32 vcc_lo, 0xf800000, v0
	s_delay_alu instid0(VALU_DEP_2) | instskip(NEXT) | instid1(VALU_DEP_1)
	v_cndmask_b32_e32 v0, v0, v1, vcc_lo
	v_sqrt_f32_e32 v1, v0
	s_waitcnt_depctr 0xfff
	v_add_nc_u32_e32 v3, -1, v1
	v_add_nc_u32_e32 v4, 1, v1
	s_delay_alu instid0(VALU_DEP_2) | instskip(NEXT) | instid1(VALU_DEP_2)
	v_fma_f32 v5, -v3, v1, v0
	v_fma_f32 v6, -v4, v1, v0
	s_delay_alu instid0(VALU_DEP_2) | instskip(NEXT) | instid1(VALU_DEP_1)
	v_cmp_ge_f32_e64 s0, 0, v5
	v_cndmask_b32_e64 v1, v1, v3, s0
	s_delay_alu instid0(VALU_DEP_3) | instskip(NEXT) | instid1(VALU_DEP_1)
	v_cmp_lt_f32_e64 s0, 0, v6
	v_cndmask_b32_e64 v1, v1, v4, s0
	s_delay_alu instid0(VALU_DEP_1) | instskip(NEXT) | instid1(VALU_DEP_1)
	v_mul_f32_e32 v3, 0x37800000, v1
	v_cndmask_b32_e32 v1, v1, v3, vcc_lo
	v_cmp_class_f32_e64 vcc_lo, v0, 0x260
	s_delay_alu instid0(VALU_DEP_2)
	v_cndmask_b32_e32 v0, v1, v0, vcc_lo
	ds_store_b32 v2, v0 offset:400
.LBB2_48:
	v_mov_b32_e32 v0, 0
	s_waitcnt lgkmcnt(0)
	buffer_gl0_inv
	ds_load_b32 v0, v0 offset:400
	s_waitcnt lgkmcnt(0)
	v_cmp_neq_f32_e32 vcc_lo, 0, v0
	s_cbranch_vccnz .LBB2_53
; %bb.49:
	s_mov_b32 vcc_lo, 0
	s_cbranch_vccnz .LBB2_52
; %bb.50:
	v_mbcnt_lo_u32_b32 v0, exec_lo, 0
	s_delay_alu instid0(VALU_DEP_1)
	v_cmp_ne_u32_e32 vcc_lo, 0, v0
	s_and_b32 s0, vcc_lo, exec_lo
	s_cbranch_scc1 .LBB2_52
; %bb.51:
	s_add_i32 s0, s8, s9
	s_delay_alu instid0(SALU_CYCLE_1)
	v_dual_mov_b32 v0, 0 :: v_dual_mov_b32 v1, s0
	global_atomic_min_i32 v0, v1, s[10:11]
.LBB2_52:
	v_mov_b32_e32 v0, 1.0
.LBB2_53:
	s_mov_b32 s13, -1
	s_mov_b32 vcc_lo, exec_lo
	s_cbranch_vccnz .LBB2_55
; %bb.54:
	v_mov_b32_e32 v3, 0
	ds_load_2addr_b32 v[1:2], v3 offset0:100 offset1:102
	s_waitcnt lgkmcnt(0)
	v_sub_f32_e32 v1, v1, v2
	s_delay_alu instid0(VALU_DEP_1) | instskip(SKIP_1) | instid1(VALU_DEP_2)
	v_div_scale_f32 v2, null, v0, v0, v1
	v_div_scale_f32 v6, vcc_lo, v1, v0, v1
	v_rcp_f32_e32 v4, v2
	s_waitcnt_depctr 0xfff
	v_fma_f32 v5, -v2, v4, 1.0
	s_delay_alu instid0(VALU_DEP_1) | instskip(NEXT) | instid1(VALU_DEP_1)
	v_fmac_f32_e32 v4, v5, v4
	v_mul_f32_e32 v5, v6, v4
	s_delay_alu instid0(VALU_DEP_1) | instskip(NEXT) | instid1(VALU_DEP_1)
	v_fma_f32 v7, -v2, v5, v6
	v_fmac_f32_e32 v5, v7, v4
	s_delay_alu instid0(VALU_DEP_1) | instskip(NEXT) | instid1(VALU_DEP_1)
	v_fma_f32 v2, -v2, v5, v6
	v_div_fmas_f32 v2, v2, v4, v5
	s_delay_alu instid0(VALU_DEP_1)
	v_div_fixup_f32 v0, v2, v0, v1
	v_mov_b32_e32 v1, 0x198
	ds_store_b32 v3, v0 offset:400
	s_waitcnt lgkmcnt(0)
	s_waitcnt_vscnt null, 0x0
	buffer_gl0_inv
	ds_load_b32 v2, v3 offset:400
	ds_load_b32 v3, v1
	s_waitcnt lgkmcnt(0)
	v_fmac_f32_e32 v3, v0, v2
	ds_store_b32 v1, v3
.LBB2_55:
	v_dual_mov_b32 v0, 0x190 :: v_dual_mov_b32 v1, 0
	s_waitcnt lgkmcnt(0)
	s_waitcnt_vscnt null, 0x0
	buffer_gl0_inv
	ds_load_b32 v0, v0
	s_waitcnt lgkmcnt(0)
	global_store_b32 v1, v0, s[4:5]
	s_branch .LBB2_58
.LBB2_56:
	s_cbranch_execz .LBB2_58
; %bb.57:
	s_mov_b32 vcc_lo, exec_lo
	s_cbranch_vccnz .LBB2_61
.LBB2_58:
	s_and_b32 vcc_lo, exec_lo, s13
	s_cbranch_vccz .LBB2_60
.LBB2_59:
	v_dual_mov_b32 v0, 0 :: v_dual_mov_b32 v1, 1
	s_add_u32 s0, s6, s2
	s_addc_u32 s1, s7, s3
	s_waitcnt_vscnt null, 0x0
	global_store_b32 v0, v1, s[0:1]
.LBB2_60:
	s_nop 0
	s_sendmsg sendmsg(MSG_DEALLOC_VGPRS)
	s_endpgm
.LBB2_61:
	v_mbcnt_lo_u32_b32 v0, exec_lo, 0
	s_delay_alu instid0(VALU_DEP_1)
	v_cmp_ne_u32_e32 vcc_lo, 0, v0
	s_and_b32 s0, vcc_lo, exec_lo
	s_cbranch_scc0 .LBB2_63
; %bb.62:
	s_cbranch_execnz .LBB2_59
	s_branch .LBB2_60
.LBB2_63:
	s_add_i32 s0, s8, s9
	s_delay_alu instid0(SALU_CYCLE_1)
	v_dual_mov_b32 v0, 0 :: v_dual_mov_b32 v1, s0
	global_atomic_min_i32 v0, v1, s[10:11]
	s_cbranch_execnz .LBB2_59
	s_branch .LBB2_60
	.section	.rodata,"a",@progbits
	.p2align	6, 0x0
	.amdhsa_kernel _ZN9rocsparseL26bsric0_2_8_unrolled_kernelILi1ELi32ELi1EfEEv20rocsparse_direction_iiPKiS3_PT2_S3_PiS3_S6_21rocsparse_index_base_
		.amdhsa_group_segment_fixed_size 416
		.amdhsa_private_segment_fixed_size 0
		.amdhsa_kernarg_size 76
		.amdhsa_user_sgpr_count 15
		.amdhsa_user_sgpr_dispatch_ptr 0
		.amdhsa_user_sgpr_queue_ptr 0
		.amdhsa_user_sgpr_kernarg_segment_ptr 1
		.amdhsa_user_sgpr_dispatch_id 0
		.amdhsa_user_sgpr_private_segment_size 0
		.amdhsa_wavefront_size32 1
		.amdhsa_uses_dynamic_stack 0
		.amdhsa_enable_private_segment 0
		.amdhsa_system_sgpr_workgroup_id_x 1
		.amdhsa_system_sgpr_workgroup_id_y 0
		.amdhsa_system_sgpr_workgroup_id_z 0
		.amdhsa_system_sgpr_workgroup_info 0
		.amdhsa_system_vgpr_workitem_id 0
		.amdhsa_next_free_vgpr 40
		.amdhsa_next_free_sgpr 38
		.amdhsa_reserve_vcc 1
		.amdhsa_float_round_mode_32 0
		.amdhsa_float_round_mode_16_64 0
		.amdhsa_float_denorm_mode_32 3
		.amdhsa_float_denorm_mode_16_64 3
		.amdhsa_dx10_clamp 1
		.amdhsa_ieee_mode 1
		.amdhsa_fp16_overflow 0
		.amdhsa_workgroup_processor_mode 1
		.amdhsa_memory_ordered 1
		.amdhsa_forward_progress 0
		.amdhsa_shared_vgpr_count 0
		.amdhsa_exception_fp_ieee_invalid_op 0
		.amdhsa_exception_fp_denorm_src 0
		.amdhsa_exception_fp_ieee_div_zero 0
		.amdhsa_exception_fp_ieee_overflow 0
		.amdhsa_exception_fp_ieee_underflow 0
		.amdhsa_exception_fp_ieee_inexact 0
		.amdhsa_exception_int_div_zero 0
	.end_amdhsa_kernel
	.section	.text._ZN9rocsparseL26bsric0_2_8_unrolled_kernelILi1ELi32ELi1EfEEv20rocsparse_direction_iiPKiS3_PT2_S3_PiS3_S6_21rocsparse_index_base_,"axG",@progbits,_ZN9rocsparseL26bsric0_2_8_unrolled_kernelILi1ELi32ELi1EfEEv20rocsparse_direction_iiPKiS3_PT2_S3_PiS3_S6_21rocsparse_index_base_,comdat
.Lfunc_end2:
	.size	_ZN9rocsparseL26bsric0_2_8_unrolled_kernelILi1ELi32ELi1EfEEv20rocsparse_direction_iiPKiS3_PT2_S3_PiS3_S6_21rocsparse_index_base_, .Lfunc_end2-_ZN9rocsparseL26bsric0_2_8_unrolled_kernelILi1ELi32ELi1EfEEv20rocsparse_direction_iiPKiS3_PT2_S3_PiS3_S6_21rocsparse_index_base_
                                        ; -- End function
	.section	.AMDGPU.csdata,"",@progbits
; Kernel info:
; codeLenInByte = 3852
; NumSgprs: 40
; NumVgprs: 40
; ScratchSize: 0
; MemoryBound: 0
; FloatMode: 240
; IeeeMode: 1
; LDSByteSize: 416 bytes/workgroup (compile time only)
; SGPRBlocks: 4
; VGPRBlocks: 4
; NumSGPRsForWavesPerEU: 40
; NumVGPRsForWavesPerEU: 40
; Occupancy: 16
; WaveLimiterHint : 1
; COMPUTE_PGM_RSRC2:SCRATCH_EN: 0
; COMPUTE_PGM_RSRC2:USER_SGPR: 15
; COMPUTE_PGM_RSRC2:TRAP_HANDLER: 0
; COMPUTE_PGM_RSRC2:TGID_X_EN: 1
; COMPUTE_PGM_RSRC2:TGID_Y_EN: 0
; COMPUTE_PGM_RSRC2:TGID_Z_EN: 0
; COMPUTE_PGM_RSRC2:TIDIG_COMP_CNT: 0
	.section	.text._ZN9rocsparseL26bsric0_2_8_unrolled_kernelILi4ELi32ELi2EfEEv20rocsparse_direction_iiPKiS3_PT2_S3_PiS3_S6_21rocsparse_index_base_,"axG",@progbits,_ZN9rocsparseL26bsric0_2_8_unrolled_kernelILi4ELi32ELi2EfEEv20rocsparse_direction_iiPKiS3_PT2_S3_PiS3_S6_21rocsparse_index_base_,comdat
	.globl	_ZN9rocsparseL26bsric0_2_8_unrolled_kernelILi4ELi32ELi2EfEEv20rocsparse_direction_iiPKiS3_PT2_S3_PiS3_S6_21rocsparse_index_base_ ; -- Begin function _ZN9rocsparseL26bsric0_2_8_unrolled_kernelILi4ELi32ELi2EfEEv20rocsparse_direction_iiPKiS3_PT2_S3_PiS3_S6_21rocsparse_index_base_
	.p2align	8
	.type	_ZN9rocsparseL26bsric0_2_8_unrolled_kernelILi4ELi32ELi2EfEEv20rocsparse_direction_iiPKiS3_PT2_S3_PiS3_S6_21rocsparse_index_base_,@function
_ZN9rocsparseL26bsric0_2_8_unrolled_kernelILi4ELi32ELi2EfEEv20rocsparse_direction_iiPKiS3_PT2_S3_PiS3_S6_21rocsparse_index_base_: ; @_ZN9rocsparseL26bsric0_2_8_unrolled_kernelILi4ELi32ELi2EfEEv20rocsparse_direction_iiPKiS3_PT2_S3_PiS3_S6_21rocsparse_index_base_
; %bb.0:
	s_load_b256 s[4:11], s[0:1], 0x28
	s_mov_b32 s2, s15
	s_mov_b32 s3, 0
	v_and_b32_e32 v4, 0x3ff, v0
	s_lshl_b64 s[12:13], s[2:3], 2
	v_bfe_u32 v5, v0, 10, 10
	s_waitcnt lgkmcnt(0)
	s_add_u32 s8, s8, s12
	s_addc_u32 s9, s9, s13
	s_load_b32 s16, s[8:9], 0x0
	s_waitcnt lgkmcnt(0)
	s_ashr_i32 s17, s16, 31
	s_delay_alu instid0(SALU_CYCLE_1) | instskip(NEXT) | instid1(SALU_CYCLE_1)
	s_lshl_b64 s[8:9], s[16:17], 2
	s_add_u32 s12, s4, s8
	s_addc_u32 s13, s5, s9
	s_load_b32 s26, s[12:13], 0x0
	s_load_b32 s17, s[0:1], 0x48
	s_waitcnt lgkmcnt(0)
	s_cmp_lg_u32 s26, -1
	s_cbranch_scc0 .LBB3_6
; %bb.1:
	s_clause 0x1
	s_load_b128 s[12:15], s[0:1], 0x10
	s_load_b64 s[18:19], s[0:1], 0x20
	v_lshlrev_b32_e32 v10, 1, v5
	v_lshlrev_b32_e32 v3, 2, v4
	s_delay_alu instid0(VALU_DEP_2)
	v_add_nc_u32_e32 v9, v10, v4
	s_waitcnt lgkmcnt(0)
	s_add_u32 s2, s12, s8
	s_addc_u32 s3, s13, s9
	s_load_b32 s2, s[2:3], 0x0
	s_mov_b32 s3, exec_lo
	s_waitcnt lgkmcnt(0)
	s_sub_i32 s27, s2, s17
	s_delay_alu instid0(SALU_CYCLE_1) | instskip(NEXT) | instid1(VALU_DEP_1)
	v_add_nc_u32_e32 v0, s27, v9
	v_cmpx_ge_i32_e64 s26, v0
	s_cbranch_execz .LBB3_4
; %bb.2:
	v_ashrrev_i32_e32 v1, 31, v0
	v_lshlrev_b32_e32 v6, 3, v5
	s_mov_b32 s20, 0
	s_delay_alu instid0(VALU_DEP_2) | instskip(NEXT) | instid1(VALU_DEP_2)
	v_lshlrev_b64 v[1:2], 2, v[0:1]
	v_add3_u32 v6, v6, v3, 0x100
	s_delay_alu instid0(VALU_DEP_2) | instskip(NEXT) | instid1(VALU_DEP_3)
	v_add_co_u32 v1, vcc_lo, s14, v1
	v_add_co_ci_u32_e32 v2, vcc_lo, s15, v2, vcc_lo
.LBB3_3:                                ; =>This Inner Loop Header: Depth=1
	global_load_b32 v7, v[1:2], off
	v_add_nc_u32_e32 v0, 4, v0
	v_add_co_u32 v1, vcc_lo, v1, 16
	v_add_co_ci_u32_e32 v2, vcc_lo, 0, v2, vcc_lo
	s_delay_alu instid0(VALU_DEP_3) | instskip(NEXT) | instid1(VALU_DEP_1)
	v_cmp_lt_i32_e64 s2, s26, v0
	s_or_b32 s20, s2, s20
	s_waitcnt vmcnt(0)
	v_subrev_nc_u32_e32 v7, s17, v7
	ds_store_b32 v6, v7
	v_add_nc_u32_e32 v6, 16, v6
	s_and_not1_b32 exec_lo, exec_lo, s20
	s_cbranch_execnz .LBB3_3
.LBB3_4:
	s_or_b32 exec_lo, exec_lo, s3
	v_mad_u32_u24 v8, v5, 12, v3
	v_mov_b32_e32 v0, 0
	s_cmp_lt_i32 s27, s26
	ds_store_b32 v8, v0 offset:480
	s_waitcnt lgkmcnt(0)
	buffer_gl0_inv
	s_cbranch_scc1 .LBB3_7
; %bb.5:
	v_lshl_add_u32 v11, v4, 1, v5
	v_or_b32_e32 v6, v4, v5
	s_load_b32 s1, s[0:1], 0x0
	v_add_nc_u32_e32 v7, 0x1e0, v8
	s_cbranch_execz .LBB3_8
	s_branch .LBB3_53
.LBB3_6:
	s_cbranch_execnz .LBB3_70
	s_branch .LBB3_75
.LBB3_7:
                                        ; implicit-def: $vgpr11
                                        ; implicit-def: $vgpr6
	s_load_b32 s1, s[0:1], 0x0
	v_add_nc_u32_e32 v7, 0x1e0, v8
.LBB3_8:
	s_waitcnt lgkmcnt(0)
	s_cmp_eq_u32 s1, 0
	v_mad_u32_u24 v13, v5, 12, 0x1c0
	s_cselect_b32 vcc_lo, -1, 0
	v_lshlrev_b32_e32 v12, 1, v4
	v_mul_u32_u24_e32 v0, 12, v5
	v_mad_u32_u24 v15, v5, 12, 0x1a0
	v_or_b32_e32 v6, v4, v5
	v_add_nc_u32_e32 v14, v13, v3
	v_dual_mov_b32 v22, 0 :: v_dual_add_nc_u32 v11, v12, v5
	v_add3_u32 v16, v0, v3, 0x180
	v_add_nc_u32_e32 v17, 2, v4
	v_add_nc_u32_e32 v18, 2, v5
	;; [unrolled: 1-line block ×3, first 2 shown]
	v_cmp_ne_u32_e64 s0, 0, v6
	v_mad_u32_u24 v20, v4, 12, 0x1c0
	v_cndmask_b32_e32 v21, v11, v9, vcc_lo
	s_cmp_lg_u32 s1, 0
	s_mov_b32 s2, s27
	s_cselect_b32 s28, -1, 0
	s_branch .LBB3_12
.LBB3_9:                                ;   in Loop: Header=BB3_12 Depth=1
	s_or_b32 exec_lo, exec_lo, s21
	v_mov_b32_e32 v3, 1.0
.LBB3_10:                               ;   in Loop: Header=BB3_12 Depth=1
	s_or_b32 exec_lo, exec_lo, s20
	ds_load_b32 v23, v13
	ds_load_b32 v24, v22 offset:396
	ds_load_b32 v25, v15 offset:4
	s_add_i32 s2, s2, 1
	s_delay_alu instid0(SALU_CYCLE_1) | instskip(SKIP_3) | instid1(VALU_DEP_1)
	s_cmp_ge_i32 s2, s26
	s_cselect_b32 s24, -1, 0
	s_waitcnt lgkmcnt(0)
	v_fmac_f32_e32 v25, v24, v23
	v_sub_f32_e32 v2, v2, v25
	s_delay_alu instid0(VALU_DEP_1) | instskip(SKIP_1) | instid1(VALU_DEP_2)
	v_div_scale_f32 v23, null, v3, v3, v2
	v_div_scale_f32 v26, vcc_lo, v2, v3, v2
	v_rcp_f32_e32 v24, v23
	s_waitcnt_depctr 0xfff
	v_fma_f32 v25, -v23, v24, 1.0
	s_delay_alu instid0(VALU_DEP_1) | instskip(NEXT) | instid1(VALU_DEP_1)
	v_fmac_f32_e32 v24, v25, v24
	v_mul_f32_e32 v25, v26, v24
	s_delay_alu instid0(VALU_DEP_1) | instskip(NEXT) | instid1(VALU_DEP_1)
	v_fma_f32 v27, -v23, v25, v26
	v_fmac_f32_e32 v25, v27, v24
	s_delay_alu instid0(VALU_DEP_1) | instskip(NEXT) | instid1(VALU_DEP_1)
	v_fma_f32 v23, -v23, v25, v26
	v_div_fmas_f32 v23, v23, v24, v25
	s_delay_alu instid0(VALU_DEP_1)
	v_div_fixup_f32 v2, v23, v3, v2
	ds_store_b32 v13, v2 offset:4
	s_waitcnt lgkmcnt(0)
	s_waitcnt_vscnt null, 0x0
	buffer_gl0_inv
	ds_load_b32 v3, v20 offset:4
	ds_load_b32 v23, v7
	s_waitcnt lgkmcnt(0)
	v_fmac_f32_e32 v23, v2, v3
	ds_store_b32 v7, v23
	s_waitcnt lgkmcnt(0)
	buffer_gl0_inv
	ds_load_b32 v2, v14
	s_waitcnt lgkmcnt(0)
	global_store_b32 v[0:1], v2, off
	s_waitcnt_vscnt null, 0x0
	buffer_gl1_inv
	buffer_gl0_inv
.LBB3_11:                               ;   in Loop: Header=BB3_12 Depth=1
	s_and_b32 vcc_lo, exec_lo, s24
	s_cbranch_vccnz .LBB3_53
.LBB3_12:                               ; =>This Loop Header: Depth=1
                                        ;     Child Loop BB3_15 Depth 2
                                        ;     Child Loop BB3_26 Depth 2
	;; [unrolled: 1-line block ×3, first 2 shown]
	s_ashr_i32 s3, s2, 31
	s_delay_alu instid0(SALU_CYCLE_1) | instskip(NEXT) | instid1(SALU_CYCLE_1)
	s_lshl_b64 s[20:21], s[2:3], 2
	s_add_u32 s20, s14, s20
	s_addc_u32 s21, s15, s21
	s_load_b32 s3, s[20:21], 0x0
	s_waitcnt lgkmcnt(0)
	s_sub_i32 s22, s3, s17
	s_delay_alu instid0(SALU_CYCLE_1) | instskip(NEXT) | instid1(SALU_CYCLE_1)
	s_ashr_i32 s23, s22, 31
	s_lshl_b64 s[20:21], s[22:23], 2
	s_delay_alu instid0(SALU_CYCLE_1)
	s_add_u32 s24, s4, s20
	s_addc_u32 s25, s5, s21
	s_load_b32 s23, s[24:25], 0x0
	s_mov_b32 s24, -1
	s_waitcnt lgkmcnt(0)
	s_cmp_eq_u32 s23, -1
	s_cbranch_scc1 .LBB3_11
; %bb.13:                               ;   in Loop: Header=BB3_12 Depth=1
	v_lshl_add_u32 v0, s2, 2, v21
	s_add_u32 s24, s12, s20
	s_addc_u32 s25, s13, s21
	ds_load_b32 v3, v22 offset:256
	s_load_b32 s24, s[24:25], 0x0
	v_ashrrev_i32_e32 v1, 31, v0
	s_delay_alu instid0(VALU_DEP_1) | instskip(NEXT) | instid1(VALU_DEP_1)
	v_lshlrev_b64 v[0:1], 2, v[0:1]
	v_add_co_u32 v0, vcc_lo, s18, v0
	s_delay_alu instid0(VALU_DEP_2) | instskip(SKIP_4) | instid1(SALU_CYCLE_1)
	v_add_co_ci_u32_e32 v1, vcc_lo, s19, v1, vcc_lo
	s_waitcnt lgkmcnt(0)
	v_cmp_ge_i32_e32 vcc_lo, s22, v3
	global_load_b32 v2, v[0:1], off
	s_sub_i32 s24, s24, s17
	s_cmp_le_i32 s24, s23
	s_cselect_b32 s25, -1, 0
	s_delay_alu instid0(SALU_CYCLE_1) | instskip(NEXT) | instid1(SALU_CYCLE_1)
	s_and_b32 s25, s25, vcc_lo
	s_and_not1_b32 vcc_lo, exec_lo, s25
	s_mov_b32 s25, 0
	s_waitcnt vmcnt(0)
	ds_store_b32 v14, v2
	s_cbranch_vccnz .LBB3_25
; %bb.14:                               ;   in Loop: Header=BB3_12 Depth=1
	s_mov_b32 s29, 0
	s_mov_b32 s30, 0
.LBB3_15:                               ;   Parent Loop BB3_12 Depth=1
                                        ; =>  This Inner Loop Header: Depth=2
	s_ashr_i32 s25, s24, 31
                                        ; implicit-def: $sgpr33
	s_delay_alu instid0(SALU_CYCLE_1) | instskip(NEXT) | instid1(SALU_CYCLE_1)
	s_lshl_b64 s[34:35], s[24:25], 2
	s_add_u32 s34, s14, s34
	s_addc_u32 s35, s15, s35
	s_lshl_b32 s25, s30, 2
	s_delay_alu instid0(SALU_CYCLE_1)
	v_mov_b32_e32 v2, s25
	s_load_b32 s25, s[34:35], 0x0
	s_mov_b32 s35, -1
                                        ; implicit-def: $sgpr34
	ds_load_b32 v2, v2 offset:256
	s_waitcnt lgkmcnt(0)
	s_sub_i32 s36, s25, s17
                                        ; implicit-def: $sgpr25
	s_delay_alu instid0(SALU_CYCLE_1)
	v_cmp_ge_i32_e32 vcc_lo, s36, v2
	v_readfirstlane_b32 s31, v2
	s_cbranch_vccz .LBB3_21
; %bb.16:                               ;   in Loop: Header=BB3_15 Depth=2
	s_delay_alu instid0(VALU_DEP_1)
	s_cmp_le_i32 s36, s31
                                        ; implicit-def: $sgpr25
                                        ; implicit-def: $sgpr34
                                        ; implicit-def: $sgpr33
	s_cbranch_scc0 .LBB3_18
; %bb.17:                               ;   in Loop: Header=BB3_15 Depth=2
	s_add_i32 s25, s30, s27
	s_lshl_b32 s33, s29, 2
	s_lshl_b32 s25, s25, 2
	s_delay_alu instid0(SALU_CYCLE_1)
	v_dual_mov_b32 v2, s33 :: v_dual_mov_b32 v3, s25
	s_lshl_b32 s33, s24, 2
	s_add_i32 s34, s24, 1
	v_mov_b32_e32 v23, s33
	s_add_i32 s33, s30, 1
	s_add_i32 s25, s29, 1
	s_mov_b32 s35, 0
	ds_store_2addr_b32 v2, v23, v3 offset1:32
.LBB3_18:                               ;   in Loop: Header=BB3_15 Depth=2
	s_and_not1_b32 vcc_lo, exec_lo, s35
	s_cbranch_vccnz .LBB3_20
; %bb.19:                               ;   in Loop: Header=BB3_15 Depth=2
	s_add_i32 s33, s30, 1
	s_mov_b32 s25, s29
	s_mov_b32 s34, s24
.LBB3_20:                               ;   in Loop: Header=BB3_15 Depth=2
	s_mov_b32 s35, 0
.LBB3_21:                               ;   in Loop: Header=BB3_15 Depth=2
	s_delay_alu instid0(SALU_CYCLE_1)
	s_and_not1_b32 vcc_lo, exec_lo, s35
	s_cbranch_vccnz .LBB3_23
; %bb.22:                               ;   in Loop: Header=BB3_15 Depth=2
	s_add_i32 s34, s24, 1
	s_mov_b32 s33, s30
	s_mov_b32 s25, s29
.LBB3_23:                               ;   in Loop: Header=BB3_15 Depth=2
	s_cmp_le_i32 s34, s23
	s_cselect_b32 s24, -1, 0
	s_cmp_le_i32 s31, s22
	s_cselect_b32 s29, -1, 0
	s_delay_alu instid0(SALU_CYCLE_1) | instskip(NEXT) | instid1(SALU_CYCLE_1)
	s_and_b32 s24, s24, s29
	s_and_b32 vcc_lo, exec_lo, s24
	s_cbranch_vccz .LBB3_25
; %bb.24:                               ;   in Loop: Header=BB3_15 Depth=2
	s_mov_b32 s29, s25
	s_mov_b32 s24, s34
	;; [unrolled: 1-line block ×3, first 2 shown]
	s_branch .LBB3_15
.LBB3_25:                               ;   in Loop: Header=BB3_12 Depth=1
	s_add_u32 s20, s6, s20
	s_addc_u32 s21, s7, s21
	s_waitcnt lgkmcnt(0)
	buffer_gl0_inv
.LBB3_26:                               ;   Parent Loop BB3_12 Depth=1
                                        ; =>  This Inner Loop Header: Depth=2
	global_load_b32 v2, v22, s[20:21] glc
	s_waitcnt vmcnt(0)
	v_cmp_eq_u32_e32 vcc_lo, 0, v2
	s_cbranch_vccnz .LBB3_26
; %bb.27:                               ;   in Loop: Header=BB3_12 Depth=1
	v_lshl_add_u32 v2, s23, 2, v21
	buffer_gl1_inv
	buffer_gl0_inv
	v_mov_b32_e32 v23, 0
	s_cmp_lt_i32 s25, 2
	v_ashrrev_i32_e32 v3, 31, v2
	s_delay_alu instid0(VALU_DEP_1) | instskip(NEXT) | instid1(VALU_DEP_1)
	v_lshlrev_b64 v[2:3], 2, v[2:3]
	v_add_co_u32 v2, vcc_lo, s18, v2
	s_delay_alu instid0(VALU_DEP_2)
	v_add_co_ci_u32_e32 v3, vcc_lo, s19, v3, vcc_lo
	global_load_b32 v2, v[2:3], off
	s_waitcnt vmcnt(0)
	ds_store_b32 v16, v2
	s_waitcnt lgkmcnt(0)
	buffer_gl0_inv
	s_cbranch_scc1 .LBB3_46
; %bb.28:                               ;   in Loop: Header=BB3_12 Depth=1
	v_mov_b32_e32 v23, 0
	s_add_i32 s20, s25, -1
	s_cmp_eq_u32 s25, 2
	s_cbranch_scc1 .LBB3_39
; %bb.29:                               ;   in Loop: Header=BB3_12 Depth=1
	s_and_b32 s21, s20, -2
	s_mov_b32 s22, 0
	s_mov_b32 s23, 0
	s_branch .LBB3_31
.LBB3_30:                               ;   in Loop: Header=BB3_31 Depth=2
	s_add_i32 s23, s23, 2
	s_add_i32 s22, s22, 8
	s_cmp_eq_u32 s21, s23
	s_cbranch_scc1 .LBB3_40
.LBB3_31:                               ;   Parent Loop BB3_12 Depth=1
                                        ; =>  This Inner Loop Header: Depth=2
	s_waitcnt lgkmcnt(0)
	v_mov_b32_e32 v2, s22
	s_and_b32 vcc_lo, exec_lo, s28
	ds_load_2addr_b32 v[2:3], v2 offset1:32
	s_cbranch_vccz .LBB3_33
; %bb.32:                               ;   in Loop: Header=BB3_31 Depth=2
	s_waitcnt lgkmcnt(0)
	v_add_nc_u32_e32 v24, v2, v4
	v_add_nc_u32_e32 v26, v3, v5
	;; [unrolled: 1-line block ×4, first 2 shown]
	s_delay_alu instid0(VALU_DEP_4) | instskip(NEXT) | instid1(VALU_DEP_4)
	v_ashrrev_i32_e32 v25, 31, v24
	v_ashrrev_i32_e32 v27, 31, v26
	s_delay_alu instid0(VALU_DEP_4) | instskip(NEXT) | instid1(VALU_DEP_4)
	v_ashrrev_i32_e32 v29, 31, v28
	v_ashrrev_i32_e32 v31, 31, v30
	s_delay_alu instid0(VALU_DEP_4) | instskip(NEXT) | instid1(VALU_DEP_4)
	v_lshlrev_b64 v[24:25], 2, v[24:25]
	v_lshlrev_b64 v[26:27], 2, v[26:27]
	s_delay_alu instid0(VALU_DEP_4) | instskip(NEXT) | instid1(VALU_DEP_4)
	v_lshlrev_b64 v[28:29], 2, v[28:29]
	v_lshlrev_b64 v[30:31], 2, v[30:31]
	s_delay_alu instid0(VALU_DEP_4)
	v_add_co_u32 v24, vcc_lo, s18, v24
	v_add_co_ci_u32_e32 v25, vcc_lo, s19, v25, vcc_lo
	v_add_co_u32 v26, vcc_lo, s18, v26
	v_add_co_ci_u32_e32 v27, vcc_lo, s19, v27, vcc_lo
	;; [unrolled: 2-line block ×4, first 2 shown]
	s_clause 0x3
	global_load_b32 v24, v[24:25], off
	global_load_b32 v25, v[26:27], off
	;; [unrolled: 1-line block ×4, first 2 shown]
	s_waitcnt vmcnt(2)
	v_fma_f32 v24, v24, v25, v23
	s_waitcnt vmcnt(0)
	s_delay_alu instid0(VALU_DEP_1)
	v_fmac_f32_e32 v24, v26, v27
	s_cbranch_execz .LBB3_34
	s_branch .LBB3_35
.LBB3_33:                               ;   in Loop: Header=BB3_31 Depth=2
                                        ; implicit-def: $vgpr24
.LBB3_34:                               ;   in Loop: Header=BB3_31 Depth=2
	s_waitcnt lgkmcnt(0)
	v_add_nc_u32_e32 v2, v2, v12
	v_add_nc_u32_e32 v24, v3, v10
	s_delay_alu instid0(VALU_DEP_2) | instskip(NEXT) | instid1(VALU_DEP_2)
	v_ashrrev_i32_e32 v3, 31, v2
	v_ashrrev_i32_e32 v25, 31, v24
	s_delay_alu instid0(VALU_DEP_2) | instskip(NEXT) | instid1(VALU_DEP_2)
	v_lshlrev_b64 v[2:3], 2, v[2:3]
	v_lshlrev_b64 v[24:25], 2, v[24:25]
	s_delay_alu instid0(VALU_DEP_2) | instskip(NEXT) | instid1(VALU_DEP_3)
	v_add_co_u32 v2, vcc_lo, s18, v2
	v_add_co_ci_u32_e32 v3, vcc_lo, s19, v3, vcc_lo
	s_delay_alu instid0(VALU_DEP_3) | instskip(NEXT) | instid1(VALU_DEP_4)
	v_add_co_u32 v24, vcc_lo, s18, v24
	v_add_co_ci_u32_e32 v25, vcc_lo, s19, v25, vcc_lo
	s_clause 0x1
	global_load_b64 v[2:3], v[2:3], off
	global_load_b64 v[24:25], v[24:25], off
	s_waitcnt vmcnt(0)
	v_fmac_f32_e32 v23, v2, v24
	s_delay_alu instid0(VALU_DEP_1) | instskip(NEXT) | instid1(VALU_DEP_1)
	v_fmac_f32_e32 v23, v3, v25
	v_mov_b32_e32 v24, v23
.LBB3_35:                               ;   in Loop: Header=BB3_31 Depth=2
	s_waitcnt lgkmcnt(0)
	v_mov_b32_e32 v2, s22
	s_and_not1_b32 vcc_lo, exec_lo, s28
	ds_load_2addr_b32 v[2:3], v2 offset0:1 offset1:33
	s_cbranch_vccnz .LBB3_37
; %bb.36:                               ;   in Loop: Header=BB3_31 Depth=2
	s_waitcnt lgkmcnt(0)
	v_add_nc_u32_e32 v25, v2, v4
	v_add_nc_u32_e32 v27, v3, v5
	v_add_nc_u32_e32 v29, v17, v2
	v_add_nc_u32_e32 v31, v18, v3
	s_delay_alu instid0(VALU_DEP_4) | instskip(NEXT) | instid1(VALU_DEP_4)
	v_ashrrev_i32_e32 v26, 31, v25
	v_ashrrev_i32_e32 v28, 31, v27
	s_delay_alu instid0(VALU_DEP_4) | instskip(NEXT) | instid1(VALU_DEP_4)
	v_ashrrev_i32_e32 v30, 31, v29
	v_ashrrev_i32_e32 v32, 31, v31
	s_delay_alu instid0(VALU_DEP_4) | instskip(NEXT) | instid1(VALU_DEP_4)
	v_lshlrev_b64 v[25:26], 2, v[25:26]
	v_lshlrev_b64 v[27:28], 2, v[27:28]
	s_delay_alu instid0(VALU_DEP_4) | instskip(NEXT) | instid1(VALU_DEP_4)
	v_lshlrev_b64 v[29:30], 2, v[29:30]
	v_lshlrev_b64 v[31:32], 2, v[31:32]
	s_delay_alu instid0(VALU_DEP_4)
	v_add_co_u32 v25, vcc_lo, s18, v25
	v_add_co_ci_u32_e32 v26, vcc_lo, s19, v26, vcc_lo
	v_add_co_u32 v27, vcc_lo, s18, v27
	v_add_co_ci_u32_e32 v28, vcc_lo, s19, v28, vcc_lo
	;; [unrolled: 2-line block ×4, first 2 shown]
	s_clause 0x3
	global_load_b32 v23, v[25:26], off
	global_load_b32 v25, v[27:28], off
	;; [unrolled: 1-line block ×4, first 2 shown]
	s_waitcnt vmcnt(2)
	v_fma_f32 v23, v23, v25, v24
	s_waitcnt vmcnt(0)
	s_delay_alu instid0(VALU_DEP_1)
	v_fmac_f32_e32 v23, v26, v27
	s_cbranch_execnz .LBB3_30
	s_branch .LBB3_38
.LBB3_37:                               ;   in Loop: Header=BB3_31 Depth=2
                                        ; implicit-def: $vgpr23
.LBB3_38:                               ;   in Loop: Header=BB3_31 Depth=2
	s_waitcnt lgkmcnt(0)
	v_add_nc_u32_e32 v2, v2, v12
	v_add_nc_u32_e32 v25, v3, v10
	s_delay_alu instid0(VALU_DEP_2) | instskip(NEXT) | instid1(VALU_DEP_2)
	v_ashrrev_i32_e32 v3, 31, v2
	v_ashrrev_i32_e32 v26, 31, v25
	s_delay_alu instid0(VALU_DEP_2) | instskip(NEXT) | instid1(VALU_DEP_2)
	v_lshlrev_b64 v[2:3], 2, v[2:3]
	v_lshlrev_b64 v[25:26], 2, v[25:26]
	s_delay_alu instid0(VALU_DEP_2) | instskip(NEXT) | instid1(VALU_DEP_3)
	v_add_co_u32 v2, vcc_lo, s18, v2
	v_add_co_ci_u32_e32 v3, vcc_lo, s19, v3, vcc_lo
	s_delay_alu instid0(VALU_DEP_3) | instskip(NEXT) | instid1(VALU_DEP_4)
	v_add_co_u32 v25, vcc_lo, s18, v25
	v_add_co_ci_u32_e32 v26, vcc_lo, s19, v26, vcc_lo
	s_clause 0x1
	global_load_b64 v[2:3], v[2:3], off
	global_load_b64 v[25:26], v[25:26], off
	s_waitcnt vmcnt(0)
	v_fmac_f32_e32 v24, v2, v25
	s_delay_alu instid0(VALU_DEP_1) | instskip(NEXT) | instid1(VALU_DEP_1)
	v_fmac_f32_e32 v24, v3, v26
	v_mov_b32_e32 v23, v24
	s_branch .LBB3_30
.LBB3_39:                               ;   in Loop: Header=BB3_12 Depth=1
	s_mov_b32 s21, 0
.LBB3_40:                               ;   in Loop: Header=BB3_12 Depth=1
	s_bitcmp0_b32 s20, 0
	s_cbranch_scc1 .LBB3_46
; %bb.41:                               ;   in Loop: Header=BB3_12 Depth=1
	s_lshl_b32 s20, s21, 2
	s_and_not1_b32 vcc_lo, exec_lo, s28
	s_waitcnt lgkmcnt(0)
	v_mov_b32_e32 v2, s20
	ds_load_2addr_b32 v[2:3], v2 offset1:32
	s_cbranch_vccnz .LBB3_43
; %bb.42:                               ;   in Loop: Header=BB3_12 Depth=1
	s_waitcnt lgkmcnt(0)
	v_add_nc_u32_e32 v24, v2, v4
	v_add_nc_u32_e32 v26, v3, v5
	;; [unrolled: 1-line block ×4, first 2 shown]
	s_delay_alu instid0(VALU_DEP_4) | instskip(NEXT) | instid1(VALU_DEP_4)
	v_ashrrev_i32_e32 v25, 31, v24
	v_ashrrev_i32_e32 v27, 31, v26
	s_delay_alu instid0(VALU_DEP_4) | instskip(NEXT) | instid1(VALU_DEP_4)
	v_ashrrev_i32_e32 v29, 31, v28
	v_ashrrev_i32_e32 v31, 31, v30
	s_delay_alu instid0(VALU_DEP_4) | instskip(NEXT) | instid1(VALU_DEP_4)
	v_lshlrev_b64 v[24:25], 2, v[24:25]
	v_lshlrev_b64 v[26:27], 2, v[26:27]
	s_delay_alu instid0(VALU_DEP_4) | instskip(NEXT) | instid1(VALU_DEP_4)
	v_lshlrev_b64 v[28:29], 2, v[28:29]
	v_lshlrev_b64 v[30:31], 2, v[30:31]
	s_delay_alu instid0(VALU_DEP_4)
	v_add_co_u32 v24, vcc_lo, s18, v24
	v_add_co_ci_u32_e32 v25, vcc_lo, s19, v25, vcc_lo
	v_add_co_u32 v26, vcc_lo, s18, v26
	v_add_co_ci_u32_e32 v27, vcc_lo, s19, v27, vcc_lo
	v_add_co_u32 v28, vcc_lo, s18, v28
	v_add_co_ci_u32_e32 v29, vcc_lo, s19, v29, vcc_lo
	v_add_co_u32 v30, vcc_lo, s18, v30
	v_add_co_ci_u32_e32 v31, vcc_lo, s19, v31, vcc_lo
	s_clause 0x3
	global_load_b32 v24, v[24:25], off
	global_load_b32 v25, v[26:27], off
	;; [unrolled: 1-line block ×4, first 2 shown]
	s_waitcnt vmcnt(2)
	v_fma_f32 v24, v24, v25, v23
	s_waitcnt vmcnt(0)
	s_delay_alu instid0(VALU_DEP_1)
	v_fmac_f32_e32 v24, v26, v27
	s_cbranch_execz .LBB3_44
	s_branch .LBB3_45
.LBB3_43:                               ;   in Loop: Header=BB3_12 Depth=1
                                        ; implicit-def: $vgpr24
.LBB3_44:                               ;   in Loop: Header=BB3_12 Depth=1
	s_waitcnt lgkmcnt(0)
	v_add_nc_u32_e32 v2, v2, v12
	v_add_nc_u32_e32 v24, v3, v10
	s_delay_alu instid0(VALU_DEP_2) | instskip(NEXT) | instid1(VALU_DEP_2)
	v_ashrrev_i32_e32 v3, 31, v2
	v_ashrrev_i32_e32 v25, 31, v24
	s_delay_alu instid0(VALU_DEP_2) | instskip(NEXT) | instid1(VALU_DEP_2)
	v_lshlrev_b64 v[2:3], 2, v[2:3]
	v_lshlrev_b64 v[24:25], 2, v[24:25]
	s_delay_alu instid0(VALU_DEP_2) | instskip(NEXT) | instid1(VALU_DEP_3)
	v_add_co_u32 v2, vcc_lo, s18, v2
	v_add_co_ci_u32_e32 v3, vcc_lo, s19, v3, vcc_lo
	s_delay_alu instid0(VALU_DEP_3) | instskip(NEXT) | instid1(VALU_DEP_4)
	v_add_co_u32 v24, vcc_lo, s18, v24
	v_add_co_ci_u32_e32 v25, vcc_lo, s19, v25, vcc_lo
	s_clause 0x1
	global_load_b64 v[2:3], v[2:3], off
	global_load_b64 v[24:25], v[24:25], off
	s_waitcnt vmcnt(0)
	v_fmac_f32_e32 v23, v2, v24
	s_delay_alu instid0(VALU_DEP_1) | instskip(NEXT) | instid1(VALU_DEP_1)
	v_fmac_f32_e32 v23, v3, v25
	v_mov_b32_e32 v24, v23
.LBB3_45:                               ;   in Loop: Header=BB3_12 Depth=1
	s_delay_alu instid0(VALU_DEP_1)
	v_mov_b32_e32 v23, v24
.LBB3_46:                               ;   in Loop: Header=BB3_12 Depth=1
	ds_store_b32 v19, v23
	s_waitcnt lgkmcnt(0)
	buffer_gl0_inv
	ds_load_b32 v3, v22 offset:384
	ds_load_b32 v2, v13
	s_waitcnt lgkmcnt(1)
	v_cmp_neq_f32_e32 vcc_lo, 0, v3
	v_cndmask_b32_e32 v3, 1.0, v3, vcc_lo
	s_or_b32 s20, vcc_lo, s0
	s_delay_alu instid0(SALU_CYCLE_1) | instskip(NEXT) | instid1(SALU_CYCLE_1)
	s_xor_b32 s21, s20, -1
	s_and_saveexec_b32 s20, s21
	s_cbranch_execz .LBB3_50
; %bb.47:                               ;   in Loop: Header=BB3_12 Depth=1
	v_mbcnt_lo_u32_b32 v3, exec_lo, 0
	s_mov_b32 s21, exec_lo
	s_delay_alu instid0(VALU_DEP_1)
	v_cmpx_eq_u32_e32 0, v3
	s_cbranch_execz .LBB3_49
; %bb.48:                               ;   in Loop: Header=BB3_12 Depth=1
	v_mov_b32_e32 v3, s3
	global_atomic_min_i32 v22, v3, s[10:11]
.LBB3_49:                               ;   in Loop: Header=BB3_12 Depth=1
	s_or_b32 exec_lo, exec_lo, s21
	v_mov_b32_e32 v3, 1.0
.LBB3_50:                               ;   in Loop: Header=BB3_12 Depth=1
	s_or_b32 exec_lo, exec_lo, s20
	ds_load_b32 v23, v15
	s_waitcnt lgkmcnt(0)
	v_sub_f32_e32 v2, v2, v23
	s_delay_alu instid0(VALU_DEP_1) | instskip(SKIP_1) | instid1(VALU_DEP_2)
	v_div_scale_f32 v23, null, v3, v3, v2
	v_div_scale_f32 v26, vcc_lo, v2, v3, v2
	v_rcp_f32_e32 v24, v23
	s_waitcnt_depctr 0xfff
	v_fma_f32 v25, -v23, v24, 1.0
	s_delay_alu instid0(VALU_DEP_1) | instskip(NEXT) | instid1(VALU_DEP_1)
	v_fmac_f32_e32 v24, v25, v24
	v_mul_f32_e32 v25, v26, v24
	s_delay_alu instid0(VALU_DEP_1) | instskip(NEXT) | instid1(VALU_DEP_1)
	v_fma_f32 v27, -v23, v25, v26
	v_fmac_f32_e32 v25, v27, v24
	s_delay_alu instid0(VALU_DEP_1) | instskip(NEXT) | instid1(VALU_DEP_1)
	v_fma_f32 v23, -v23, v25, v26
	v_div_fmas_f32 v23, v23, v24, v25
	s_delay_alu instid0(VALU_DEP_1)
	v_div_fixup_f32 v2, v23, v3, v2
	ds_store_b32 v13, v2
	s_waitcnt lgkmcnt(0)
	s_waitcnt_vscnt null, 0x0
	buffer_gl0_inv
	ds_load_b32 v3, v20
	ds_load_b32 v23, v7
	s_waitcnt lgkmcnt(0)
	v_fmac_f32_e32 v23, v2, v3
	ds_store_b32 v7, v23
	s_waitcnt lgkmcnt(0)
	buffer_gl0_inv
	ds_load_b32 v3, v22 offset:400
	ds_load_b32 v2, v13 offset:4
	s_waitcnt lgkmcnt(1)
	v_cmp_neq_f32_e32 vcc_lo, 0, v3
	v_cndmask_b32_e32 v3, 1.0, v3, vcc_lo
	s_or_b32 s20, vcc_lo, s0
	s_delay_alu instid0(SALU_CYCLE_1) | instskip(NEXT) | instid1(SALU_CYCLE_1)
	s_xor_b32 s21, s20, -1
	s_and_saveexec_b32 s20, s21
	s_cbranch_execz .LBB3_10
; %bb.51:                               ;   in Loop: Header=BB3_12 Depth=1
	v_mbcnt_lo_u32_b32 v3, exec_lo, 0
	s_mov_b32 s21, exec_lo
	s_delay_alu instid0(VALU_DEP_1)
	v_cmpx_eq_u32_e32 0, v3
	s_cbranch_execz .LBB3_9
; %bb.52:                               ;   in Loop: Header=BB3_12 Depth=1
	v_mov_b32_e32 v3, s3
	global_atomic_min_i32 v22, v3, s[10:11]
	s_branch .LBB3_9
.LBB3_53:
	s_waitcnt lgkmcnt(0)
	s_cmp_eq_u32 s1, 0
	s_mov_b32 s2, exec_lo
	s_cselect_b32 vcc_lo, -1, 0
	v_cndmask_b32_e32 v0, v11, v9, vcc_lo
	s_delay_alu instid0(VALU_DEP_1) | instskip(NEXT) | instid1(VALU_DEP_1)
	v_lshl_add_u32 v0, s26, 2, v0
	v_ashrrev_i32_e32 v1, 31, v0
	s_delay_alu instid0(VALU_DEP_1) | instskip(NEXT) | instid1(VALU_DEP_1)
	v_lshlrev_b64 v[0:1], 2, v[0:1]
	v_add_co_u32 v0, vcc_lo, s18, v0
	s_delay_alu instid0(VALU_DEP_2)
	v_add_co_ci_u32_e32 v1, vcc_lo, s19, v1, vcc_lo
	v_cmp_ne_u32_e32 vcc_lo, 0, v5
	global_load_b32 v2, v[0:1], off
	s_waitcnt vmcnt(0)
	ds_store_b32 v8, v2 offset:448
	s_waitcnt lgkmcnt(0)
	buffer_gl0_inv
	v_cmpx_eq_u32_e32 0, v5
	s_cbranch_execz .LBB3_55
; %bb.54:
	v_mov_b32_e32 v9, 0
	ds_load_2addr_b32 v[2:3], v9 offset0:112 offset1:120
	s_waitcnt lgkmcnt(0)
	v_sub_f32_e32 v2, v2, v3
	s_delay_alu instid0(VALU_DEP_1) | instskip(NEXT) | instid1(VALU_DEP_1)
	v_cmp_gt_f32_e64 s0, 0, v2
	v_cndmask_b32_e64 v2, v2, -v2, s0
	s_delay_alu instid0(VALU_DEP_1) | instskip(SKIP_1) | instid1(VALU_DEP_1)
	v_mul_f32_e32 v3, 0x4f800000, v2
	v_cmp_gt_f32_e64 s0, 0xf800000, v2
	v_cndmask_b32_e64 v2, v2, v3, s0
	s_delay_alu instid0(VALU_DEP_1) | instskip(SKIP_3) | instid1(VALU_DEP_2)
	v_sqrt_f32_e32 v3, v2
	s_waitcnt_depctr 0xfff
	v_add_nc_u32_e32 v10, -1, v3
	v_add_nc_u32_e32 v11, 1, v3
	v_fma_f32 v12, -v10, v3, v2
	s_delay_alu instid0(VALU_DEP_2) | instskip(NEXT) | instid1(VALU_DEP_2)
	v_fma_f32 v13, -v11, v3, v2
	v_cmp_ge_f32_e64 s1, 0, v12
	s_delay_alu instid0(VALU_DEP_1) | instskip(NEXT) | instid1(VALU_DEP_3)
	v_cndmask_b32_e64 v3, v3, v10, s1
	v_cmp_lt_f32_e64 s1, 0, v13
	s_delay_alu instid0(VALU_DEP_1) | instskip(NEXT) | instid1(VALU_DEP_1)
	v_cndmask_b32_e64 v3, v3, v11, s1
	v_mul_f32_e32 v10, 0x37800000, v3
	s_delay_alu instid0(VALU_DEP_1) | instskip(SKIP_1) | instid1(VALU_DEP_1)
	v_cndmask_b32_e64 v3, v3, v10, s0
	v_cmp_class_f32_e64 s0, v2, 0x260
	v_cndmask_b32_e64 v2, v3, v2, s0
	ds_store_b32 v9, v2 offset:448
.LBB3_55:
	s_or_b32 exec_lo, exec_lo, s2
	v_mov_b32_e32 v2, 0
	s_waitcnt lgkmcnt(0)
	buffer_gl0_inv
	v_cmp_ne_u32_e64 s0, 0, v6
	s_add_i32 s2, s16, s17
	ds_load_b32 v2, v2 offset:448
	s_waitcnt lgkmcnt(0)
	v_cmp_neq_f32_e64 s1, 0, v2
	s_delay_alu instid0(VALU_DEP_1) | instskip(SKIP_1) | instid1(SALU_CYCLE_1)
	v_cndmask_b32_e64 v2, 1.0, v2, s1
	s_or_b32 s1, s1, s0
	s_xor_b32 s1, s1, -1
	s_delay_alu instid0(SALU_CYCLE_1)
	s_and_saveexec_b32 s3, s1
	s_cbranch_execz .LBB3_59
; %bb.56:
	v_mbcnt_lo_u32_b32 v2, exec_lo, 0
	s_mov_b32 s4, exec_lo
	s_delay_alu instid0(VALU_DEP_1)
	v_cmpx_eq_u32_e32 0, v2
	s_cbranch_execz .LBB3_58
; %bb.57:
	v_dual_mov_b32 v2, 0 :: v_dual_mov_b32 v3, s2
	global_atomic_min_i32 v2, v3, s[10:11]
.LBB3_58:
	s_or_b32 exec_lo, exec_lo, s4
	v_mov_b32_e32 v2, 1.0
.LBB3_59:
	s_or_b32 exec_lo, exec_lo, s3
	s_and_saveexec_b32 s1, vcc_lo
	s_cbranch_execz .LBB3_61
; %bb.60:
	v_mul_u32_u24_e32 v3, 12, v5
	ds_load_2addr_b32 v[9:10], v3 offset0:112 offset1:120
	s_waitcnt lgkmcnt(0)
	v_sub_f32_e32 v9, v9, v10
	s_delay_alu instid0(VALU_DEP_1) | instskip(SKIP_1) | instid1(VALU_DEP_2)
	v_div_scale_f32 v10, null, v2, v2, v9
	v_div_scale_f32 v13, vcc_lo, v9, v2, v9
	v_rcp_f32_e32 v11, v10
	s_waitcnt_depctr 0xfff
	v_fma_f32 v12, -v10, v11, 1.0
	s_delay_alu instid0(VALU_DEP_1) | instskip(NEXT) | instid1(VALU_DEP_1)
	v_fmac_f32_e32 v11, v12, v11
	v_mul_f32_e32 v12, v13, v11
	s_delay_alu instid0(VALU_DEP_1) | instskip(NEXT) | instid1(VALU_DEP_1)
	v_fma_f32 v14, -v10, v12, v13
	v_fmac_f32_e32 v12, v14, v11
	s_delay_alu instid0(VALU_DEP_1) | instskip(NEXT) | instid1(VALU_DEP_1)
	v_fma_f32 v10, -v10, v12, v13
	v_div_fmas_f32 v10, v10, v11, v12
	s_delay_alu instid0(VALU_DEP_1)
	v_div_fixup_f32 v2, v10, v2, v9
	v_mul_u32_u24_e32 v9, 12, v4
	ds_store_b32 v3, v2 offset:448
	s_waitcnt lgkmcnt(0)
	s_waitcnt_vscnt null, 0x0
	buffer_gl0_inv
	ds_load_b32 v3, v9 offset:448
	ds_load_b32 v9, v7
	s_waitcnt lgkmcnt(0)
	v_fmac_f32_e32 v9, v2, v3
	ds_store_b32 v7, v9
.LBB3_61:
	s_or_b32 exec_lo, exec_lo, s1
	s_delay_alu instid0(SALU_CYCLE_1)
	s_mov_b32 s3, exec_lo
	s_waitcnt lgkmcnt(0)
	s_waitcnt_vscnt null, 0x0
	buffer_gl0_inv
	v_cmpx_eq_u32_e32 1, v5
	s_cbranch_execz .LBB3_63
; %bb.62:
	v_mov_b32_e32 v9, 0
	ds_load_2addr_b32 v[2:3], v9 offset0:116 offset1:124
	s_waitcnt lgkmcnt(0)
	v_sub_f32_e32 v2, v2, v3
	s_delay_alu instid0(VALU_DEP_1) | instskip(SKIP_1) | instid1(VALU_DEP_1)
	v_cmp_gt_f32_e32 vcc_lo, 0, v2
	v_cndmask_b32_e64 v2, v2, -v2, vcc_lo
	v_mul_f32_e32 v3, 0x4f800000, v2
	v_cmp_gt_f32_e32 vcc_lo, 0xf800000, v2
	s_delay_alu instid0(VALU_DEP_2) | instskip(NEXT) | instid1(VALU_DEP_1)
	v_cndmask_b32_e32 v2, v2, v3, vcc_lo
	v_sqrt_f32_e32 v3, v2
	s_waitcnt_depctr 0xfff
	v_add_nc_u32_e32 v10, -1, v3
	v_add_nc_u32_e32 v11, 1, v3
	s_delay_alu instid0(VALU_DEP_2) | instskip(NEXT) | instid1(VALU_DEP_2)
	v_fma_f32 v12, -v10, v3, v2
	v_fma_f32 v13, -v11, v3, v2
	s_delay_alu instid0(VALU_DEP_2) | instskip(NEXT) | instid1(VALU_DEP_1)
	v_cmp_ge_f32_e64 s1, 0, v12
	v_cndmask_b32_e64 v3, v3, v10, s1
	s_delay_alu instid0(VALU_DEP_3) | instskip(NEXT) | instid1(VALU_DEP_1)
	v_cmp_lt_f32_e64 s1, 0, v13
	v_cndmask_b32_e64 v3, v3, v11, s1
	s_delay_alu instid0(VALU_DEP_1) | instskip(NEXT) | instid1(VALU_DEP_1)
	v_mul_f32_e32 v10, 0x37800000, v3
	v_cndmask_b32_e32 v3, v3, v10, vcc_lo
	v_cmp_class_f32_e64 vcc_lo, v2, 0x260
	s_delay_alu instid0(VALU_DEP_2)
	v_cndmask_b32_e32 v2, v3, v2, vcc_lo
	ds_store_b32 v9, v2 offset:464
.LBB3_63:
	s_or_b32 exec_lo, exec_lo, s3
	v_mov_b32_e32 v2, 0
	s_waitcnt lgkmcnt(0)
	buffer_gl0_inv
	ds_load_b32 v2, v2 offset:464
	s_waitcnt lgkmcnt(0)
	v_cmp_neq_f32_e32 vcc_lo, 0, v2
	v_cndmask_b32_e32 v3, 1.0, v2, vcc_lo
	s_or_b32 s0, vcc_lo, s0
	s_delay_alu instid0(SALU_CYCLE_1) | instskip(NEXT) | instid1(SALU_CYCLE_1)
	s_xor_b32 s1, s0, -1
	s_and_saveexec_b32 s0, s1
	s_cbranch_execz .LBB3_67
; %bb.64:
	v_mbcnt_lo_u32_b32 v2, exec_lo, 0
	s_mov_b32 s1, exec_lo
	s_delay_alu instid0(VALU_DEP_1)
	v_cmpx_eq_u32_e32 0, v2
	s_cbranch_execz .LBB3_66
; %bb.65:
	v_dual_mov_b32 v2, 0 :: v_dual_mov_b32 v3, s2
	global_atomic_min_i32 v2, v3, s[10:11]
.LBB3_66:
	s_or_b32 exec_lo, exec_lo, s1
	v_mov_b32_e32 v3, 1.0
.LBB3_67:
	s_or_b32 exec_lo, exec_lo, s0
	v_add_nc_u32_e32 v2, 0x1c0, v8
	s_mov_b32 s0, exec_lo
	v_cmpx_lt_u32_e32 1, v5
	s_cbranch_execz .LBB3_69
; %bb.68:
	v_mul_u32_u24_e32 v10, 12, v5
	ds_load_2addr_b32 v[8:9], v10 offset0:113 offset1:121
	s_waitcnt lgkmcnt(0)
	v_sub_f32_e32 v8, v8, v9
	s_delay_alu instid0(VALU_DEP_1) | instskip(SKIP_1) | instid1(VALU_DEP_2)
	v_div_scale_f32 v9, null, v3, v3, v8
	v_div_scale_f32 v13, vcc_lo, v8, v3, v8
	v_rcp_f32_e32 v11, v9
	s_waitcnt_depctr 0xfff
	v_fma_f32 v12, -v9, v11, 1.0
	s_delay_alu instid0(VALU_DEP_1) | instskip(NEXT) | instid1(VALU_DEP_1)
	v_fmac_f32_e32 v11, v12, v11
	v_mul_f32_e32 v12, v13, v11
	s_delay_alu instid0(VALU_DEP_1) | instskip(NEXT) | instid1(VALU_DEP_1)
	v_fma_f32 v14, -v9, v12, v13
	v_fmac_f32_e32 v12, v14, v11
	s_delay_alu instid0(VALU_DEP_1) | instskip(NEXT) | instid1(VALU_DEP_1)
	v_fma_f32 v9, -v9, v12, v13
	v_div_fmas_f32 v9, v9, v11, v12
	s_delay_alu instid0(VALU_DEP_1)
	v_div_fixup_f32 v3, v9, v3, v8
	v_mul_u32_u24_e32 v8, 12, v4
	ds_store_b32 v10, v3 offset:452
	s_waitcnt lgkmcnt(0)
	s_waitcnt_vscnt null, 0x0
	buffer_gl0_inv
	ds_load_b32 v8, v8 offset:452
	ds_load_b32 v9, v7
	s_waitcnt lgkmcnt(0)
	v_fmac_f32_e32 v9, v3, v8
	ds_store_b32 v7, v9
.LBB3_69:
	s_or_b32 exec_lo, exec_lo, s0
	s_waitcnt lgkmcnt(0)
	s_waitcnt_vscnt null, 0x0
	buffer_gl0_inv
	ds_load_b32 v2, v2
	v_cmp_eq_u32_e64 s3, 0, v6
	s_waitcnt lgkmcnt(0)
	global_store_b32 v[0:1], v2, off
	s_branch .LBB3_75
.LBB3_70:
	v_or_b32_e32 v0, v4, v5
	s_mov_b32 s0, exec_lo
	s_delay_alu instid0(VALU_DEP_1)
	v_cmpx_eq_u32_e32 0, v0
	s_cbranch_execz .LBB3_74
; %bb.71:
	v_mbcnt_lo_u32_b32 v0, exec_lo, 0
	s_mov_b32 s1, exec_lo
	s_delay_alu instid0(VALU_DEP_1)
	v_cmpx_eq_u32_e32 0, v0
	s_cbranch_execz .LBB3_73
; %bb.72:
	s_add_i32 s2, s16, s17
	s_delay_alu instid0(SALU_CYCLE_1)
	v_dual_mov_b32 v0, 0 :: v_dual_mov_b32 v1, s2
	global_atomic_min_i32 v0, v1, s[10:11]
.LBB3_73:
	s_or_b32 exec_lo, exec_lo, s1
	s_delay_alu instid0(SALU_CYCLE_1)
	s_or_b32 s3, s3, exec_lo
.LBB3_74:
	s_or_b32 exec_lo, exec_lo, s0
.LBB3_75:
	s_and_saveexec_b32 s0, s3
	s_cbranch_execnz .LBB3_77
; %bb.76:
	s_nop 0
	s_sendmsg sendmsg(MSG_DEALLOC_VGPRS)
	s_endpgm
.LBB3_77:
	v_dual_mov_b32 v0, 0 :: v_dual_mov_b32 v1, 1
	s_add_u32 s0, s6, s8
	s_addc_u32 s1, s7, s9
	s_waitcnt_vscnt null, 0x0
	global_store_b32 v0, v1, s[0:1]
	s_nop 0
	s_sendmsg sendmsg(MSG_DEALLOC_VGPRS)
	s_endpgm
	.section	.rodata,"a",@progbits
	.p2align	6, 0x0
	.amdhsa_kernel _ZN9rocsparseL26bsric0_2_8_unrolled_kernelILi4ELi32ELi2EfEEv20rocsparse_direction_iiPKiS3_PT2_S3_PiS3_S6_21rocsparse_index_base_
		.amdhsa_group_segment_fixed_size 504
		.amdhsa_private_segment_fixed_size 0
		.amdhsa_kernarg_size 76
		.amdhsa_user_sgpr_count 15
		.amdhsa_user_sgpr_dispatch_ptr 0
		.amdhsa_user_sgpr_queue_ptr 0
		.amdhsa_user_sgpr_kernarg_segment_ptr 1
		.amdhsa_user_sgpr_dispatch_id 0
		.amdhsa_user_sgpr_private_segment_size 0
		.amdhsa_wavefront_size32 1
		.amdhsa_uses_dynamic_stack 0
		.amdhsa_enable_private_segment 0
		.amdhsa_system_sgpr_workgroup_id_x 1
		.amdhsa_system_sgpr_workgroup_id_y 0
		.amdhsa_system_sgpr_workgroup_id_z 0
		.amdhsa_system_sgpr_workgroup_info 0
		.amdhsa_system_vgpr_workitem_id 1
		.amdhsa_next_free_vgpr 33
		.amdhsa_next_free_sgpr 37
		.amdhsa_reserve_vcc 1
		.amdhsa_float_round_mode_32 0
		.amdhsa_float_round_mode_16_64 0
		.amdhsa_float_denorm_mode_32 3
		.amdhsa_float_denorm_mode_16_64 3
		.amdhsa_dx10_clamp 1
		.amdhsa_ieee_mode 1
		.amdhsa_fp16_overflow 0
		.amdhsa_workgroup_processor_mode 1
		.amdhsa_memory_ordered 1
		.amdhsa_forward_progress 0
		.amdhsa_shared_vgpr_count 0
		.amdhsa_exception_fp_ieee_invalid_op 0
		.amdhsa_exception_fp_denorm_src 0
		.amdhsa_exception_fp_ieee_div_zero 0
		.amdhsa_exception_fp_ieee_overflow 0
		.amdhsa_exception_fp_ieee_underflow 0
		.amdhsa_exception_fp_ieee_inexact 0
		.amdhsa_exception_int_div_zero 0
	.end_amdhsa_kernel
	.section	.text._ZN9rocsparseL26bsric0_2_8_unrolled_kernelILi4ELi32ELi2EfEEv20rocsparse_direction_iiPKiS3_PT2_S3_PiS3_S6_21rocsparse_index_base_,"axG",@progbits,_ZN9rocsparseL26bsric0_2_8_unrolled_kernelILi4ELi32ELi2EfEEv20rocsparse_direction_iiPKiS3_PT2_S3_PiS3_S6_21rocsparse_index_base_,comdat
.Lfunc_end3:
	.size	_ZN9rocsparseL26bsric0_2_8_unrolled_kernelILi4ELi32ELi2EfEEv20rocsparse_direction_iiPKiS3_PT2_S3_PiS3_S6_21rocsparse_index_base_, .Lfunc_end3-_ZN9rocsparseL26bsric0_2_8_unrolled_kernelILi4ELi32ELi2EfEEv20rocsparse_direction_iiPKiS3_PT2_S3_PiS3_S6_21rocsparse_index_base_
                                        ; -- End function
	.section	.AMDGPU.csdata,"",@progbits
; Kernel info:
; codeLenInByte = 4256
; NumSgprs: 39
; NumVgprs: 33
; ScratchSize: 0
; MemoryBound: 0
; FloatMode: 240
; IeeeMode: 1
; LDSByteSize: 504 bytes/workgroup (compile time only)
; SGPRBlocks: 4
; VGPRBlocks: 4
; NumSGPRsForWavesPerEU: 39
; NumVGPRsForWavesPerEU: 33
; Occupancy: 16
; WaveLimiterHint : 1
; COMPUTE_PGM_RSRC2:SCRATCH_EN: 0
; COMPUTE_PGM_RSRC2:USER_SGPR: 15
; COMPUTE_PGM_RSRC2:TRAP_HANDLER: 0
; COMPUTE_PGM_RSRC2:TGID_X_EN: 1
; COMPUTE_PGM_RSRC2:TGID_Y_EN: 0
; COMPUTE_PGM_RSRC2:TGID_Z_EN: 0
; COMPUTE_PGM_RSRC2:TIDIG_COMP_CNT: 1
	.section	.text._ZN9rocsparseL26bsric0_2_8_unrolled_kernelILi9ELi32ELi3EfEEv20rocsparse_direction_iiPKiS3_PT2_S3_PiS3_S6_21rocsparse_index_base_,"axG",@progbits,_ZN9rocsparseL26bsric0_2_8_unrolled_kernelILi9ELi32ELi3EfEEv20rocsparse_direction_iiPKiS3_PT2_S3_PiS3_S6_21rocsparse_index_base_,comdat
	.globl	_ZN9rocsparseL26bsric0_2_8_unrolled_kernelILi9ELi32ELi3EfEEv20rocsparse_direction_iiPKiS3_PT2_S3_PiS3_S6_21rocsparse_index_base_ ; -- Begin function _ZN9rocsparseL26bsric0_2_8_unrolled_kernelILi9ELi32ELi3EfEEv20rocsparse_direction_iiPKiS3_PT2_S3_PiS3_S6_21rocsparse_index_base_
	.p2align	8
	.type	_ZN9rocsparseL26bsric0_2_8_unrolled_kernelILi9ELi32ELi3EfEEv20rocsparse_direction_iiPKiS3_PT2_S3_PiS3_S6_21rocsparse_index_base_,@function
_ZN9rocsparseL26bsric0_2_8_unrolled_kernelILi9ELi32ELi3EfEEv20rocsparse_direction_iiPKiS3_PT2_S3_PiS3_S6_21rocsparse_index_base_: ; @_ZN9rocsparseL26bsric0_2_8_unrolled_kernelILi9ELi32ELi3EfEEv20rocsparse_direction_iiPKiS3_PT2_S3_PiS3_S6_21rocsparse_index_base_
; %bb.0:
	s_load_b256 s[4:11], s[0:1], 0x28
	s_mov_b32 s2, s15
	s_mov_b32 s3, 0
	v_and_b32_e32 v5, 0x3ff, v0
	s_lshl_b64 s[12:13], s[2:3], 2
	v_bfe_u32 v6, v0, 10, 10
	s_waitcnt lgkmcnt(0)
	s_add_u32 s8, s8, s12
	s_addc_u32 s9, s9, s13
	s_load_b32 s16, s[8:9], 0x0
	s_waitcnt lgkmcnt(0)
	s_ashr_i32 s17, s16, 31
	s_delay_alu instid0(SALU_CYCLE_1) | instskip(NEXT) | instid1(SALU_CYCLE_1)
	s_lshl_b64 s[8:9], s[16:17], 2
	s_add_u32 s12, s4, s8
	s_addc_u32 s13, s5, s9
	s_load_b32 s26, s[12:13], 0x0
	s_load_b32 s17, s[0:1], 0x48
	s_waitcnt lgkmcnt(0)
	s_cmp_lg_u32 s26, -1
	s_cbranch_scc0 .LBB4_85
; %bb.1:
	s_clause 0x1
	s_load_b128 s[12:15], s[0:1], 0x10
	s_load_b64 s[18:19], s[0:1], 0x20
	v_mad_u32_u24 v7, v6, 3, v5
	s_waitcnt lgkmcnt(0)
	s_add_u32 s2, s12, s8
	s_addc_u32 s3, s13, s9
	s_load_b32 s2, s[2:3], 0x0
	s_mov_b32 s3, exec_lo
	s_waitcnt lgkmcnt(0)
	s_sub_i32 s27, s2, s17
	s_delay_alu instid0(SALU_CYCLE_1) | instskip(NEXT) | instid1(VALU_DEP_1)
	v_add_nc_u32_e32 v0, s27, v7
	v_cmpx_ge_i32_e64 s26, v0
	s_cbranch_execz .LBB4_4
; %bb.2:
	v_ashrrev_i32_e32 v1, 31, v0
	v_lshl_add_u32 v3, v7, 2, 0x100
	s_mov_b32 s20, 0
	s_delay_alu instid0(VALU_DEP_2) | instskip(NEXT) | instid1(VALU_DEP_1)
	v_lshlrev_b64 v[1:2], 2, v[0:1]
	v_add_co_u32 v1, vcc_lo, s14, v1
	s_delay_alu instid0(VALU_DEP_2)
	v_add_co_ci_u32_e32 v2, vcc_lo, s15, v2, vcc_lo
.LBB4_3:                                ; =>This Inner Loop Header: Depth=1
	global_load_b32 v4, v[1:2], off
	v_add_nc_u32_e32 v0, 9, v0
	v_add_co_u32 v1, vcc_lo, v1, 36
	v_add_co_ci_u32_e32 v2, vcc_lo, 0, v2, vcc_lo
	s_delay_alu instid0(VALU_DEP_3) | instskip(NEXT) | instid1(VALU_DEP_1)
	v_cmp_lt_i32_e64 s2, s26, v0
	s_or_b32 s20, s2, s20
	s_waitcnt vmcnt(0)
	v_subrev_nc_u32_e32 v4, s17, v4
	ds_store_b32 v3, v4
	v_add_nc_u32_e32 v3, 36, v3
	s_and_not1_b32 exec_lo, exec_lo, s20
	s_cbranch_execnz .LBB4_3
.LBB4_4:
	s_or_b32 exec_lo, exec_lo, s3
	s_load_b32 s1, s[0:1], 0x0
	v_lshlrev_b32_e32 v0, 2, v5
	v_mul_u32_u24_e32 v11, 3, v6
	v_mad_u32_u24 v8, v5, 3, v6
	s_cmp_ge_i32 s27, s26
	s_delay_alu instid0(VALU_DEP_3) | instskip(NEXT) | instid1(VALU_DEP_1)
	v_lshl_add_u32 v10, v6, 4, v0
	v_dual_mov_b32 v12, 0 :: v_dual_add_nc_u32 v9, 0x210, v10
	ds_store_b32 v10, v12 offset:528
	s_waitcnt lgkmcnt(0)
	buffer_gl0_inv
	s_cbranch_scc1 .LBB4_54
; %bb.5:
	s_cmp_eq_u32 s1, 0
	v_mad_u32_u24 v2, v5, 3, v6
	s_cselect_b32 vcc_lo, -1, 0
	v_lshlrev_b32_e32 v1, 4, v6
	v_mul_u32_u24_e32 v13, 3, v5
	v_add_nc_u32_e32 v14, 3, v5
	v_add_nc_u32_e32 v19, 3, v6
	;; [unrolled: 1-line block ×4, first 2 shown]
	v_add3_u32 v16, v1, v0, 0x180
	v_add_nc_u32_e32 v17, 0x1b0, v1
	v_or_b32_e32 v1, v5, v6
	v_add_nc_u32_e32 v21, 6, v6
	v_add_nc_u32_e32 v18, v15, v0
	v_lshl_add_u32 v23, v5, 4, 0x1e0
	v_add_nc_u32_e32 v22, v17, v0
	v_cndmask_b32_e32 v0, v2, v7, vcc_lo
	v_cmp_ne_u32_e64 s0, 0, v1
	s_cmp_lg_u32 s1, 0
	s_mov_b32 s2, s27
	s_cselect_b32 s28, -1, 0
	s_branch .LBB4_9
.LBB4_6:                                ;   in Loop: Header=BB4_9 Depth=1
	s_or_b32 exec_lo, exec_lo, s21
	v_mov_b32_e32 v4, 1.0
.LBB4_7:                                ;   in Loop: Header=BB4_9 Depth=1
	s_or_b32 exec_lo, exec_lo, s20
	ds_load_b64 v[24:25], v15
	ds_load_b64 v[26:27], v12 offset:416
	ds_load_b32 v28, v17 offset:8
	s_add_i32 s2, s2, 1
	s_delay_alu instid0(SALU_CYCLE_1) | instskip(SKIP_3) | instid1(VALU_DEP_1)
	s_cmp_ge_i32 s2, s26
	s_cselect_b32 s24, -1, 0
	s_waitcnt lgkmcnt(0)
	v_fmac_f32_e32 v28, v26, v24
	v_fmac_f32_e32 v28, v27, v25
	s_delay_alu instid0(VALU_DEP_1) | instskip(NEXT) | instid1(VALU_DEP_1)
	v_sub_f32_e32 v3, v3, v28
	v_div_scale_f32 v24, null, v4, v4, v3
	v_div_scale_f32 v27, vcc_lo, v3, v4, v3
	s_delay_alu instid0(VALU_DEP_2) | instskip(SKIP_2) | instid1(VALU_DEP_1)
	v_rcp_f32_e32 v25, v24
	s_waitcnt_depctr 0xfff
	v_fma_f32 v26, -v24, v25, 1.0
	v_fmac_f32_e32 v25, v26, v25
	s_delay_alu instid0(VALU_DEP_1) | instskip(NEXT) | instid1(VALU_DEP_1)
	v_mul_f32_e32 v26, v27, v25
	v_fma_f32 v28, -v24, v26, v27
	s_delay_alu instid0(VALU_DEP_1) | instskip(NEXT) | instid1(VALU_DEP_1)
	v_fmac_f32_e32 v26, v28, v25
	v_fma_f32 v24, -v24, v26, v27
	s_delay_alu instid0(VALU_DEP_1) | instskip(NEXT) | instid1(VALU_DEP_1)
	v_div_fmas_f32 v24, v24, v25, v26
	v_div_fixup_f32 v3, v24, v4, v3
	ds_store_b32 v15, v3 offset:8
	s_waitcnt lgkmcnt(0)
	s_waitcnt_vscnt null, 0x0
	buffer_gl0_inv
	ds_load_b32 v4, v23 offset:8
	ds_load_b32 v24, v9
	s_waitcnt lgkmcnt(0)
	v_fmac_f32_e32 v24, v3, v4
	ds_store_b32 v9, v24
	s_waitcnt lgkmcnt(0)
	buffer_gl0_inv
	ds_load_b32 v3, v18
	s_waitcnt lgkmcnt(0)
	global_store_b32 v[1:2], v3, off
	s_waitcnt_vscnt null, 0x0
	buffer_gl1_inv
	buffer_gl0_inv
.LBB4_8:                                ;   in Loop: Header=BB4_9 Depth=1
	s_and_b32 vcc_lo, exec_lo, s24
	s_cbranch_vccnz .LBB4_54
.LBB4_9:                                ; =>This Loop Header: Depth=1
                                        ;     Child Loop BB4_12 Depth 2
                                        ;     Child Loop BB4_23 Depth 2
	;; [unrolled: 1-line block ×3, first 2 shown]
	s_ashr_i32 s3, s2, 31
	s_delay_alu instid0(SALU_CYCLE_1) | instskip(NEXT) | instid1(SALU_CYCLE_1)
	s_lshl_b64 s[20:21], s[2:3], 2
	s_add_u32 s20, s14, s20
	s_addc_u32 s21, s15, s21
	s_load_b32 s3, s[20:21], 0x0
	s_waitcnt lgkmcnt(0)
	s_sub_i32 s22, s3, s17
	s_delay_alu instid0(SALU_CYCLE_1) | instskip(NEXT) | instid1(SALU_CYCLE_1)
	s_ashr_i32 s23, s22, 31
	s_lshl_b64 s[20:21], s[22:23], 2
	s_delay_alu instid0(SALU_CYCLE_1)
	s_add_u32 s24, s4, s20
	s_addc_u32 s25, s5, s21
	s_load_b32 s23, s[24:25], 0x0
	s_mov_b32 s24, -1
	s_waitcnt lgkmcnt(0)
	s_cmp_eq_u32 s23, -1
	s_cbranch_scc1 .LBB4_8
; %bb.10:                               ;   in Loop: Header=BB4_9 Depth=1
	v_mad_u64_u32 v[1:2], null, s2, 9, v[0:1]
	s_add_u32 s24, s12, s20
	s_addc_u32 s25, s13, s21
	ds_load_b32 v4, v12 offset:256
	s_load_b32 s24, s[24:25], 0x0
	v_ashrrev_i32_e32 v2, 31, v1
	s_delay_alu instid0(VALU_DEP_1) | instskip(NEXT) | instid1(VALU_DEP_1)
	v_lshlrev_b64 v[1:2], 2, v[1:2]
	v_add_co_u32 v1, vcc_lo, s18, v1
	s_delay_alu instid0(VALU_DEP_2)
	v_add_co_ci_u32_e32 v2, vcc_lo, s19, v2, vcc_lo
	s_waitcnt lgkmcnt(0)
	v_cmp_ge_i32_e32 vcc_lo, s22, v4
	s_sub_i32 s24, s24, s17
	global_load_b32 v3, v[1:2], off
	s_cmp_le_i32 s24, s23
	s_cselect_b32 s25, -1, 0
	s_delay_alu instid0(SALU_CYCLE_1) | instskip(NEXT) | instid1(SALU_CYCLE_1)
	s_and_b32 s25, s25, vcc_lo
	s_and_not1_b32 vcc_lo, exec_lo, s25
	s_mov_b32 s25, 0
	s_waitcnt vmcnt(0)
	ds_store_b32 v18, v3
	s_cbranch_vccnz .LBB4_22
; %bb.11:                               ;   in Loop: Header=BB4_9 Depth=1
	s_mov_b32 s29, 0
	s_mov_b32 s30, 0
.LBB4_12:                               ;   Parent Loop BB4_9 Depth=1
                                        ; =>  This Inner Loop Header: Depth=2
	s_ashr_i32 s25, s24, 31
                                        ; implicit-def: $sgpr33
	s_delay_alu instid0(SALU_CYCLE_1) | instskip(NEXT) | instid1(SALU_CYCLE_1)
	s_lshl_b64 s[34:35], s[24:25], 2
	s_add_u32 s34, s14, s34
	s_addc_u32 s35, s15, s35
	s_lshl_b32 s25, s30, 2
	s_delay_alu instid0(SALU_CYCLE_1)
	v_mov_b32_e32 v3, s25
	s_load_b32 s25, s[34:35], 0x0
	s_mov_b32 s35, -1
                                        ; implicit-def: $sgpr34
	ds_load_b32 v3, v3 offset:256
	s_waitcnt lgkmcnt(0)
	s_sub_i32 s36, s25, s17
                                        ; implicit-def: $sgpr25
	s_delay_alu instid0(SALU_CYCLE_1)
	v_cmp_ge_i32_e32 vcc_lo, s36, v3
	v_readfirstlane_b32 s31, v3
	s_cbranch_vccz .LBB4_18
; %bb.13:                               ;   in Loop: Header=BB4_12 Depth=2
	s_delay_alu instid0(VALU_DEP_1)
	s_cmp_le_i32 s36, s31
                                        ; implicit-def: $sgpr25
                                        ; implicit-def: $sgpr34
                                        ; implicit-def: $sgpr33
	s_cbranch_scc0 .LBB4_15
; %bb.14:                               ;   in Loop: Header=BB4_12 Depth=2
	s_add_i32 s25, s30, s27
	s_lshl_b32 s33, s29, 2
	s_mul_i32 s25, s25, 9
	s_delay_alu instid0(SALU_CYCLE_1)
	v_dual_mov_b32 v3, s33 :: v_dual_mov_b32 v4, s25
	s_mul_i32 s33, s24, 9
	s_add_i32 s34, s24, 1
	v_mov_b32_e32 v24, s33
	s_add_i32 s33, s30, 1
	s_add_i32 s25, s29, 1
	s_mov_b32 s35, 0
	ds_store_2addr_b32 v3, v24, v4 offset1:32
.LBB4_15:                               ;   in Loop: Header=BB4_12 Depth=2
	s_and_not1_b32 vcc_lo, exec_lo, s35
	s_cbranch_vccnz .LBB4_17
; %bb.16:                               ;   in Loop: Header=BB4_12 Depth=2
	s_add_i32 s33, s30, 1
	s_mov_b32 s25, s29
	s_mov_b32 s34, s24
.LBB4_17:                               ;   in Loop: Header=BB4_12 Depth=2
	s_mov_b32 s35, 0
.LBB4_18:                               ;   in Loop: Header=BB4_12 Depth=2
	s_delay_alu instid0(SALU_CYCLE_1)
	s_and_not1_b32 vcc_lo, exec_lo, s35
	s_cbranch_vccnz .LBB4_20
; %bb.19:                               ;   in Loop: Header=BB4_12 Depth=2
	s_add_i32 s34, s24, 1
	s_mov_b32 s33, s30
	s_mov_b32 s25, s29
.LBB4_20:                               ;   in Loop: Header=BB4_12 Depth=2
	s_cmp_le_i32 s34, s23
	s_cselect_b32 s24, -1, 0
	s_cmp_le_i32 s31, s22
	s_cselect_b32 s29, -1, 0
	s_delay_alu instid0(SALU_CYCLE_1) | instskip(NEXT) | instid1(SALU_CYCLE_1)
	s_and_b32 s24, s24, s29
	s_and_b32 vcc_lo, exec_lo, s24
	s_cbranch_vccz .LBB4_22
; %bb.21:                               ;   in Loop: Header=BB4_12 Depth=2
	s_mov_b32 s29, s25
	s_mov_b32 s24, s34
	;; [unrolled: 1-line block ×3, first 2 shown]
	s_branch .LBB4_12
.LBB4_22:                               ;   in Loop: Header=BB4_9 Depth=1
	s_add_u32 s20, s6, s20
	s_addc_u32 s21, s7, s21
	s_waitcnt lgkmcnt(0)
	buffer_gl0_inv
.LBB4_23:                               ;   Parent Loop BB4_9 Depth=1
                                        ; =>  This Inner Loop Header: Depth=2
	global_load_b32 v3, v12, s[20:21] glc
	s_waitcnt vmcnt(0)
	v_cmp_eq_u32_e32 vcc_lo, 0, v3
	s_cbranch_vccnz .LBB4_23
; %bb.24:                               ;   in Loop: Header=BB4_9 Depth=1
	v_mad_u64_u32 v[3:4], null, s23, 9, v[0:1]
	buffer_gl1_inv
	buffer_gl0_inv
	v_mov_b32_e32 v24, 0
	s_cmp_lt_i32 s25, 2
	v_ashrrev_i32_e32 v4, 31, v3
	s_delay_alu instid0(VALU_DEP_1) | instskip(NEXT) | instid1(VALU_DEP_1)
	v_lshlrev_b64 v[3:4], 2, v[3:4]
	v_add_co_u32 v3, vcc_lo, s18, v3
	s_delay_alu instid0(VALU_DEP_2)
	v_add_co_ci_u32_e32 v4, vcc_lo, s19, v4, vcc_lo
	global_load_b32 v3, v[3:4], off
	s_waitcnt vmcnt(0)
	ds_store_b32 v16, v3
	s_waitcnt lgkmcnt(0)
	buffer_gl0_inv
	s_cbranch_scc1 .LBB4_43
; %bb.25:                               ;   in Loop: Header=BB4_9 Depth=1
	v_mov_b32_e32 v24, 0
	s_add_i32 s20, s25, -1
	s_cmp_eq_u32 s25, 2
	s_cbranch_scc1 .LBB4_36
; %bb.26:                               ;   in Loop: Header=BB4_9 Depth=1
	s_and_b32 s21, s20, -2
	s_mov_b32 s22, 0
	s_mov_b32 s23, 0
	s_branch .LBB4_28
.LBB4_27:                               ;   in Loop: Header=BB4_28 Depth=2
	s_add_i32 s23, s23, 2
	s_add_i32 s22, s22, 8
	s_cmp_eq_u32 s21, s23
	s_cbranch_scc1 .LBB4_37
.LBB4_28:                               ;   Parent Loop BB4_9 Depth=1
                                        ; =>  This Inner Loop Header: Depth=2
	s_waitcnt lgkmcnt(0)
	v_mov_b32_e32 v3, s22
	s_and_b32 vcc_lo, exec_lo, s28
	ds_load_2addr_b32 v[3:4], v3 offset1:32
	s_cbranch_vccz .LBB4_30
; %bb.29:                               ;   in Loop: Header=BB4_28 Depth=2
	s_waitcnt lgkmcnt(0)
	v_add_nc_u32_e32 v25, v3, v5
	v_add_nc_u32_e32 v27, v4, v6
	;; [unrolled: 1-line block ×5, first 2 shown]
	v_ashrrev_i32_e32 v26, 31, v25
	v_ashrrev_i32_e32 v28, 31, v27
	;; [unrolled: 1-line block ×5, first 2 shown]
	v_lshlrev_b64 v[25:26], 2, v[25:26]
	v_lshlrev_b64 v[27:28], 2, v[27:28]
	v_lshlrev_b64 v[29:30], 2, v[29:30]
	s_delay_alu instid0(VALU_DEP_3) | instskip(NEXT) | instid1(VALU_DEP_4)
	v_add_co_u32 v25, vcc_lo, s18, v25
	v_add_co_ci_u32_e32 v26, vcc_lo, s19, v26, vcc_lo
	s_delay_alu instid0(VALU_DEP_4)
	v_add_co_u32 v27, vcc_lo, s18, v27
	v_add_co_ci_u32_e32 v28, vcc_lo, s19, v28, vcc_lo
	v_add_co_u32 v29, vcc_lo, s18, v29
	s_clause 0x1
	global_load_b32 v35, v[25:26], off
	global_load_b32 v36, v[27:28], off
	v_add_nc_u32_e32 v27, v21, v4
	v_lshlrev_b64 v[25:26], 2, v[31:32]
	v_lshlrev_b64 v[31:32], 2, v[33:34]
	v_add_co_ci_u32_e32 v30, vcc_lo, s19, v30, vcc_lo
	s_delay_alu instid0(VALU_DEP_4) | instskip(NEXT) | instid1(VALU_DEP_4)
	v_ashrrev_i32_e32 v28, 31, v27
	v_add_co_u32 v25, vcc_lo, s18, v25
	v_add_co_ci_u32_e32 v26, vcc_lo, s19, v26, vcc_lo
	s_delay_alu instid0(VALU_DEP_3) | instskip(SKIP_2) | instid1(VALU_DEP_3)
	v_lshlrev_b64 v[27:28], 2, v[27:28]
	v_add_co_u32 v31, vcc_lo, s18, v31
	v_add_co_ci_u32_e32 v32, vcc_lo, s19, v32, vcc_lo
	v_add_co_u32 v27, vcc_lo, s18, v27
	s_delay_alu instid0(VALU_DEP_4)
	v_add_co_ci_u32_e32 v28, vcc_lo, s19, v28, vcc_lo
	s_clause 0x3
	global_load_b32 v29, v[29:30], off
	global_load_b32 v26, v[25:26], off
	global_load_b32 v30, v[31:32], off
	global_load_b32 v27, v[27:28], off
	s_waitcnt vmcnt(4)
	v_fma_f32 v25, v35, v36, v24
	s_waitcnt vmcnt(2)
	s_delay_alu instid0(VALU_DEP_1) | instskip(SKIP_1) | instid1(VALU_DEP_1)
	v_fmac_f32_e32 v25, v29, v26
	s_waitcnt vmcnt(0)
	v_fmac_f32_e32 v25, v30, v27
	s_cbranch_execz .LBB4_31
	s_branch .LBB4_32
.LBB4_30:                               ;   in Loop: Header=BB4_28 Depth=2
                                        ; implicit-def: $vgpr25
.LBB4_31:                               ;   in Loop: Header=BB4_28 Depth=2
	s_waitcnt lgkmcnt(0)
	v_add_nc_u32_e32 v3, v3, v13
	v_add_nc_u32_e32 v25, v4, v11
	s_delay_alu instid0(VALU_DEP_2) | instskip(NEXT) | instid1(VALU_DEP_2)
	v_ashrrev_i32_e32 v4, 31, v3
	v_ashrrev_i32_e32 v26, 31, v25
	s_delay_alu instid0(VALU_DEP_2) | instskip(NEXT) | instid1(VALU_DEP_2)
	v_lshlrev_b64 v[3:4], 2, v[3:4]
	v_lshlrev_b64 v[25:26], 2, v[25:26]
	s_delay_alu instid0(VALU_DEP_2) | instskip(NEXT) | instid1(VALU_DEP_3)
	v_add_co_u32 v3, vcc_lo, s18, v3
	v_add_co_ci_u32_e32 v4, vcc_lo, s19, v4, vcc_lo
	s_delay_alu instid0(VALU_DEP_3) | instskip(NEXT) | instid1(VALU_DEP_4)
	v_add_co_u32 v28, vcc_lo, s18, v25
	v_add_co_ci_u32_e32 v29, vcc_lo, s19, v26, vcc_lo
	s_clause 0x1
	global_load_b96 v[25:27], v[3:4], off
	global_load_b96 v[28:30], v[28:29], off
	s_waitcnt vmcnt(0)
	v_fmac_f32_e32 v24, v25, v28
	s_delay_alu instid0(VALU_DEP_1) | instskip(NEXT) | instid1(VALU_DEP_1)
	v_fmac_f32_e32 v24, v26, v29
	v_fmac_f32_e32 v24, v27, v30
	s_delay_alu instid0(VALU_DEP_1)
	v_mov_b32_e32 v25, v24
.LBB4_32:                               ;   in Loop: Header=BB4_28 Depth=2
	s_waitcnt lgkmcnt(0)
	v_mov_b32_e32 v3, s22
	s_and_not1_b32 vcc_lo, exec_lo, s28
	ds_load_2addr_b32 v[3:4], v3 offset0:1 offset1:33
	s_cbranch_vccnz .LBB4_34
; %bb.33:                               ;   in Loop: Header=BB4_28 Depth=2
	s_waitcnt lgkmcnt(0)
	v_add_nc_u32_e32 v26, v3, v5
	v_add_nc_u32_e32 v28, v4, v6
	;; [unrolled: 1-line block ×5, first 2 shown]
	v_ashrrev_i32_e32 v27, 31, v26
	v_ashrrev_i32_e32 v29, 31, v28
	;; [unrolled: 1-line block ×5, first 2 shown]
	v_lshlrev_b64 v[26:27], 2, v[26:27]
	v_lshlrev_b64 v[28:29], 2, v[28:29]
	;; [unrolled: 1-line block ×3, first 2 shown]
	s_delay_alu instid0(VALU_DEP_3) | instskip(NEXT) | instid1(VALU_DEP_4)
	v_add_co_u32 v26, vcc_lo, s18, v26
	v_add_co_ci_u32_e32 v27, vcc_lo, s19, v27, vcc_lo
	s_delay_alu instid0(VALU_DEP_4)
	v_add_co_u32 v28, vcc_lo, s18, v28
	v_add_co_ci_u32_e32 v29, vcc_lo, s19, v29, vcc_lo
	v_add_co_u32 v30, vcc_lo, s18, v30
	s_clause 0x1
	global_load_b32 v24, v[26:27], off
	global_load_b32 v36, v[28:29], off
	v_add_nc_u32_e32 v28, v21, v4
	v_lshlrev_b64 v[26:27], 2, v[32:33]
	v_lshlrev_b64 v[32:33], 2, v[34:35]
	v_add_co_ci_u32_e32 v31, vcc_lo, s19, v31, vcc_lo
	s_delay_alu instid0(VALU_DEP_4) | instskip(NEXT) | instid1(VALU_DEP_4)
	v_ashrrev_i32_e32 v29, 31, v28
	v_add_co_u32 v26, vcc_lo, s18, v26
	v_add_co_ci_u32_e32 v27, vcc_lo, s19, v27, vcc_lo
	s_delay_alu instid0(VALU_DEP_3) | instskip(SKIP_2) | instid1(VALU_DEP_3)
	v_lshlrev_b64 v[28:29], 2, v[28:29]
	v_add_co_u32 v32, vcc_lo, s18, v32
	v_add_co_ci_u32_e32 v33, vcc_lo, s19, v33, vcc_lo
	v_add_co_u32 v28, vcc_lo, s18, v28
	s_delay_alu instid0(VALU_DEP_4)
	v_add_co_ci_u32_e32 v29, vcc_lo, s19, v29, vcc_lo
	s_clause 0x3
	global_load_b32 v30, v[30:31], off
	global_load_b32 v26, v[26:27], off
	;; [unrolled: 1-line block ×4, first 2 shown]
	s_waitcnt vmcnt(4)
	v_fma_f32 v24, v24, v36, v25
	s_waitcnt vmcnt(2)
	s_delay_alu instid0(VALU_DEP_1) | instskip(SKIP_1) | instid1(VALU_DEP_1)
	v_fmac_f32_e32 v24, v30, v26
	s_waitcnt vmcnt(0)
	v_fmac_f32_e32 v24, v27, v28
	s_cbranch_execnz .LBB4_27
	s_branch .LBB4_35
.LBB4_34:                               ;   in Loop: Header=BB4_28 Depth=2
                                        ; implicit-def: $vgpr24
.LBB4_35:                               ;   in Loop: Header=BB4_28 Depth=2
	s_waitcnt lgkmcnt(0)
	v_add_nc_u32_e32 v3, v3, v13
	v_add_nc_u32_e32 v26, v4, v11
	s_delay_alu instid0(VALU_DEP_2) | instskip(NEXT) | instid1(VALU_DEP_2)
	v_ashrrev_i32_e32 v4, 31, v3
	v_ashrrev_i32_e32 v27, 31, v26
	s_delay_alu instid0(VALU_DEP_2) | instskip(NEXT) | instid1(VALU_DEP_2)
	v_lshlrev_b64 v[3:4], 2, v[3:4]
	v_lshlrev_b64 v[26:27], 2, v[26:27]
	s_delay_alu instid0(VALU_DEP_2) | instskip(NEXT) | instid1(VALU_DEP_3)
	v_add_co_u32 v3, vcc_lo, s18, v3
	v_add_co_ci_u32_e32 v4, vcc_lo, s19, v4, vcc_lo
	s_delay_alu instid0(VALU_DEP_3) | instskip(NEXT) | instid1(VALU_DEP_4)
	v_add_co_u32 v29, vcc_lo, s18, v26
	v_add_co_ci_u32_e32 v30, vcc_lo, s19, v27, vcc_lo
	s_clause 0x1
	global_load_b96 v[26:28], v[3:4], off
	global_load_b96 v[29:31], v[29:30], off
	s_waitcnt vmcnt(0)
	v_fmac_f32_e32 v25, v26, v29
	s_delay_alu instid0(VALU_DEP_1) | instskip(NEXT) | instid1(VALU_DEP_1)
	v_fmac_f32_e32 v25, v27, v30
	v_fmac_f32_e32 v25, v28, v31
	s_delay_alu instid0(VALU_DEP_1)
	v_mov_b32_e32 v24, v25
	s_branch .LBB4_27
.LBB4_36:                               ;   in Loop: Header=BB4_9 Depth=1
	s_mov_b32 s21, 0
.LBB4_37:                               ;   in Loop: Header=BB4_9 Depth=1
	s_bitcmp0_b32 s20, 0
	s_cbranch_scc1 .LBB4_43
; %bb.38:                               ;   in Loop: Header=BB4_9 Depth=1
	s_lshl_b32 s20, s21, 2
	s_and_not1_b32 vcc_lo, exec_lo, s28
	s_waitcnt lgkmcnt(0)
	v_mov_b32_e32 v3, s20
	ds_load_2addr_b32 v[3:4], v3 offset1:32
	s_cbranch_vccnz .LBB4_40
; %bb.39:                               ;   in Loop: Header=BB4_9 Depth=1
	s_waitcnt lgkmcnt(0)
	v_add_nc_u32_e32 v25, v3, v5
	v_add_nc_u32_e32 v27, v4, v6
	;; [unrolled: 1-line block ×5, first 2 shown]
	v_ashrrev_i32_e32 v26, 31, v25
	v_ashrrev_i32_e32 v28, 31, v27
	;; [unrolled: 1-line block ×5, first 2 shown]
	v_lshlrev_b64 v[25:26], 2, v[25:26]
	v_lshlrev_b64 v[27:28], 2, v[27:28]
	;; [unrolled: 1-line block ×3, first 2 shown]
	s_delay_alu instid0(VALU_DEP_3) | instskip(NEXT) | instid1(VALU_DEP_4)
	v_add_co_u32 v25, vcc_lo, s18, v25
	v_add_co_ci_u32_e32 v26, vcc_lo, s19, v26, vcc_lo
	s_delay_alu instid0(VALU_DEP_4)
	v_add_co_u32 v27, vcc_lo, s18, v27
	v_add_co_ci_u32_e32 v28, vcc_lo, s19, v28, vcc_lo
	v_add_co_u32 v29, vcc_lo, s18, v29
	s_clause 0x1
	global_load_b32 v35, v[25:26], off
	global_load_b32 v36, v[27:28], off
	v_add_nc_u32_e32 v27, v21, v4
	v_lshlrev_b64 v[25:26], 2, v[31:32]
	v_lshlrev_b64 v[31:32], 2, v[33:34]
	v_add_co_ci_u32_e32 v30, vcc_lo, s19, v30, vcc_lo
	s_delay_alu instid0(VALU_DEP_4) | instskip(NEXT) | instid1(VALU_DEP_4)
	v_ashrrev_i32_e32 v28, 31, v27
	v_add_co_u32 v25, vcc_lo, s18, v25
	v_add_co_ci_u32_e32 v26, vcc_lo, s19, v26, vcc_lo
	s_delay_alu instid0(VALU_DEP_3) | instskip(SKIP_2) | instid1(VALU_DEP_3)
	v_lshlrev_b64 v[27:28], 2, v[27:28]
	v_add_co_u32 v31, vcc_lo, s18, v31
	v_add_co_ci_u32_e32 v32, vcc_lo, s19, v32, vcc_lo
	v_add_co_u32 v27, vcc_lo, s18, v27
	s_delay_alu instid0(VALU_DEP_4)
	v_add_co_ci_u32_e32 v28, vcc_lo, s19, v28, vcc_lo
	s_clause 0x3
	global_load_b32 v29, v[29:30], off
	global_load_b32 v26, v[25:26], off
	;; [unrolled: 1-line block ×4, first 2 shown]
	s_waitcnt vmcnt(4)
	v_fma_f32 v25, v35, v36, v24
	s_waitcnt vmcnt(2)
	s_delay_alu instid0(VALU_DEP_1) | instskip(SKIP_1) | instid1(VALU_DEP_1)
	v_fmac_f32_e32 v25, v29, v26
	s_waitcnt vmcnt(0)
	v_fmac_f32_e32 v25, v30, v27
	s_cbranch_execz .LBB4_41
	s_branch .LBB4_42
.LBB4_40:                               ;   in Loop: Header=BB4_9 Depth=1
                                        ; implicit-def: $vgpr25
.LBB4_41:                               ;   in Loop: Header=BB4_9 Depth=1
	s_waitcnt lgkmcnt(0)
	v_add_nc_u32_e32 v3, v3, v13
	v_add_nc_u32_e32 v25, v4, v11
	s_delay_alu instid0(VALU_DEP_2) | instskip(NEXT) | instid1(VALU_DEP_2)
	v_ashrrev_i32_e32 v4, 31, v3
	v_ashrrev_i32_e32 v26, 31, v25
	s_delay_alu instid0(VALU_DEP_2) | instskip(NEXT) | instid1(VALU_DEP_2)
	v_lshlrev_b64 v[3:4], 2, v[3:4]
	v_lshlrev_b64 v[25:26], 2, v[25:26]
	s_delay_alu instid0(VALU_DEP_2) | instskip(NEXT) | instid1(VALU_DEP_3)
	v_add_co_u32 v3, vcc_lo, s18, v3
	v_add_co_ci_u32_e32 v4, vcc_lo, s19, v4, vcc_lo
	s_delay_alu instid0(VALU_DEP_3) | instskip(NEXT) | instid1(VALU_DEP_4)
	v_add_co_u32 v28, vcc_lo, s18, v25
	v_add_co_ci_u32_e32 v29, vcc_lo, s19, v26, vcc_lo
	s_clause 0x1
	global_load_b96 v[25:27], v[3:4], off
	global_load_b96 v[28:30], v[28:29], off
	s_waitcnt vmcnt(0)
	v_fmac_f32_e32 v24, v25, v28
	s_delay_alu instid0(VALU_DEP_1) | instskip(NEXT) | instid1(VALU_DEP_1)
	v_fmac_f32_e32 v24, v26, v29
	v_fmac_f32_e32 v24, v27, v30
	s_delay_alu instid0(VALU_DEP_1)
	v_mov_b32_e32 v25, v24
.LBB4_42:                               ;   in Loop: Header=BB4_9 Depth=1
	s_delay_alu instid0(VALU_DEP_1)
	v_mov_b32_e32 v24, v25
.LBB4_43:                               ;   in Loop: Header=BB4_9 Depth=1
	ds_store_b32 v22, v24
	s_waitcnt lgkmcnt(0)
	buffer_gl0_inv
	ds_load_b32 v4, v12 offset:384
	ds_load_b32 v3, v15
	s_waitcnt lgkmcnt(1)
	v_cmp_neq_f32_e32 vcc_lo, 0, v4
	v_cndmask_b32_e32 v4, 1.0, v4, vcc_lo
	s_or_b32 s20, vcc_lo, s0
	s_delay_alu instid0(SALU_CYCLE_1) | instskip(NEXT) | instid1(SALU_CYCLE_1)
	s_xor_b32 s21, s20, -1
	s_and_saveexec_b32 s20, s21
	s_cbranch_execz .LBB4_47
; %bb.44:                               ;   in Loop: Header=BB4_9 Depth=1
	v_mbcnt_lo_u32_b32 v4, exec_lo, 0
	s_mov_b32 s21, exec_lo
	s_delay_alu instid0(VALU_DEP_1)
	v_cmpx_eq_u32_e32 0, v4
	s_cbranch_execz .LBB4_46
; %bb.45:                               ;   in Loop: Header=BB4_9 Depth=1
	v_mov_b32_e32 v4, s3
	global_atomic_min_i32 v12, v4, s[10:11]
.LBB4_46:                               ;   in Loop: Header=BB4_9 Depth=1
	s_or_b32 exec_lo, exec_lo, s21
	v_mov_b32_e32 v4, 1.0
.LBB4_47:                               ;   in Loop: Header=BB4_9 Depth=1
	s_or_b32 exec_lo, exec_lo, s20
	ds_load_b32 v24, v17
	s_waitcnt lgkmcnt(0)
	v_sub_f32_e32 v3, v3, v24
	s_delay_alu instid0(VALU_DEP_1) | instskip(SKIP_1) | instid1(VALU_DEP_2)
	v_div_scale_f32 v24, null, v4, v4, v3
	v_div_scale_f32 v27, vcc_lo, v3, v4, v3
	v_rcp_f32_e32 v25, v24
	s_waitcnt_depctr 0xfff
	v_fma_f32 v26, -v24, v25, 1.0
	s_delay_alu instid0(VALU_DEP_1) | instskip(NEXT) | instid1(VALU_DEP_1)
	v_fmac_f32_e32 v25, v26, v25
	v_mul_f32_e32 v26, v27, v25
	s_delay_alu instid0(VALU_DEP_1) | instskip(NEXT) | instid1(VALU_DEP_1)
	v_fma_f32 v28, -v24, v26, v27
	v_fmac_f32_e32 v26, v28, v25
	s_delay_alu instid0(VALU_DEP_1) | instskip(NEXT) | instid1(VALU_DEP_1)
	v_fma_f32 v24, -v24, v26, v27
	v_div_fmas_f32 v24, v24, v25, v26
	s_delay_alu instid0(VALU_DEP_1)
	v_div_fixup_f32 v3, v24, v4, v3
	ds_store_b32 v15, v3
	s_waitcnt lgkmcnt(0)
	s_waitcnt_vscnt null, 0x0
	buffer_gl0_inv
	ds_load_b32 v4, v23
	ds_load_b32 v24, v9
	s_waitcnt lgkmcnt(0)
	v_fmac_f32_e32 v24, v3, v4
	ds_store_b32 v9, v24
	s_waitcnt lgkmcnt(0)
	buffer_gl0_inv
	ds_load_b32 v4, v12 offset:404
	ds_load_b32 v3, v15 offset:4
	s_waitcnt lgkmcnt(1)
	v_cmp_neq_f32_e32 vcc_lo, 0, v4
	v_cndmask_b32_e32 v4, 1.0, v4, vcc_lo
	s_or_b32 s20, vcc_lo, s0
	s_delay_alu instid0(SALU_CYCLE_1) | instskip(NEXT) | instid1(SALU_CYCLE_1)
	s_xor_b32 s21, s20, -1
	s_and_saveexec_b32 s20, s21
	s_cbranch_execz .LBB4_51
; %bb.48:                               ;   in Loop: Header=BB4_9 Depth=1
	v_mbcnt_lo_u32_b32 v4, exec_lo, 0
	s_mov_b32 s21, exec_lo
	s_delay_alu instid0(VALU_DEP_1)
	v_cmpx_eq_u32_e32 0, v4
	s_cbranch_execz .LBB4_50
; %bb.49:                               ;   in Loop: Header=BB4_9 Depth=1
	v_mov_b32_e32 v4, s3
	global_atomic_min_i32 v12, v4, s[10:11]
.LBB4_50:                               ;   in Loop: Header=BB4_9 Depth=1
	s_or_b32 exec_lo, exec_lo, s21
	v_mov_b32_e32 v4, 1.0
.LBB4_51:                               ;   in Loop: Header=BB4_9 Depth=1
	s_or_b32 exec_lo, exec_lo, s20
	ds_load_b32 v24, v15
	ds_load_b32 v25, v12 offset:400
	ds_load_b32 v26, v17 offset:4
	s_waitcnt lgkmcnt(0)
	v_fmac_f32_e32 v26, v25, v24
	s_delay_alu instid0(VALU_DEP_1) | instskip(NEXT) | instid1(VALU_DEP_1)
	v_sub_f32_e32 v3, v3, v26
	v_div_scale_f32 v24, null, v4, v4, v3
	v_div_scale_f32 v27, vcc_lo, v3, v4, v3
	s_delay_alu instid0(VALU_DEP_2) | instskip(SKIP_2) | instid1(VALU_DEP_1)
	v_rcp_f32_e32 v25, v24
	s_waitcnt_depctr 0xfff
	v_fma_f32 v26, -v24, v25, 1.0
	v_fmac_f32_e32 v25, v26, v25
	s_delay_alu instid0(VALU_DEP_1) | instskip(NEXT) | instid1(VALU_DEP_1)
	v_mul_f32_e32 v26, v27, v25
	v_fma_f32 v28, -v24, v26, v27
	s_delay_alu instid0(VALU_DEP_1) | instskip(NEXT) | instid1(VALU_DEP_1)
	v_fmac_f32_e32 v26, v28, v25
	v_fma_f32 v24, -v24, v26, v27
	s_delay_alu instid0(VALU_DEP_1) | instskip(NEXT) | instid1(VALU_DEP_1)
	v_div_fmas_f32 v24, v24, v25, v26
	v_div_fixup_f32 v3, v24, v4, v3
	ds_store_b32 v15, v3 offset:4
	s_waitcnt lgkmcnt(0)
	s_waitcnt_vscnt null, 0x0
	buffer_gl0_inv
	ds_load_b32 v4, v23 offset:4
	ds_load_b32 v24, v9
	s_waitcnt lgkmcnt(0)
	v_fmac_f32_e32 v24, v3, v4
	ds_store_b32 v9, v24
	s_waitcnt lgkmcnt(0)
	buffer_gl0_inv
	ds_load_b32 v4, v12 offset:424
	ds_load_b32 v3, v15 offset:8
	s_waitcnt lgkmcnt(1)
	v_cmp_neq_f32_e32 vcc_lo, 0, v4
	v_cndmask_b32_e32 v4, 1.0, v4, vcc_lo
	s_or_b32 s20, vcc_lo, s0
	s_delay_alu instid0(SALU_CYCLE_1) | instskip(NEXT) | instid1(SALU_CYCLE_1)
	s_xor_b32 s21, s20, -1
	s_and_saveexec_b32 s20, s21
	s_cbranch_execz .LBB4_7
; %bb.52:                               ;   in Loop: Header=BB4_9 Depth=1
	v_mbcnt_lo_u32_b32 v4, exec_lo, 0
	s_mov_b32 s21, exec_lo
	s_delay_alu instid0(VALU_DEP_1)
	v_cmpx_eq_u32_e32 0, v4
	s_cbranch_execz .LBB4_6
; %bb.53:                               ;   in Loop: Header=BB4_9 Depth=1
	v_mov_b32_e32 v4, s3
	global_atomic_min_i32 v12, v4, s[10:11]
	s_branch .LBB4_6
.LBB4_54:
	v_mov_b32_e32 v0, v7
	s_cmp_lg_u32 s1, 0
	s_cselect_b32 s2, -1, 0
	s_cmp_eq_u32 s1, 0
	s_cbranch_scc1 .LBB4_56
; %bb.55:
	v_mad_u32_u24 v0, v5, 3, v6
.LBB4_56:
	s_mul_i32 s26, s26, 9
	s_mov_b32 s3, exec_lo
	s_delay_alu instid0(VALU_DEP_1) | instskip(NEXT) | instid1(VALU_DEP_1)
	v_add_nc_u32_e32 v0, s26, v0
	v_ashrrev_i32_e32 v1, 31, v0
	s_delay_alu instid0(VALU_DEP_1) | instskip(NEXT) | instid1(VALU_DEP_1)
	v_lshlrev_b64 v[0:1], 2, v[0:1]
	v_add_co_u32 v0, vcc_lo, s18, v0
	s_delay_alu instid0(VALU_DEP_2)
	v_add_co_ci_u32_e32 v1, vcc_lo, s19, v1, vcc_lo
	v_cmp_ne_u32_e32 vcc_lo, 0, v6
	global_load_b32 v0, v[0:1], off
	s_waitcnt vmcnt(0)
	ds_store_b32 v10, v0 offset:480
	s_waitcnt lgkmcnt(0)
	buffer_gl0_inv
	v_cmpx_eq_u32_e32 0, v6
	s_cbranch_execz .LBB4_58
; %bb.57:
	v_mov_b32_e32 v2, 0
	ds_load_2addr_b32 v[0:1], v2 offset0:120 offset1:132
	s_waitcnt lgkmcnt(0)
	v_sub_f32_e32 v0, v0, v1
	s_delay_alu instid0(VALU_DEP_1) | instskip(NEXT) | instid1(VALU_DEP_1)
	v_cmp_gt_f32_e64 s0, 0, v0
	v_cndmask_b32_e64 v0, v0, -v0, s0
	s_delay_alu instid0(VALU_DEP_1) | instskip(SKIP_1) | instid1(VALU_DEP_1)
	v_mul_f32_e32 v1, 0x4f800000, v0
	v_cmp_gt_f32_e64 s0, 0xf800000, v0
	v_cndmask_b32_e64 v0, v0, v1, s0
	s_delay_alu instid0(VALU_DEP_1) | instskip(SKIP_3) | instid1(VALU_DEP_2)
	v_sqrt_f32_e32 v1, v0
	s_waitcnt_depctr 0xfff
	v_add_nc_u32_e32 v3, -1, v1
	v_add_nc_u32_e32 v4, 1, v1
	v_fma_f32 v11, -v3, v1, v0
	s_delay_alu instid0(VALU_DEP_2) | instskip(NEXT) | instid1(VALU_DEP_2)
	v_fma_f32 v12, -v4, v1, v0
	v_cmp_ge_f32_e64 s1, 0, v11
	s_delay_alu instid0(VALU_DEP_1) | instskip(NEXT) | instid1(VALU_DEP_3)
	v_cndmask_b32_e64 v1, v1, v3, s1
	v_cmp_lt_f32_e64 s1, 0, v12
	s_delay_alu instid0(VALU_DEP_1) | instskip(NEXT) | instid1(VALU_DEP_1)
	v_cndmask_b32_e64 v1, v1, v4, s1
	v_mul_f32_e32 v3, 0x37800000, v1
	s_delay_alu instid0(VALU_DEP_1) | instskip(SKIP_1) | instid1(VALU_DEP_1)
	v_cndmask_b32_e64 v1, v1, v3, s0
	v_cmp_class_f32_e64 s0, v0, 0x260
	v_cndmask_b32_e64 v0, v1, v0, s0
	ds_store_b32 v2, v0 offset:480
.LBB4_58:
	s_or_b32 exec_lo, exec_lo, s3
	v_mov_b32_e32 v0, 0
	s_waitcnt lgkmcnt(0)
	buffer_gl0_inv
	s_add_i32 s3, s16, s17
	ds_load_b32 v1, v0 offset:480
	v_or_b32_e32 v0, v5, v6
	s_delay_alu instid0(VALU_DEP_1) | instskip(SKIP_2) | instid1(VALU_DEP_1)
	v_cmp_ne_u32_e64 s0, 0, v0
	s_waitcnt lgkmcnt(0)
	v_cmp_neq_f32_e64 s1, 0, v1
	v_cndmask_b32_e64 v1, 1.0, v1, s1
	s_delay_alu instid0(VALU_DEP_3) | instskip(NEXT) | instid1(SALU_CYCLE_1)
	s_or_b32 s1, s1, s0
	s_xor_b32 s1, s1, -1
	s_delay_alu instid0(SALU_CYCLE_1)
	s_and_saveexec_b32 s4, s1
	s_cbranch_execz .LBB4_62
; %bb.59:
	v_mbcnt_lo_u32_b32 v1, exec_lo, 0
	s_mov_b32 s5, exec_lo
	s_delay_alu instid0(VALU_DEP_1)
	v_cmpx_eq_u32_e32 0, v1
	s_cbranch_execz .LBB4_61
; %bb.60:
	v_dual_mov_b32 v1, 0 :: v_dual_mov_b32 v2, s3
	global_atomic_min_i32 v1, v2, s[10:11]
.LBB4_61:
	s_or_b32 exec_lo, exec_lo, s5
	v_mov_b32_e32 v1, 1.0
.LBB4_62:
	s_or_b32 exec_lo, exec_lo, s4
	s_and_saveexec_b32 s1, vcc_lo
	s_cbranch_execz .LBB4_64
; %bb.63:
	v_lshlrev_b32_e32 v4, 4, v6
	ds_load_2addr_b32 v[2:3], v4 offset0:120 offset1:132
	s_waitcnt lgkmcnt(0)
	v_sub_f32_e32 v2, v2, v3
	s_delay_alu instid0(VALU_DEP_1) | instskip(SKIP_1) | instid1(VALU_DEP_2)
	v_div_scale_f32 v3, null, v1, v1, v2
	v_div_scale_f32 v13, vcc_lo, v2, v1, v2
	v_rcp_f32_e32 v11, v3
	s_waitcnt_depctr 0xfff
	v_fma_f32 v12, -v3, v11, 1.0
	s_delay_alu instid0(VALU_DEP_1) | instskip(NEXT) | instid1(VALU_DEP_1)
	v_fmac_f32_e32 v11, v12, v11
	v_mul_f32_e32 v12, v13, v11
	s_delay_alu instid0(VALU_DEP_1) | instskip(NEXT) | instid1(VALU_DEP_1)
	v_fma_f32 v14, -v3, v12, v13
	v_fmac_f32_e32 v12, v14, v11
	s_delay_alu instid0(VALU_DEP_1) | instskip(NEXT) | instid1(VALU_DEP_1)
	v_fma_f32 v3, -v3, v12, v13
	v_div_fmas_f32 v3, v3, v11, v12
	s_delay_alu instid0(VALU_DEP_1)
	v_div_fixup_f32 v1, v3, v1, v2
	v_lshlrev_b32_e32 v2, 4, v5
	ds_store_b32 v4, v1 offset:480
	s_waitcnt lgkmcnt(0)
	s_waitcnt_vscnt null, 0x0
	buffer_gl0_inv
	ds_load_b32 v2, v2 offset:480
	ds_load_b32 v3, v9
	s_waitcnt lgkmcnt(0)
	v_fmac_f32_e32 v3, v1, v2
	ds_store_b32 v9, v3
.LBB4_64:
	s_or_b32 exec_lo, exec_lo, s1
	s_delay_alu instid0(SALU_CYCLE_1)
	s_mov_b32 s4, exec_lo
	s_waitcnt lgkmcnt(0)
	s_waitcnt_vscnt null, 0x0
	buffer_gl0_inv
	v_cmpx_eq_u32_e32 1, v6
	s_cbranch_execz .LBB4_66
; %bb.65:
	v_mov_b32_e32 v3, 0
	ds_load_2addr_b32 v[1:2], v3 offset0:125 offset1:137
	s_waitcnt lgkmcnt(0)
	v_sub_f32_e32 v1, v1, v2
	s_delay_alu instid0(VALU_DEP_1) | instskip(SKIP_1) | instid1(VALU_DEP_1)
	v_cmp_gt_f32_e32 vcc_lo, 0, v1
	v_cndmask_b32_e64 v1, v1, -v1, vcc_lo
	v_mul_f32_e32 v2, 0x4f800000, v1
	v_cmp_gt_f32_e32 vcc_lo, 0xf800000, v1
	s_delay_alu instid0(VALU_DEP_2) | instskip(NEXT) | instid1(VALU_DEP_1)
	v_cndmask_b32_e32 v1, v1, v2, vcc_lo
	v_sqrt_f32_e32 v2, v1
	s_waitcnt_depctr 0xfff
	v_add_nc_u32_e32 v4, -1, v2
	v_add_nc_u32_e32 v11, 1, v2
	s_delay_alu instid0(VALU_DEP_2) | instskip(NEXT) | instid1(VALU_DEP_2)
	v_fma_f32 v12, -v4, v2, v1
	v_fma_f32 v13, -v11, v2, v1
	s_delay_alu instid0(VALU_DEP_2) | instskip(NEXT) | instid1(VALU_DEP_1)
	v_cmp_ge_f32_e64 s1, 0, v12
	v_cndmask_b32_e64 v2, v2, v4, s1
	s_delay_alu instid0(VALU_DEP_3) | instskip(NEXT) | instid1(VALU_DEP_1)
	v_cmp_lt_f32_e64 s1, 0, v13
	v_cndmask_b32_e64 v2, v2, v11, s1
	s_delay_alu instid0(VALU_DEP_1) | instskip(NEXT) | instid1(VALU_DEP_1)
	v_mul_f32_e32 v4, 0x37800000, v2
	v_cndmask_b32_e32 v2, v2, v4, vcc_lo
	v_cmp_class_f32_e64 vcc_lo, v1, 0x260
	s_delay_alu instid0(VALU_DEP_2)
	v_cndmask_b32_e32 v1, v2, v1, vcc_lo
	ds_store_b32 v3, v1 offset:500
.LBB4_66:
	s_or_b32 exec_lo, exec_lo, s4
	v_mov_b32_e32 v1, 0
	s_waitcnt lgkmcnt(0)
	buffer_gl0_inv
	ds_load_b32 v1, v1 offset:500
	s_waitcnt lgkmcnt(0)
	v_cmp_neq_f32_e32 vcc_lo, 0, v1
	v_cndmask_b32_e32 v1, 1.0, v1, vcc_lo
	s_or_b32 s1, vcc_lo, s0
	s_delay_alu instid0(SALU_CYCLE_1) | instskip(NEXT) | instid1(SALU_CYCLE_1)
	s_xor_b32 s4, s1, -1
	s_and_saveexec_b32 s1, s4
	s_cbranch_execz .LBB4_70
; %bb.67:
	v_mbcnt_lo_u32_b32 v1, exec_lo, 0
	s_mov_b32 s4, exec_lo
	s_delay_alu instid0(VALU_DEP_1)
	v_cmpx_eq_u32_e32 0, v1
	s_cbranch_execz .LBB4_69
; %bb.68:
	v_dual_mov_b32 v1, 0 :: v_dual_mov_b32 v2, s3
	global_atomic_min_i32 v1, v2, s[10:11]
.LBB4_69:
	s_or_b32 exec_lo, exec_lo, s4
	v_mov_b32_e32 v1, 1.0
.LBB4_70:
	s_or_b32 exec_lo, exec_lo, s1
	s_delay_alu instid0(SALU_CYCLE_1)
	s_mov_b32 s1, exec_lo
	v_cmpx_lt_u32_e32 1, v6
	s_cbranch_execz .LBB4_72
; %bb.71:
	v_lshlrev_b32_e32 v4, 4, v6
	ds_load_2addr_b32 v[2:3], v4 offset0:121 offset1:133
	s_waitcnt lgkmcnt(0)
	v_sub_f32_e32 v2, v2, v3
	s_delay_alu instid0(VALU_DEP_1) | instskip(SKIP_1) | instid1(VALU_DEP_2)
	v_div_scale_f32 v3, null, v1, v1, v2
	v_div_scale_f32 v13, vcc_lo, v2, v1, v2
	v_rcp_f32_e32 v11, v3
	s_waitcnt_depctr 0xfff
	v_fma_f32 v12, -v3, v11, 1.0
	s_delay_alu instid0(VALU_DEP_1) | instskip(NEXT) | instid1(VALU_DEP_1)
	v_fmac_f32_e32 v11, v12, v11
	v_mul_f32_e32 v12, v13, v11
	s_delay_alu instid0(VALU_DEP_1) | instskip(NEXT) | instid1(VALU_DEP_1)
	v_fma_f32 v14, -v3, v12, v13
	v_fmac_f32_e32 v12, v14, v11
	s_delay_alu instid0(VALU_DEP_1) | instskip(NEXT) | instid1(VALU_DEP_1)
	v_fma_f32 v3, -v3, v12, v13
	v_div_fmas_f32 v3, v3, v11, v12
	s_delay_alu instid0(VALU_DEP_1)
	v_div_fixup_f32 v1, v3, v1, v2
	v_lshlrev_b32_e32 v2, 4, v5
	ds_store_b32 v4, v1 offset:484
	s_waitcnt lgkmcnt(0)
	s_waitcnt_vscnt null, 0x0
	buffer_gl0_inv
	ds_load_b32 v2, v2 offset:484
	ds_load_b32 v3, v9
	s_waitcnt lgkmcnt(0)
	v_fmac_f32_e32 v3, v1, v2
	ds_store_b32 v9, v3
.LBB4_72:
	s_or_b32 exec_lo, exec_lo, s1
	s_delay_alu instid0(SALU_CYCLE_1)
	s_mov_b32 s4, exec_lo
	s_waitcnt lgkmcnt(0)
	s_waitcnt_vscnt null, 0x0
	buffer_gl0_inv
	v_cmpx_eq_u32_e32 2, v6
	s_cbranch_execz .LBB4_74
; %bb.73:
	v_mov_b32_e32 v3, 0
	ds_load_2addr_b32 v[1:2], v3 offset0:130 offset1:142
	s_waitcnt lgkmcnt(0)
	v_sub_f32_e32 v1, v1, v2
	s_delay_alu instid0(VALU_DEP_1) | instskip(SKIP_1) | instid1(VALU_DEP_1)
	v_cmp_gt_f32_e32 vcc_lo, 0, v1
	v_cndmask_b32_e64 v1, v1, -v1, vcc_lo
	v_mul_f32_e32 v2, 0x4f800000, v1
	v_cmp_gt_f32_e32 vcc_lo, 0xf800000, v1
	s_delay_alu instid0(VALU_DEP_2) | instskip(NEXT) | instid1(VALU_DEP_1)
	v_cndmask_b32_e32 v1, v1, v2, vcc_lo
	v_sqrt_f32_e32 v2, v1
	s_waitcnt_depctr 0xfff
	v_add_nc_u32_e32 v4, -1, v2
	v_add_nc_u32_e32 v11, 1, v2
	s_delay_alu instid0(VALU_DEP_2) | instskip(NEXT) | instid1(VALU_DEP_2)
	v_fma_f32 v12, -v4, v2, v1
	v_fma_f32 v13, -v11, v2, v1
	s_delay_alu instid0(VALU_DEP_2) | instskip(NEXT) | instid1(VALU_DEP_1)
	v_cmp_ge_f32_e64 s1, 0, v12
	v_cndmask_b32_e64 v2, v2, v4, s1
	s_delay_alu instid0(VALU_DEP_3) | instskip(NEXT) | instid1(VALU_DEP_1)
	v_cmp_lt_f32_e64 s1, 0, v13
	v_cndmask_b32_e64 v2, v2, v11, s1
	s_delay_alu instid0(VALU_DEP_1) | instskip(NEXT) | instid1(VALU_DEP_1)
	v_mul_f32_e32 v4, 0x37800000, v2
	v_cndmask_b32_e32 v2, v2, v4, vcc_lo
	v_cmp_class_f32_e64 vcc_lo, v1, 0x260
	s_delay_alu instid0(VALU_DEP_2)
	v_cndmask_b32_e32 v1, v2, v1, vcc_lo
	ds_store_b32 v3, v1 offset:520
.LBB4_74:
	s_or_b32 exec_lo, exec_lo, s4
	v_mov_b32_e32 v1, 0
	s_waitcnt lgkmcnt(0)
	buffer_gl0_inv
	ds_load_b32 v1, v1 offset:520
	s_waitcnt lgkmcnt(0)
	v_cmp_neq_f32_e32 vcc_lo, 0, v1
	v_cndmask_b32_e32 v2, 1.0, v1, vcc_lo
	s_or_b32 s0, vcc_lo, s0
	s_delay_alu instid0(SALU_CYCLE_1) | instskip(NEXT) | instid1(SALU_CYCLE_1)
	s_xor_b32 s1, s0, -1
	s_and_saveexec_b32 s0, s1
	s_cbranch_execz .LBB4_78
; %bb.75:
	v_mbcnt_lo_u32_b32 v1, exec_lo, 0
	s_mov_b32 s1, exec_lo
	s_delay_alu instid0(VALU_DEP_1)
	v_cmpx_eq_u32_e32 0, v1
	s_cbranch_execz .LBB4_77
; %bb.76:
	v_dual_mov_b32 v1, 0 :: v_dual_mov_b32 v2, s3
	global_atomic_min_i32 v1, v2, s[10:11]
.LBB4_77:
	s_or_b32 exec_lo, exec_lo, s1
	v_mov_b32_e32 v2, 1.0
.LBB4_78:
	s_or_b32 exec_lo, exec_lo, s0
	v_add_nc_u32_e32 v1, 0x1e0, v10
	s_mov_b32 s0, exec_lo
	v_cmpx_lt_u32_e32 2, v6
	s_cbranch_execz .LBB4_80
; %bb.79:
	v_lshlrev_b32_e32 v10, 4, v6
	ds_load_2addr_b32 v[3:4], v10 offset0:122 offset1:134
	s_waitcnt lgkmcnt(0)
	v_sub_f32_e32 v3, v3, v4
	s_delay_alu instid0(VALU_DEP_1) | instskip(SKIP_1) | instid1(VALU_DEP_2)
	v_div_scale_f32 v4, null, v2, v2, v3
	v_div_scale_f32 v13, vcc_lo, v3, v2, v3
	v_rcp_f32_e32 v11, v4
	s_waitcnt_depctr 0xfff
	v_fma_f32 v12, -v4, v11, 1.0
	s_delay_alu instid0(VALU_DEP_1) | instskip(NEXT) | instid1(VALU_DEP_1)
	v_fmac_f32_e32 v11, v12, v11
	v_mul_f32_e32 v12, v13, v11
	s_delay_alu instid0(VALU_DEP_1) | instskip(NEXT) | instid1(VALU_DEP_1)
	v_fma_f32 v14, -v4, v12, v13
	v_fmac_f32_e32 v12, v14, v11
	s_delay_alu instid0(VALU_DEP_1) | instskip(NEXT) | instid1(VALU_DEP_1)
	v_fma_f32 v4, -v4, v12, v13
	v_div_fmas_f32 v4, v4, v11, v12
	s_delay_alu instid0(VALU_DEP_1)
	v_div_fixup_f32 v2, v4, v2, v3
	v_lshlrev_b32_e32 v3, 4, v5
	ds_store_b32 v10, v2 offset:488
	s_waitcnt lgkmcnt(0)
	s_waitcnt_vscnt null, 0x0
	buffer_gl0_inv
	ds_load_b32 v3, v3 offset:488
	ds_load_b32 v4, v9
	s_waitcnt lgkmcnt(0)
	v_fmac_f32_e32 v4, v2, v3
	ds_store_b32 v9, v4
.LBB4_80:
	s_or_b32 exec_lo, exec_lo, s0
	s_waitcnt lgkmcnt(0)
	s_waitcnt_vscnt null, 0x0
	buffer_gl0_inv
	ds_load_b32 v1, v1
	s_and_not1_b32 vcc_lo, exec_lo, s2
	s_cbranch_vccnz .LBB4_82
; %bb.81:
	v_mov_b32_e32 v7, v8
.LBB4_82:
	s_delay_alu instid0(VALU_DEP_1) | instskip(SKIP_1) | instid1(VALU_DEP_2)
	v_add_nc_u32_e32 v2, s26, v7
	v_cmp_eq_u32_e64 s3, 0, v0
	v_ashrrev_i32_e32 v3, 31, v2
	s_delay_alu instid0(VALU_DEP_1) | instskip(NEXT) | instid1(VALU_DEP_1)
	v_lshlrev_b64 v[2:3], 2, v[2:3]
	v_add_co_u32 v2, vcc_lo, s18, v2
	s_delay_alu instid0(VALU_DEP_2)
	v_add_co_ci_u32_e32 v3, vcc_lo, s19, v3, vcc_lo
	s_waitcnt lgkmcnt(0)
	global_store_b32 v[2:3], v1, off
.LBB4_83:
	s_and_saveexec_b32 s0, s3
	s_cbranch_execnz .LBB4_91
.LBB4_84:
	s_nop 0
	s_sendmsg sendmsg(MSG_DEALLOC_VGPRS)
	s_endpgm
.LBB4_85:
	s_cbranch_execz .LBB4_83
; %bb.86:
	v_or_b32_e32 v0, v5, v6
	s_mov_b32 s0, exec_lo
	s_delay_alu instid0(VALU_DEP_1)
	v_cmpx_eq_u32_e32 0, v0
	s_cbranch_execz .LBB4_90
; %bb.87:
	v_mbcnt_lo_u32_b32 v0, exec_lo, 0
	s_mov_b32 s1, exec_lo
	s_delay_alu instid0(VALU_DEP_1)
	v_cmpx_eq_u32_e32 0, v0
	s_cbranch_execz .LBB4_89
; %bb.88:
	s_add_i32 s2, s16, s17
	s_delay_alu instid0(SALU_CYCLE_1)
	v_dual_mov_b32 v0, 0 :: v_dual_mov_b32 v1, s2
	global_atomic_min_i32 v0, v1, s[10:11]
.LBB4_89:
	s_or_b32 exec_lo, exec_lo, s1
	s_delay_alu instid0(SALU_CYCLE_1)
	s_or_b32 s3, s3, exec_lo
.LBB4_90:
	s_or_b32 exec_lo, exec_lo, s0
	s_and_saveexec_b32 s0, s3
	s_cbranch_execz .LBB4_84
.LBB4_91:
	v_dual_mov_b32 v0, 0 :: v_dual_mov_b32 v1, 1
	s_add_u32 s0, s6, s8
	s_addc_u32 s1, s7, s9
	s_waitcnt_vscnt null, 0x0
	global_store_b32 v0, v1, s[0:1]
	s_nop 0
	s_sendmsg sendmsg(MSG_DEALLOC_VGPRS)
	s_endpgm
	.section	.rodata,"a",@progbits
	.p2align	6, 0x0
	.amdhsa_kernel _ZN9rocsparseL26bsric0_2_8_unrolled_kernelILi9ELi32ELi3EfEEv20rocsparse_direction_iiPKiS3_PT2_S3_PiS3_S6_21rocsparse_index_base_
		.amdhsa_group_segment_fixed_size 576
		.amdhsa_private_segment_fixed_size 0
		.amdhsa_kernarg_size 76
		.amdhsa_user_sgpr_count 15
		.amdhsa_user_sgpr_dispatch_ptr 0
		.amdhsa_user_sgpr_queue_ptr 0
		.amdhsa_user_sgpr_kernarg_segment_ptr 1
		.amdhsa_user_sgpr_dispatch_id 0
		.amdhsa_user_sgpr_private_segment_size 0
		.amdhsa_wavefront_size32 1
		.amdhsa_uses_dynamic_stack 0
		.amdhsa_enable_private_segment 0
		.amdhsa_system_sgpr_workgroup_id_x 1
		.amdhsa_system_sgpr_workgroup_id_y 0
		.amdhsa_system_sgpr_workgroup_id_z 0
		.amdhsa_system_sgpr_workgroup_info 0
		.amdhsa_system_vgpr_workitem_id 1
		.amdhsa_next_free_vgpr 37
		.amdhsa_next_free_sgpr 37
		.amdhsa_reserve_vcc 1
		.amdhsa_float_round_mode_32 0
		.amdhsa_float_round_mode_16_64 0
		.amdhsa_float_denorm_mode_32 3
		.amdhsa_float_denorm_mode_16_64 3
		.amdhsa_dx10_clamp 1
		.amdhsa_ieee_mode 1
		.amdhsa_fp16_overflow 0
		.amdhsa_workgroup_processor_mode 1
		.amdhsa_memory_ordered 1
		.amdhsa_forward_progress 0
		.amdhsa_shared_vgpr_count 0
		.amdhsa_exception_fp_ieee_invalid_op 0
		.amdhsa_exception_fp_denorm_src 0
		.amdhsa_exception_fp_ieee_div_zero 0
		.amdhsa_exception_fp_ieee_overflow 0
		.amdhsa_exception_fp_ieee_underflow 0
		.amdhsa_exception_fp_ieee_inexact 0
		.amdhsa_exception_int_div_zero 0
	.end_amdhsa_kernel
	.section	.text._ZN9rocsparseL26bsric0_2_8_unrolled_kernelILi9ELi32ELi3EfEEv20rocsparse_direction_iiPKiS3_PT2_S3_PiS3_S6_21rocsparse_index_base_,"axG",@progbits,_ZN9rocsparseL26bsric0_2_8_unrolled_kernelILi9ELi32ELi3EfEEv20rocsparse_direction_iiPKiS3_PT2_S3_PiS3_S6_21rocsparse_index_base_,comdat
.Lfunc_end4:
	.size	_ZN9rocsparseL26bsric0_2_8_unrolled_kernelILi9ELi32ELi3EfEEv20rocsparse_direction_iiPKiS3_PT2_S3_PiS3_S6_21rocsparse_index_base_, .Lfunc_end4-_ZN9rocsparseL26bsric0_2_8_unrolled_kernelILi9ELi32ELi3EfEEv20rocsparse_direction_iiPKiS3_PT2_S3_PiS3_S6_21rocsparse_index_base_
                                        ; -- End function
	.section	.AMDGPU.csdata,"",@progbits
; Kernel info:
; codeLenInByte = 5392
; NumSgprs: 39
; NumVgprs: 37
; ScratchSize: 0
; MemoryBound: 0
; FloatMode: 240
; IeeeMode: 1
; LDSByteSize: 576 bytes/workgroup (compile time only)
; SGPRBlocks: 4
; VGPRBlocks: 4
; NumSGPRsForWavesPerEU: 39
; NumVGPRsForWavesPerEU: 37
; Occupancy: 16
; WaveLimiterHint : 1
; COMPUTE_PGM_RSRC2:SCRATCH_EN: 0
; COMPUTE_PGM_RSRC2:USER_SGPR: 15
; COMPUTE_PGM_RSRC2:TRAP_HANDLER: 0
; COMPUTE_PGM_RSRC2:TGID_X_EN: 1
; COMPUTE_PGM_RSRC2:TGID_Y_EN: 0
; COMPUTE_PGM_RSRC2:TGID_Z_EN: 0
; COMPUTE_PGM_RSRC2:TIDIG_COMP_CNT: 1
	.section	.text._ZN9rocsparseL26bsric0_2_8_unrolled_kernelILi16ELi32ELi4EfEEv20rocsparse_direction_iiPKiS3_PT2_S3_PiS3_S6_21rocsparse_index_base_,"axG",@progbits,_ZN9rocsparseL26bsric0_2_8_unrolled_kernelILi16ELi32ELi4EfEEv20rocsparse_direction_iiPKiS3_PT2_S3_PiS3_S6_21rocsparse_index_base_,comdat
	.globl	_ZN9rocsparseL26bsric0_2_8_unrolled_kernelILi16ELi32ELi4EfEEv20rocsparse_direction_iiPKiS3_PT2_S3_PiS3_S6_21rocsparse_index_base_ ; -- Begin function _ZN9rocsparseL26bsric0_2_8_unrolled_kernelILi16ELi32ELi4EfEEv20rocsparse_direction_iiPKiS3_PT2_S3_PiS3_S6_21rocsparse_index_base_
	.p2align	8
	.type	_ZN9rocsparseL26bsric0_2_8_unrolled_kernelILi16ELi32ELi4EfEEv20rocsparse_direction_iiPKiS3_PT2_S3_PiS3_S6_21rocsparse_index_base_,@function
_ZN9rocsparseL26bsric0_2_8_unrolled_kernelILi16ELi32ELi4EfEEv20rocsparse_direction_iiPKiS3_PT2_S3_PiS3_S6_21rocsparse_index_base_: ; @_ZN9rocsparseL26bsric0_2_8_unrolled_kernelILi16ELi32ELi4EfEEv20rocsparse_direction_iiPKiS3_PT2_S3_PiS3_S6_21rocsparse_index_base_
; %bb.0:
	s_load_b256 s[4:11], s[0:1], 0x28
	s_mov_b32 s2, s15
	s_mov_b32 s3, 0
	v_and_b32_e32 v4, 0x3ff, v0
	s_lshl_b64 s[12:13], s[2:3], 2
	v_bfe_u32 v5, v0, 10, 10
	s_waitcnt lgkmcnt(0)
	s_add_u32 s8, s8, s12
	s_addc_u32 s9, s9, s13
	s_load_b32 s16, s[8:9], 0x0
	s_waitcnt lgkmcnt(0)
	s_ashr_i32 s17, s16, 31
	s_delay_alu instid0(SALU_CYCLE_1) | instskip(NEXT) | instid1(SALU_CYCLE_1)
	s_lshl_b64 s[8:9], s[16:17], 2
	s_add_u32 s12, s4, s8
	s_addc_u32 s13, s5, s9
	s_load_b32 s26, s[12:13], 0x0
	s_load_b32 s17, s[0:1], 0x48
	s_waitcnt lgkmcnt(0)
	s_cmp_lg_u32 s26, -1
	s_cbranch_scc0 .LBB5_6
; %bb.1:
	s_clause 0x1
	s_load_b128 s[12:15], s[0:1], 0x10
	s_load_b64 s[18:19], s[0:1], 0x20
	v_lshlrev_b32_e32 v10, 2, v5
	v_lshlrev_b32_e32 v11, 2, v4
	s_delay_alu instid0(VALU_DEP_2)
	v_add_nc_u32_e32 v9, v10, v4
	s_waitcnt lgkmcnt(0)
	s_add_u32 s2, s12, s8
	s_addc_u32 s3, s13, s9
	s_load_b32 s2, s[2:3], 0x0
	s_mov_b32 s3, exec_lo
	s_waitcnt lgkmcnt(0)
	s_sub_i32 s27, s2, s17
	s_delay_alu instid0(SALU_CYCLE_1) | instskip(NEXT) | instid1(VALU_DEP_1)
	v_add_nc_u32_e32 v0, s27, v9
	v_cmpx_ge_i32_e64 s26, v0
	s_cbranch_execz .LBB5_4
; %bb.2:
	v_ashrrev_i32_e32 v1, 31, v0
	v_lshlrev_b32_e32 v3, 4, v5
	s_mov_b32 s20, 0
	s_delay_alu instid0(VALU_DEP_2) | instskip(NEXT) | instid1(VALU_DEP_2)
	v_lshlrev_b64 v[1:2], 2, v[0:1]
	v_add3_u32 v3, v3, v11, 0x100
	s_delay_alu instid0(VALU_DEP_2) | instskip(NEXT) | instid1(VALU_DEP_3)
	v_add_co_u32 v1, vcc_lo, s14, v1
	v_add_co_ci_u32_e32 v2, vcc_lo, s15, v2, vcc_lo
.LBB5_3:                                ; =>This Inner Loop Header: Depth=1
	global_load_b32 v6, v[1:2], off
	v_add_nc_u32_e32 v0, 16, v0
	v_add_co_u32 v1, vcc_lo, v1, 64
	v_add_co_ci_u32_e32 v2, vcc_lo, 0, v2, vcc_lo
	s_delay_alu instid0(VALU_DEP_3) | instskip(NEXT) | instid1(VALU_DEP_1)
	v_cmp_lt_i32_e64 s2, s26, v0
	s_or_b32 s20, s2, s20
	s_waitcnt vmcnt(0)
	v_subrev_nc_u32_e32 v6, s17, v6
	ds_store_b32 v3, v6
	v_add_nc_u32_e32 v3, 64, v3
	s_and_not1_b32 exec_lo, exec_lo, s20
	s_cbranch_execnz .LBB5_3
.LBB5_4:
	s_or_b32 exec_lo, exec_lo, s3
	v_mad_u32_u24 v8, v5, 20, v11
	v_mov_b32_e32 v0, 0
	s_cmp_lt_i32 s27, s26
	ds_store_b32 v8, v0 offset:624
	s_waitcnt lgkmcnt(0)
	buffer_gl0_inv
	s_cbranch_scc1 .LBB5_7
; %bb.5:
	v_lshl_add_u32 v12, v4, 2, v5
	v_or_b32_e32 v6, v4, v5
	s_load_b32 s1, s[0:1], 0x0
	v_add_nc_u32_e32 v7, 0x270, v8
	s_cbranch_execz .LBB5_8
	s_branch .LBB5_49
.LBB5_6:
	s_cbranch_execnz .LBB5_82
	s_branch .LBB5_87
.LBB5_7:
                                        ; implicit-def: $vgpr12
                                        ; implicit-def: $vgpr6
	s_load_b32 s1, s[0:1], 0x0
	v_add_nc_u32_e32 v7, 0x270, v8
.LBB5_8:
	v_add_nc_u32_e32 v12, v11, v5
	v_mad_u32_u24 v13, v5, 20, 0x220
	v_mul_u32_u24_e32 v0, 20, v5
	v_mad_u32_u24 v14, v5, 20, 0x1d0
	v_or_b32_e32 v6, v4, v5
	s_waitcnt lgkmcnt(0)
	s_cmp_eq_u32 s1, 0
	v_dual_mov_b32 v20, 0 :: v_dual_add_nc_u32 v15, v13, v11
	s_cselect_b32 vcc_lo, -1, 0
	v_add3_u32 v16, v0, v11, 0x180
	v_add_nc_u32_e32 v17, v14, v11
	v_cmp_ne_u32_e64 s0, 0, v6
	v_mad_u32_u24 v18, v4, 20, 0x220
	v_cndmask_b32_e32 v19, v12, v9, vcc_lo
	s_cmp_lg_u32 s1, 0
	s_mov_b32 s2, s27
	s_cselect_b32 s28, -1, 0
	s_branch .LBB5_12
.LBB5_9:                                ;   in Loop: Header=BB5_12 Depth=1
	s_or_b32 exec_lo, exec_lo, s21
	v_mov_b32_e32 v3, 1.0
.LBB5_10:                               ;   in Loop: Header=BB5_12 Depth=1
	s_or_b32 exec_lo, exec_lo, s20
	ds_load_2addr_b32 v[21:22], v20 offset0:111 offset1:112
	ds_load_b32 v25, v14 offset:12
	ds_load_2addr_b32 v[23:24], v13 offset1:1
	ds_load_b32 v26, v13 offset:8
	ds_load_b32 v27, v20 offset:452
	s_add_i32 s2, s2, 1
	s_delay_alu instid0(SALU_CYCLE_1) | instskip(SKIP_3) | instid1(VALU_DEP_1)
	s_cmp_ge_i32 s2, s26
	s_cselect_b32 s24, -1, 0
	s_waitcnt lgkmcnt(2)
	v_fmac_f32_e32 v25, v21, v23
	v_fmac_f32_e32 v25, v22, v24
	s_waitcnt lgkmcnt(0)
	s_delay_alu instid0(VALU_DEP_1) | instskip(NEXT) | instid1(VALU_DEP_1)
	v_fmac_f32_e32 v25, v27, v26
	v_sub_f32_e32 v2, v2, v25
	s_delay_alu instid0(VALU_DEP_1) | instskip(SKIP_1) | instid1(VALU_DEP_2)
	v_div_scale_f32 v21, null, v3, v3, v2
	v_div_scale_f32 v24, vcc_lo, v2, v3, v2
	v_rcp_f32_e32 v22, v21
	s_waitcnt_depctr 0xfff
	v_fma_f32 v23, -v21, v22, 1.0
	s_delay_alu instid0(VALU_DEP_1) | instskip(NEXT) | instid1(VALU_DEP_1)
	v_fmac_f32_e32 v22, v23, v22
	v_mul_f32_e32 v23, v24, v22
	s_delay_alu instid0(VALU_DEP_1) | instskip(NEXT) | instid1(VALU_DEP_1)
	v_fma_f32 v25, -v21, v23, v24
	v_fmac_f32_e32 v23, v25, v22
	s_delay_alu instid0(VALU_DEP_1) | instskip(NEXT) | instid1(VALU_DEP_1)
	v_fma_f32 v21, -v21, v23, v24
	v_div_fmas_f32 v21, v21, v22, v23
	s_delay_alu instid0(VALU_DEP_1)
	v_div_fixup_f32 v2, v21, v3, v2
	ds_store_b32 v13, v2 offset:12
	s_waitcnt lgkmcnt(0)
	s_waitcnt_vscnt null, 0x0
	buffer_gl0_inv
	ds_load_b32 v3, v18 offset:12
	ds_load_b32 v21, v7
	s_waitcnt lgkmcnt(0)
	v_fmac_f32_e32 v21, v2, v3
	ds_store_b32 v7, v21
	s_waitcnt lgkmcnt(0)
	buffer_gl0_inv
	ds_load_b32 v2, v15
	s_waitcnt lgkmcnt(0)
	global_store_b32 v[0:1], v2, off
	s_waitcnt_vscnt null, 0x0
	buffer_gl1_inv
	buffer_gl0_inv
.LBB5_11:                               ;   in Loop: Header=BB5_12 Depth=1
	s_and_b32 vcc_lo, exec_lo, s24
	s_cbranch_vccnz .LBB5_49
.LBB5_12:                               ; =>This Loop Header: Depth=1
                                        ;     Child Loop BB5_15 Depth 2
                                        ;     Child Loop BB5_26 Depth 2
	s_ashr_i32 s3, s2, 31
	s_delay_alu instid0(SALU_CYCLE_1) | instskip(NEXT) | instid1(SALU_CYCLE_1)
	s_lshl_b64 s[20:21], s[2:3], 2
	s_add_u32 s20, s14, s20
	s_addc_u32 s21, s15, s21
	s_load_b32 s3, s[20:21], 0x0
	s_waitcnt lgkmcnt(0)
	s_sub_i32 s22, s3, s17
	s_delay_alu instid0(SALU_CYCLE_1) | instskip(NEXT) | instid1(SALU_CYCLE_1)
	s_ashr_i32 s23, s22, 31
	s_lshl_b64 s[20:21], s[22:23], 2
	s_delay_alu instid0(SALU_CYCLE_1)
	s_add_u32 s24, s4, s20
	s_addc_u32 s25, s5, s21
	s_load_b32 s23, s[24:25], 0x0
	s_mov_b32 s24, -1
	s_waitcnt lgkmcnt(0)
	s_cmp_eq_u32 s23, -1
	s_cbranch_scc1 .LBB5_11
; %bb.13:                               ;   in Loop: Header=BB5_12 Depth=1
	v_lshl_add_u32 v0, s2, 4, v19
	s_add_u32 s24, s12, s20
	s_addc_u32 s25, s13, s21
	ds_load_b32 v3, v20 offset:256
	s_load_b32 s24, s[24:25], 0x0
	v_ashrrev_i32_e32 v1, 31, v0
	s_delay_alu instid0(VALU_DEP_1) | instskip(NEXT) | instid1(VALU_DEP_1)
	v_lshlrev_b64 v[0:1], 2, v[0:1]
	v_add_co_u32 v0, vcc_lo, s18, v0
	s_delay_alu instid0(VALU_DEP_2) | instskip(SKIP_4) | instid1(SALU_CYCLE_1)
	v_add_co_ci_u32_e32 v1, vcc_lo, s19, v1, vcc_lo
	s_waitcnt lgkmcnt(0)
	v_cmp_ge_i32_e32 vcc_lo, s22, v3
	global_load_b32 v2, v[0:1], off
	s_sub_i32 s24, s24, s17
	s_cmp_le_i32 s24, s23
	s_cselect_b32 s25, -1, 0
	s_delay_alu instid0(SALU_CYCLE_1) | instskip(NEXT) | instid1(SALU_CYCLE_1)
	s_and_b32 s25, s25, vcc_lo
	s_and_not1_b32 vcc_lo, exec_lo, s25
	s_mov_b32 s25, 0
	s_waitcnt vmcnt(0)
	ds_store_b32 v15, v2
	s_cbranch_vccnz .LBB5_25
; %bb.14:                               ;   in Loop: Header=BB5_12 Depth=1
	s_mov_b32 s29, 0
	s_mov_b32 s30, 0
.LBB5_15:                               ;   Parent Loop BB5_12 Depth=1
                                        ; =>  This Inner Loop Header: Depth=2
	s_ashr_i32 s25, s24, 31
                                        ; implicit-def: $sgpr33
	s_delay_alu instid0(SALU_CYCLE_1) | instskip(NEXT) | instid1(SALU_CYCLE_1)
	s_lshl_b64 s[34:35], s[24:25], 2
	s_add_u32 s34, s14, s34
	s_addc_u32 s35, s15, s35
	s_lshl_b32 s25, s30, 2
	s_delay_alu instid0(SALU_CYCLE_1)
	v_mov_b32_e32 v2, s25
	s_load_b32 s25, s[34:35], 0x0
	s_mov_b32 s35, -1
                                        ; implicit-def: $sgpr34
	ds_load_b32 v2, v2 offset:256
	s_waitcnt lgkmcnt(0)
	s_sub_i32 s36, s25, s17
                                        ; implicit-def: $sgpr25
	s_delay_alu instid0(SALU_CYCLE_1)
	v_cmp_ge_i32_e32 vcc_lo, s36, v2
	v_readfirstlane_b32 s31, v2
	s_cbranch_vccz .LBB5_21
; %bb.16:                               ;   in Loop: Header=BB5_15 Depth=2
	s_delay_alu instid0(VALU_DEP_1)
	s_cmp_le_i32 s36, s31
                                        ; implicit-def: $sgpr25
                                        ; implicit-def: $sgpr34
                                        ; implicit-def: $sgpr33
	s_cbranch_scc0 .LBB5_18
; %bb.17:                               ;   in Loop: Header=BB5_15 Depth=2
	s_add_i32 s25, s30, s27
	s_lshl_b32 s33, s29, 2
	s_lshl_b32 s25, s25, 4
	s_delay_alu instid0(SALU_CYCLE_1)
	v_dual_mov_b32 v2, s33 :: v_dual_mov_b32 v3, s25
	s_lshl_b32 s33, s24, 4
	s_add_i32 s34, s24, 1
	v_mov_b32_e32 v21, s33
	s_add_i32 s33, s30, 1
	s_add_i32 s25, s29, 1
	s_mov_b32 s35, 0
	ds_store_2addr_b32 v2, v21, v3 offset1:32
.LBB5_18:                               ;   in Loop: Header=BB5_15 Depth=2
	s_and_not1_b32 vcc_lo, exec_lo, s35
	s_cbranch_vccnz .LBB5_20
; %bb.19:                               ;   in Loop: Header=BB5_15 Depth=2
	s_add_i32 s33, s30, 1
	s_mov_b32 s25, s29
	s_mov_b32 s34, s24
.LBB5_20:                               ;   in Loop: Header=BB5_15 Depth=2
	s_mov_b32 s35, 0
.LBB5_21:                               ;   in Loop: Header=BB5_15 Depth=2
	s_delay_alu instid0(SALU_CYCLE_1)
	s_and_not1_b32 vcc_lo, exec_lo, s35
	s_cbranch_vccnz .LBB5_23
; %bb.22:                               ;   in Loop: Header=BB5_15 Depth=2
	s_add_i32 s34, s24, 1
	s_mov_b32 s33, s30
	s_mov_b32 s25, s29
.LBB5_23:                               ;   in Loop: Header=BB5_15 Depth=2
	s_cmp_le_i32 s34, s23
	s_cselect_b32 s24, -1, 0
	s_cmp_le_i32 s31, s22
	s_cselect_b32 s29, -1, 0
	s_delay_alu instid0(SALU_CYCLE_1) | instskip(NEXT) | instid1(SALU_CYCLE_1)
	s_and_b32 s24, s24, s29
	s_and_b32 vcc_lo, exec_lo, s24
	s_cbranch_vccz .LBB5_25
; %bb.24:                               ;   in Loop: Header=BB5_15 Depth=2
	s_mov_b32 s29, s25
	s_mov_b32 s24, s34
	;; [unrolled: 1-line block ×3, first 2 shown]
	s_branch .LBB5_15
.LBB5_25:                               ;   in Loop: Header=BB5_12 Depth=1
	s_add_u32 s20, s6, s20
	s_addc_u32 s21, s7, s21
	s_waitcnt lgkmcnt(0)
	buffer_gl0_inv
.LBB5_26:                               ;   Parent Loop BB5_12 Depth=1
                                        ; =>  This Inner Loop Header: Depth=2
	global_load_b32 v2, v20, s[20:21] glc
	s_waitcnt vmcnt(0)
	v_cmp_eq_u32_e32 vcc_lo, 0, v2
	s_cbranch_vccnz .LBB5_26
; %bb.27:                               ;   in Loop: Header=BB5_12 Depth=1
	v_lshl_add_u32 v2, s23, 4, v19
	buffer_gl1_inv
	buffer_gl0_inv
	v_mov_b32_e32 v22, 0
	s_cmp_lt_i32 s25, 2
	v_ashrrev_i32_e32 v3, 31, v2
	s_delay_alu instid0(VALU_DEP_1) | instskip(NEXT) | instid1(VALU_DEP_1)
	v_lshlrev_b64 v[2:3], 2, v[2:3]
	v_add_co_u32 v2, vcc_lo, s18, v2
	s_delay_alu instid0(VALU_DEP_2)
	v_add_co_ci_u32_e32 v3, vcc_lo, s19, v3, vcc_lo
	global_load_b32 v2, v[2:3], off
	s_waitcnt vmcnt(0)
	ds_store_b32 v16, v2
	s_waitcnt lgkmcnt(0)
	buffer_gl0_inv
	s_cbranch_scc1 .LBB5_34
; %bb.28:                               ;   in Loop: Header=BB5_12 Depth=1
	v_mov_b32_e32 v21, 0
	s_add_i32 s20, s25, -1
	s_mov_b32 s21, 0
	s_delay_alu instid0(SALU_CYCLE_1)
	v_mov_b32_e32 v2, s21
	s_and_b32 vcc_lo, exec_lo, s28
	ds_load_2addr_b32 v[2:3], v2 offset1:32
	s_cbranch_vccz .LBB5_30
.LBB5_29:                               ;   in Loop: Header=BB5_12 Depth=1
	s_waitcnt lgkmcnt(0)
	v_add_nc_u32_e32 v22, v2, v4
	v_add_nc_u32_e32 v24, v3, v5
	s_delay_alu instid0(VALU_DEP_2) | instskip(SKIP_1) | instid1(VALU_DEP_3)
	v_ashrrev_i32_e32 v23, 31, v22
	v_add_nc_u32_e32 v26, 4, v22
	v_ashrrev_i32_e32 v25, 31, v24
	v_add_nc_u32_e32 v28, 4, v24
	v_add_nc_u32_e32 v34, 8, v22
	v_lshlrev_b64 v[30:31], 2, v[22:23]
	v_ashrrev_i32_e32 v27, 31, v26
	v_lshlrev_b64 v[32:33], 2, v[24:25]
	v_ashrrev_i32_e32 v29, 31, v28
	v_add_nc_u32_e32 v36, 8, v24
	v_ashrrev_i32_e32 v35, 31, v34
	v_lshlrev_b64 v[25:26], 2, v[26:27]
	v_add_co_u32 v30, vcc_lo, s18, v30
	v_add_co_ci_u32_e32 v31, vcc_lo, s19, v31, vcc_lo
	v_add_co_u32 v32, vcc_lo, s18, v32
	v_lshlrev_b64 v[27:28], 2, v[28:29]
	v_add_co_ci_u32_e32 v33, vcc_lo, s19, v33, vcc_lo
	v_add_co_u32 v25, vcc_lo, s18, v25
	v_add_co_ci_u32_e32 v26, vcc_lo, s19, v26, vcc_lo
	s_delay_alu instid0(VALU_DEP_4)
	v_add_co_u32 v27, vcc_lo, s18, v27
	v_ashrrev_i32_e32 v37, 31, v36
	v_add_nc_u32_e32 v22, 12, v22
	v_add_co_ci_u32_e32 v28, vcc_lo, s19, v28, vcc_lo
	v_lshlrev_b64 v[34:35], 2, v[34:35]
	s_clause 0x3
	global_load_b32 v31, v[30:31], off
	global_load_b32 v32, v[32:33], off
	;; [unrolled: 1-line block ×4, first 2 shown]
	v_add_nc_u32_e32 v27, 12, v24
	v_lshlrev_b64 v[25:26], 2, v[36:37]
	v_ashrrev_i32_e32 v23, 31, v22
	v_add_co_u32 v29, vcc_lo, s18, v34
	s_delay_alu instid0(VALU_DEP_4) | instskip(SKIP_1) | instid1(VALU_DEP_4)
	v_ashrrev_i32_e32 v28, 31, v27
	v_add_co_ci_u32_e32 v30, vcc_lo, s19, v35, vcc_lo
	v_lshlrev_b64 v[22:23], 2, v[22:23]
	v_add_co_u32 v24, vcc_lo, s18, v25
	v_add_co_ci_u32_e32 v25, vcc_lo, s19, v26, vcc_lo
	v_lshlrev_b64 v[26:27], 2, v[27:28]
	s_delay_alu instid0(VALU_DEP_4) | instskip(SKIP_1) | instid1(VALU_DEP_3)
	v_add_co_u32 v22, vcc_lo, s18, v22
	v_add_co_ci_u32_e32 v23, vcc_lo, s19, v23, vcc_lo
	v_add_co_u32 v26, vcc_lo, s18, v26
	s_delay_alu instid0(VALU_DEP_4)
	v_add_co_ci_u32_e32 v27, vcc_lo, s19, v27, vcc_lo
	s_clause 0x3
	global_load_b32 v28, v[29:30], off
	global_load_b32 v24, v[24:25], off
	;; [unrolled: 1-line block ×4, first 2 shown]
	s_waitcnt vmcnt(6)
	v_fma_f32 v22, v31, v32, v21
	s_waitcnt vmcnt(4)
	s_delay_alu instid0(VALU_DEP_1) | instskip(SKIP_1) | instid1(VALU_DEP_1)
	v_fmac_f32_e32 v22, v33, v38
	s_waitcnt vmcnt(2)
	v_fmac_f32_e32 v22, v28, v24
	s_waitcnt vmcnt(0)
	s_delay_alu instid0(VALU_DEP_1)
	v_fmac_f32_e32 v22, v23, v25
	s_cbranch_execz .LBB5_31
	s_branch .LBB5_32
.LBB5_30:                               ;   in Loop: Header=BB5_12 Depth=1
                                        ; implicit-def: $vgpr22
.LBB5_31:                               ;   in Loop: Header=BB5_12 Depth=1
	s_waitcnt lgkmcnt(0)
	v_add_nc_u32_e32 v2, v2, v11
	v_add_nc_u32_e32 v22, v3, v10
	s_delay_alu instid0(VALU_DEP_2) | instskip(NEXT) | instid1(VALU_DEP_2)
	v_ashrrev_i32_e32 v3, 31, v2
	v_ashrrev_i32_e32 v23, 31, v22
	s_delay_alu instid0(VALU_DEP_2) | instskip(NEXT) | instid1(VALU_DEP_2)
	v_lshlrev_b64 v[2:3], 2, v[2:3]
	v_lshlrev_b64 v[22:23], 2, v[22:23]
	s_delay_alu instid0(VALU_DEP_2) | instskip(NEXT) | instid1(VALU_DEP_3)
	v_add_co_u32 v2, vcc_lo, s18, v2
	v_add_co_ci_u32_e32 v3, vcc_lo, s19, v3, vcc_lo
	s_delay_alu instid0(VALU_DEP_3) | instskip(NEXT) | instid1(VALU_DEP_4)
	v_add_co_u32 v26, vcc_lo, s18, v22
	v_add_co_ci_u32_e32 v27, vcc_lo, s19, v23, vcc_lo
	s_clause 0x1
	global_load_b128 v[22:25], v[2:3], off
	global_load_b128 v[26:29], v[26:27], off
	s_waitcnt vmcnt(0)
	v_fmac_f32_e32 v21, v22, v26
	s_delay_alu instid0(VALU_DEP_1) | instskip(NEXT) | instid1(VALU_DEP_1)
	v_fmac_f32_e32 v21, v23, v27
	v_fmac_f32_e32 v21, v24, v28
	s_delay_alu instid0(VALU_DEP_1) | instskip(NEXT) | instid1(VALU_DEP_1)
	v_fmac_f32_e32 v21, v25, v29
	v_mov_b32_e32 v22, v21
.LBB5_32:                               ;   in Loop: Header=BB5_12 Depth=1
	s_add_i32 s20, s20, -1
	s_add_i32 s21, s21, 4
	s_cmp_eq_u32 s20, 0
	s_cbranch_scc1 .LBB5_34
; %bb.33:                               ;   in Loop: Header=BB5_12 Depth=1
	s_waitcnt lgkmcnt(0)
	v_dual_mov_b32 v21, v22 :: v_dual_mov_b32 v2, s21
	s_and_b32 vcc_lo, exec_lo, s28
	ds_load_2addr_b32 v[2:3], v2 offset1:32
	s_cbranch_vccz .LBB5_30
	s_branch .LBB5_29
.LBB5_34:                               ;   in Loop: Header=BB5_12 Depth=1
	ds_store_b32 v17, v22
	s_waitcnt lgkmcnt(0)
	buffer_gl0_inv
	ds_load_b32 v3, v20 offset:384
	ds_load_b32 v2, v13
	s_waitcnt lgkmcnt(1)
	v_cmp_neq_f32_e32 vcc_lo, 0, v3
	v_cndmask_b32_e32 v3, 1.0, v3, vcc_lo
	s_or_b32 s20, vcc_lo, s0
	s_delay_alu instid0(SALU_CYCLE_1) | instskip(NEXT) | instid1(SALU_CYCLE_1)
	s_xor_b32 s21, s20, -1
	s_and_saveexec_b32 s20, s21
	s_cbranch_execz .LBB5_38
; %bb.35:                               ;   in Loop: Header=BB5_12 Depth=1
	v_mbcnt_lo_u32_b32 v3, exec_lo, 0
	s_mov_b32 s21, exec_lo
	s_delay_alu instid0(VALU_DEP_1)
	v_cmpx_eq_u32_e32 0, v3
	s_cbranch_execz .LBB5_37
; %bb.36:                               ;   in Loop: Header=BB5_12 Depth=1
	v_mov_b32_e32 v3, s3
	global_atomic_min_i32 v20, v3, s[10:11]
.LBB5_37:                               ;   in Loop: Header=BB5_12 Depth=1
	s_or_b32 exec_lo, exec_lo, s21
	v_mov_b32_e32 v3, 1.0
.LBB5_38:                               ;   in Loop: Header=BB5_12 Depth=1
	s_or_b32 exec_lo, exec_lo, s20
	ds_load_b32 v21, v14
	s_waitcnt lgkmcnt(0)
	v_sub_f32_e32 v2, v2, v21
	s_delay_alu instid0(VALU_DEP_1) | instskip(SKIP_1) | instid1(VALU_DEP_2)
	v_div_scale_f32 v21, null, v3, v3, v2
	v_div_scale_f32 v24, vcc_lo, v2, v3, v2
	v_rcp_f32_e32 v22, v21
	s_waitcnt_depctr 0xfff
	v_fma_f32 v23, -v21, v22, 1.0
	s_delay_alu instid0(VALU_DEP_1) | instskip(NEXT) | instid1(VALU_DEP_1)
	v_fmac_f32_e32 v22, v23, v22
	v_mul_f32_e32 v23, v24, v22
	s_delay_alu instid0(VALU_DEP_1) | instskip(NEXT) | instid1(VALU_DEP_1)
	v_fma_f32 v25, -v21, v23, v24
	v_fmac_f32_e32 v23, v25, v22
	s_delay_alu instid0(VALU_DEP_1) | instskip(NEXT) | instid1(VALU_DEP_1)
	v_fma_f32 v21, -v21, v23, v24
	v_div_fmas_f32 v21, v21, v22, v23
	s_delay_alu instid0(VALU_DEP_1)
	v_div_fixup_f32 v2, v21, v3, v2
	ds_store_b32 v13, v2
	s_waitcnt lgkmcnt(0)
	s_waitcnt_vscnt null, 0x0
	buffer_gl0_inv
	ds_load_b32 v3, v18
	ds_load_b32 v21, v7
	s_waitcnt lgkmcnt(0)
	v_fmac_f32_e32 v21, v2, v3
	ds_store_b32 v7, v21
	s_waitcnt lgkmcnt(0)
	buffer_gl0_inv
	ds_load_b32 v3, v20 offset:408
	ds_load_b32 v2, v13 offset:4
	s_waitcnt lgkmcnt(1)
	v_cmp_neq_f32_e32 vcc_lo, 0, v3
	v_cndmask_b32_e32 v3, 1.0, v3, vcc_lo
	s_or_b32 s20, vcc_lo, s0
	s_delay_alu instid0(SALU_CYCLE_1) | instskip(NEXT) | instid1(SALU_CYCLE_1)
	s_xor_b32 s21, s20, -1
	s_and_saveexec_b32 s20, s21
	s_cbranch_execz .LBB5_42
; %bb.39:                               ;   in Loop: Header=BB5_12 Depth=1
	v_mbcnt_lo_u32_b32 v3, exec_lo, 0
	s_mov_b32 s21, exec_lo
	s_delay_alu instid0(VALU_DEP_1)
	v_cmpx_eq_u32_e32 0, v3
	s_cbranch_execz .LBB5_41
; %bb.40:                               ;   in Loop: Header=BB5_12 Depth=1
	v_mov_b32_e32 v3, s3
	global_atomic_min_i32 v20, v3, s[10:11]
.LBB5_41:                               ;   in Loop: Header=BB5_12 Depth=1
	s_or_b32 exec_lo, exec_lo, s21
	v_mov_b32_e32 v3, 1.0
.LBB5_42:                               ;   in Loop: Header=BB5_12 Depth=1
	s_or_b32 exec_lo, exec_lo, s20
	ds_load_b32 v21, v13
	ds_load_b32 v22, v20 offset:404
	ds_load_b32 v23, v14 offset:4
	s_waitcnt lgkmcnt(0)
	v_fmac_f32_e32 v23, v22, v21
	s_delay_alu instid0(VALU_DEP_1) | instskip(NEXT) | instid1(VALU_DEP_1)
	v_sub_f32_e32 v2, v2, v23
	v_div_scale_f32 v21, null, v3, v3, v2
	v_div_scale_f32 v24, vcc_lo, v2, v3, v2
	s_delay_alu instid0(VALU_DEP_2) | instskip(SKIP_2) | instid1(VALU_DEP_1)
	v_rcp_f32_e32 v22, v21
	s_waitcnt_depctr 0xfff
	v_fma_f32 v23, -v21, v22, 1.0
	v_fmac_f32_e32 v22, v23, v22
	s_delay_alu instid0(VALU_DEP_1) | instskip(NEXT) | instid1(VALU_DEP_1)
	v_mul_f32_e32 v23, v24, v22
	v_fma_f32 v25, -v21, v23, v24
	s_delay_alu instid0(VALU_DEP_1) | instskip(NEXT) | instid1(VALU_DEP_1)
	v_fmac_f32_e32 v23, v25, v22
	v_fma_f32 v21, -v21, v23, v24
	s_delay_alu instid0(VALU_DEP_1) | instskip(NEXT) | instid1(VALU_DEP_1)
	v_div_fmas_f32 v21, v21, v22, v23
	v_div_fixup_f32 v2, v21, v3, v2
	ds_store_b32 v13, v2 offset:4
	s_waitcnt lgkmcnt(0)
	s_waitcnt_vscnt null, 0x0
	buffer_gl0_inv
	ds_load_b32 v3, v18 offset:4
	ds_load_b32 v21, v7
	s_waitcnt lgkmcnt(0)
	v_fmac_f32_e32 v21, v2, v3
	ds_store_b32 v7, v21
	s_waitcnt lgkmcnt(0)
	buffer_gl0_inv
	ds_load_b32 v3, v20 offset:432
	ds_load_b32 v2, v13 offset:8
	s_waitcnt lgkmcnt(1)
	v_cmp_neq_f32_e32 vcc_lo, 0, v3
	v_cndmask_b32_e32 v3, 1.0, v3, vcc_lo
	s_or_b32 s20, vcc_lo, s0
	s_delay_alu instid0(SALU_CYCLE_1) | instskip(NEXT) | instid1(SALU_CYCLE_1)
	s_xor_b32 s21, s20, -1
	s_and_saveexec_b32 s20, s21
	s_cbranch_execz .LBB5_46
; %bb.43:                               ;   in Loop: Header=BB5_12 Depth=1
	v_mbcnt_lo_u32_b32 v3, exec_lo, 0
	s_mov_b32 s21, exec_lo
	s_delay_alu instid0(VALU_DEP_1)
	v_cmpx_eq_u32_e32 0, v3
	s_cbranch_execz .LBB5_45
; %bb.44:                               ;   in Loop: Header=BB5_12 Depth=1
	v_mov_b32_e32 v3, s3
	global_atomic_min_i32 v20, v3, s[10:11]
.LBB5_45:                               ;   in Loop: Header=BB5_12 Depth=1
	s_or_b32 exec_lo, exec_lo, s21
	v_mov_b32_e32 v3, 1.0
.LBB5_46:                               ;   in Loop: Header=BB5_12 Depth=1
	s_or_b32 exec_lo, exec_lo, s20
	ds_load_2addr_b32 v[21:22], v13 offset1:1
	ds_load_b64 v[23:24], v20 offset:424
	ds_load_b32 v25, v14 offset:8
	s_waitcnt lgkmcnt(0)
	v_fmac_f32_e32 v25, v23, v21
	s_delay_alu instid0(VALU_DEP_1) | instskip(NEXT) | instid1(VALU_DEP_1)
	v_fmac_f32_e32 v25, v24, v22
	v_sub_f32_e32 v2, v2, v25
	s_delay_alu instid0(VALU_DEP_1) | instskip(SKIP_1) | instid1(VALU_DEP_2)
	v_div_scale_f32 v21, null, v3, v3, v2
	v_div_scale_f32 v24, vcc_lo, v2, v3, v2
	v_rcp_f32_e32 v22, v21
	s_waitcnt_depctr 0xfff
	v_fma_f32 v23, -v21, v22, 1.0
	s_delay_alu instid0(VALU_DEP_1) | instskip(NEXT) | instid1(VALU_DEP_1)
	v_fmac_f32_e32 v22, v23, v22
	v_mul_f32_e32 v23, v24, v22
	s_delay_alu instid0(VALU_DEP_1) | instskip(NEXT) | instid1(VALU_DEP_1)
	v_fma_f32 v25, -v21, v23, v24
	v_fmac_f32_e32 v23, v25, v22
	s_delay_alu instid0(VALU_DEP_1) | instskip(NEXT) | instid1(VALU_DEP_1)
	v_fma_f32 v21, -v21, v23, v24
	v_div_fmas_f32 v21, v21, v22, v23
	s_delay_alu instid0(VALU_DEP_1)
	v_div_fixup_f32 v2, v21, v3, v2
	ds_store_b32 v13, v2 offset:8
	s_waitcnt lgkmcnt(0)
	s_waitcnt_vscnt null, 0x0
	buffer_gl0_inv
	ds_load_b32 v3, v18 offset:8
	ds_load_b32 v21, v7
	s_waitcnt lgkmcnt(0)
	v_fmac_f32_e32 v21, v2, v3
	ds_store_b32 v7, v21
	s_waitcnt lgkmcnt(0)
	buffer_gl0_inv
	ds_load_b32 v3, v20 offset:456
	ds_load_b32 v2, v13 offset:12
	s_waitcnt lgkmcnt(1)
	v_cmp_neq_f32_e32 vcc_lo, 0, v3
	v_cndmask_b32_e32 v3, 1.0, v3, vcc_lo
	s_or_b32 s20, vcc_lo, s0
	s_delay_alu instid0(SALU_CYCLE_1) | instskip(NEXT) | instid1(SALU_CYCLE_1)
	s_xor_b32 s21, s20, -1
	s_and_saveexec_b32 s20, s21
	s_cbranch_execz .LBB5_10
; %bb.47:                               ;   in Loop: Header=BB5_12 Depth=1
	v_mbcnt_lo_u32_b32 v3, exec_lo, 0
	s_mov_b32 s21, exec_lo
	s_delay_alu instid0(VALU_DEP_1)
	v_cmpx_eq_u32_e32 0, v3
	s_cbranch_execz .LBB5_9
; %bb.48:                               ;   in Loop: Header=BB5_12 Depth=1
	v_mov_b32_e32 v3, s3
	global_atomic_min_i32 v20, v3, s[10:11]
	s_branch .LBB5_9
.LBB5_49:
	s_waitcnt lgkmcnt(0)
	s_cmp_eq_u32 s1, 0
	s_mov_b32 s2, exec_lo
	s_cselect_b32 vcc_lo, -1, 0
	v_cndmask_b32_e32 v0, v12, v9, vcc_lo
	s_delay_alu instid0(VALU_DEP_1) | instskip(NEXT) | instid1(VALU_DEP_1)
	v_lshl_add_u32 v0, s26, 4, v0
	v_ashrrev_i32_e32 v1, 31, v0
	s_delay_alu instid0(VALU_DEP_1) | instskip(NEXT) | instid1(VALU_DEP_1)
	v_lshlrev_b64 v[0:1], 2, v[0:1]
	v_add_co_u32 v0, vcc_lo, s18, v0
	s_delay_alu instid0(VALU_DEP_2)
	v_add_co_ci_u32_e32 v1, vcc_lo, s19, v1, vcc_lo
	v_cmp_ne_u32_e32 vcc_lo, 0, v5
	global_load_b32 v2, v[0:1], off
	s_waitcnt vmcnt(0)
	ds_store_b32 v8, v2 offset:544
	s_waitcnt lgkmcnt(0)
	buffer_gl0_inv
	v_cmpx_eq_u32_e32 0, v5
	s_cbranch_execz .LBB5_51
; %bb.50:
	v_mov_b32_e32 v9, 0
	ds_load_2addr_b32 v[2:3], v9 offset0:136 offset1:156
	s_waitcnt lgkmcnt(0)
	v_sub_f32_e32 v2, v2, v3
	s_delay_alu instid0(VALU_DEP_1) | instskip(NEXT) | instid1(VALU_DEP_1)
	v_cmp_gt_f32_e64 s0, 0, v2
	v_cndmask_b32_e64 v2, v2, -v2, s0
	s_delay_alu instid0(VALU_DEP_1) | instskip(SKIP_1) | instid1(VALU_DEP_1)
	v_mul_f32_e32 v3, 0x4f800000, v2
	v_cmp_gt_f32_e64 s0, 0xf800000, v2
	v_cndmask_b32_e64 v2, v2, v3, s0
	s_delay_alu instid0(VALU_DEP_1) | instskip(SKIP_3) | instid1(VALU_DEP_2)
	v_sqrt_f32_e32 v3, v2
	s_waitcnt_depctr 0xfff
	v_add_nc_u32_e32 v10, -1, v3
	v_add_nc_u32_e32 v11, 1, v3
	v_fma_f32 v12, -v10, v3, v2
	s_delay_alu instid0(VALU_DEP_2) | instskip(NEXT) | instid1(VALU_DEP_2)
	v_fma_f32 v13, -v11, v3, v2
	v_cmp_ge_f32_e64 s1, 0, v12
	s_delay_alu instid0(VALU_DEP_1) | instskip(NEXT) | instid1(VALU_DEP_3)
	v_cndmask_b32_e64 v3, v3, v10, s1
	v_cmp_lt_f32_e64 s1, 0, v13
	s_delay_alu instid0(VALU_DEP_1) | instskip(NEXT) | instid1(VALU_DEP_1)
	v_cndmask_b32_e64 v3, v3, v11, s1
	v_mul_f32_e32 v10, 0x37800000, v3
	s_delay_alu instid0(VALU_DEP_1) | instskip(SKIP_1) | instid1(VALU_DEP_1)
	v_cndmask_b32_e64 v3, v3, v10, s0
	v_cmp_class_f32_e64 s0, v2, 0x260
	v_cndmask_b32_e64 v2, v3, v2, s0
	ds_store_b32 v9, v2 offset:544
.LBB5_51:
	s_or_b32 exec_lo, exec_lo, s2
	v_mov_b32_e32 v2, 0
	s_waitcnt lgkmcnt(0)
	buffer_gl0_inv
	v_cmp_ne_u32_e64 s0, 0, v6
	s_add_i32 s2, s16, s17
	ds_load_b32 v2, v2 offset:544
	s_waitcnt lgkmcnt(0)
	v_cmp_neq_f32_e64 s1, 0, v2
	s_delay_alu instid0(VALU_DEP_1) | instskip(SKIP_1) | instid1(SALU_CYCLE_1)
	v_cndmask_b32_e64 v2, 1.0, v2, s1
	s_or_b32 s1, s1, s0
	s_xor_b32 s1, s1, -1
	s_delay_alu instid0(SALU_CYCLE_1)
	s_and_saveexec_b32 s3, s1
	s_cbranch_execz .LBB5_55
; %bb.52:
	v_mbcnt_lo_u32_b32 v2, exec_lo, 0
	s_mov_b32 s4, exec_lo
	s_delay_alu instid0(VALU_DEP_1)
	v_cmpx_eq_u32_e32 0, v2
	s_cbranch_execz .LBB5_54
; %bb.53:
	v_dual_mov_b32 v2, 0 :: v_dual_mov_b32 v3, s2
	global_atomic_min_i32 v2, v3, s[10:11]
.LBB5_54:
	s_or_b32 exec_lo, exec_lo, s4
	v_mov_b32_e32 v2, 1.0
.LBB5_55:
	s_or_b32 exec_lo, exec_lo, s3
	s_and_saveexec_b32 s1, vcc_lo
	s_cbranch_execz .LBB5_57
; %bb.56:
	v_mul_u32_u24_e32 v3, 20, v5
	ds_load_2addr_b32 v[9:10], v3 offset0:136 offset1:156
	s_waitcnt lgkmcnt(0)
	v_sub_f32_e32 v9, v9, v10
	s_delay_alu instid0(VALU_DEP_1) | instskip(SKIP_1) | instid1(VALU_DEP_2)
	v_div_scale_f32 v10, null, v2, v2, v9
	v_div_scale_f32 v13, vcc_lo, v9, v2, v9
	v_rcp_f32_e32 v11, v10
	s_waitcnt_depctr 0xfff
	v_fma_f32 v12, -v10, v11, 1.0
	s_delay_alu instid0(VALU_DEP_1) | instskip(NEXT) | instid1(VALU_DEP_1)
	v_fmac_f32_e32 v11, v12, v11
	v_mul_f32_e32 v12, v13, v11
	s_delay_alu instid0(VALU_DEP_1) | instskip(NEXT) | instid1(VALU_DEP_1)
	v_fma_f32 v14, -v10, v12, v13
	v_fmac_f32_e32 v12, v14, v11
	s_delay_alu instid0(VALU_DEP_1) | instskip(NEXT) | instid1(VALU_DEP_1)
	v_fma_f32 v10, -v10, v12, v13
	v_div_fmas_f32 v10, v10, v11, v12
	s_delay_alu instid0(VALU_DEP_1)
	v_div_fixup_f32 v2, v10, v2, v9
	v_mul_u32_u24_e32 v9, 20, v4
	ds_store_b32 v3, v2 offset:544
	s_waitcnt lgkmcnt(0)
	s_waitcnt_vscnt null, 0x0
	buffer_gl0_inv
	ds_load_b32 v3, v9 offset:544
	ds_load_b32 v9, v7
	s_waitcnt lgkmcnt(0)
	v_fmac_f32_e32 v9, v2, v3
	ds_store_b32 v7, v9
.LBB5_57:
	s_or_b32 exec_lo, exec_lo, s1
	s_delay_alu instid0(SALU_CYCLE_1)
	s_mov_b32 s3, exec_lo
	s_waitcnt lgkmcnt(0)
	s_waitcnt_vscnt null, 0x0
	buffer_gl0_inv
	v_cmpx_eq_u32_e32 1, v5
	s_cbranch_execz .LBB5_59
; %bb.58:
	v_mov_b32_e32 v9, 0
	ds_load_2addr_b32 v[2:3], v9 offset0:142 offset1:162
	s_waitcnt lgkmcnt(0)
	v_sub_f32_e32 v2, v2, v3
	s_delay_alu instid0(VALU_DEP_1) | instskip(SKIP_1) | instid1(VALU_DEP_1)
	v_cmp_gt_f32_e32 vcc_lo, 0, v2
	v_cndmask_b32_e64 v2, v2, -v2, vcc_lo
	v_mul_f32_e32 v3, 0x4f800000, v2
	v_cmp_gt_f32_e32 vcc_lo, 0xf800000, v2
	s_delay_alu instid0(VALU_DEP_2) | instskip(NEXT) | instid1(VALU_DEP_1)
	v_cndmask_b32_e32 v2, v2, v3, vcc_lo
	v_sqrt_f32_e32 v3, v2
	s_waitcnt_depctr 0xfff
	v_add_nc_u32_e32 v10, -1, v3
	v_add_nc_u32_e32 v11, 1, v3
	s_delay_alu instid0(VALU_DEP_2) | instskip(NEXT) | instid1(VALU_DEP_2)
	v_fma_f32 v12, -v10, v3, v2
	v_fma_f32 v13, -v11, v3, v2
	s_delay_alu instid0(VALU_DEP_2) | instskip(NEXT) | instid1(VALU_DEP_1)
	v_cmp_ge_f32_e64 s1, 0, v12
	v_cndmask_b32_e64 v3, v3, v10, s1
	s_delay_alu instid0(VALU_DEP_3) | instskip(NEXT) | instid1(VALU_DEP_1)
	v_cmp_lt_f32_e64 s1, 0, v13
	v_cndmask_b32_e64 v3, v3, v11, s1
	s_delay_alu instid0(VALU_DEP_1) | instskip(NEXT) | instid1(VALU_DEP_1)
	v_mul_f32_e32 v10, 0x37800000, v3
	v_cndmask_b32_e32 v3, v3, v10, vcc_lo
	v_cmp_class_f32_e64 vcc_lo, v2, 0x260
	s_delay_alu instid0(VALU_DEP_2)
	v_cndmask_b32_e32 v2, v3, v2, vcc_lo
	ds_store_b32 v9, v2 offset:568
.LBB5_59:
	s_or_b32 exec_lo, exec_lo, s3
	v_mov_b32_e32 v2, 0
	s_waitcnt lgkmcnt(0)
	buffer_gl0_inv
	ds_load_b32 v2, v2 offset:568
	s_waitcnt lgkmcnt(0)
	v_cmp_neq_f32_e32 vcc_lo, 0, v2
	v_cndmask_b32_e32 v2, 1.0, v2, vcc_lo
	s_or_b32 s1, vcc_lo, s0
	s_delay_alu instid0(SALU_CYCLE_1) | instskip(NEXT) | instid1(SALU_CYCLE_1)
	s_xor_b32 s3, s1, -1
	s_and_saveexec_b32 s1, s3
	s_cbranch_execz .LBB5_63
; %bb.60:
	v_mbcnt_lo_u32_b32 v2, exec_lo, 0
	s_mov_b32 s3, exec_lo
	s_delay_alu instid0(VALU_DEP_1)
	v_cmpx_eq_u32_e32 0, v2
	s_cbranch_execz .LBB5_62
; %bb.61:
	v_dual_mov_b32 v2, 0 :: v_dual_mov_b32 v3, s2
	global_atomic_min_i32 v2, v3, s[10:11]
.LBB5_62:
	s_or_b32 exec_lo, exec_lo, s3
	v_mov_b32_e32 v2, 1.0
.LBB5_63:
	s_or_b32 exec_lo, exec_lo, s1
	s_delay_alu instid0(SALU_CYCLE_1)
	s_mov_b32 s1, exec_lo
	v_cmpx_lt_u32_e32 1, v5
	s_cbranch_execz .LBB5_65
; %bb.64:
	v_mul_u32_u24_e32 v3, 20, v5
	ds_load_2addr_b32 v[9:10], v3 offset0:137 offset1:157
	s_waitcnt lgkmcnt(0)
	v_sub_f32_e32 v9, v9, v10
	s_delay_alu instid0(VALU_DEP_1) | instskip(SKIP_1) | instid1(VALU_DEP_2)
	v_div_scale_f32 v10, null, v2, v2, v9
	v_div_scale_f32 v13, vcc_lo, v9, v2, v9
	v_rcp_f32_e32 v11, v10
	s_waitcnt_depctr 0xfff
	v_fma_f32 v12, -v10, v11, 1.0
	s_delay_alu instid0(VALU_DEP_1) | instskip(NEXT) | instid1(VALU_DEP_1)
	v_fmac_f32_e32 v11, v12, v11
	v_mul_f32_e32 v12, v13, v11
	s_delay_alu instid0(VALU_DEP_1) | instskip(NEXT) | instid1(VALU_DEP_1)
	v_fma_f32 v14, -v10, v12, v13
	v_fmac_f32_e32 v12, v14, v11
	s_delay_alu instid0(VALU_DEP_1) | instskip(NEXT) | instid1(VALU_DEP_1)
	v_fma_f32 v10, -v10, v12, v13
	v_div_fmas_f32 v10, v10, v11, v12
	s_delay_alu instid0(VALU_DEP_1)
	v_div_fixup_f32 v2, v10, v2, v9
	v_mul_u32_u24_e32 v9, 20, v4
	ds_store_b32 v3, v2 offset:548
	s_waitcnt lgkmcnt(0)
	s_waitcnt_vscnt null, 0x0
	buffer_gl0_inv
	ds_load_b32 v3, v9 offset:548
	ds_load_b32 v9, v7
	s_waitcnt lgkmcnt(0)
	v_fmac_f32_e32 v9, v2, v3
	ds_store_b32 v7, v9
.LBB5_65:
	s_or_b32 exec_lo, exec_lo, s1
	s_delay_alu instid0(SALU_CYCLE_1)
	s_mov_b32 s3, exec_lo
	s_waitcnt lgkmcnt(0)
	s_waitcnt_vscnt null, 0x0
	buffer_gl0_inv
	v_cmpx_eq_u32_e32 2, v5
	s_cbranch_execz .LBB5_67
; %bb.66:
	v_mov_b32_e32 v9, 0
	ds_load_2addr_b32 v[2:3], v9 offset0:148 offset1:168
	s_waitcnt lgkmcnt(0)
	v_sub_f32_e32 v2, v2, v3
	s_delay_alu instid0(VALU_DEP_1) | instskip(SKIP_1) | instid1(VALU_DEP_1)
	v_cmp_gt_f32_e32 vcc_lo, 0, v2
	v_cndmask_b32_e64 v2, v2, -v2, vcc_lo
	v_mul_f32_e32 v3, 0x4f800000, v2
	v_cmp_gt_f32_e32 vcc_lo, 0xf800000, v2
	s_delay_alu instid0(VALU_DEP_2) | instskip(NEXT) | instid1(VALU_DEP_1)
	v_cndmask_b32_e32 v2, v2, v3, vcc_lo
	v_sqrt_f32_e32 v3, v2
	s_waitcnt_depctr 0xfff
	v_add_nc_u32_e32 v10, -1, v3
	v_add_nc_u32_e32 v11, 1, v3
	s_delay_alu instid0(VALU_DEP_2) | instskip(NEXT) | instid1(VALU_DEP_2)
	v_fma_f32 v12, -v10, v3, v2
	v_fma_f32 v13, -v11, v3, v2
	s_delay_alu instid0(VALU_DEP_2) | instskip(NEXT) | instid1(VALU_DEP_1)
	v_cmp_ge_f32_e64 s1, 0, v12
	v_cndmask_b32_e64 v3, v3, v10, s1
	s_delay_alu instid0(VALU_DEP_3) | instskip(NEXT) | instid1(VALU_DEP_1)
	v_cmp_lt_f32_e64 s1, 0, v13
	v_cndmask_b32_e64 v3, v3, v11, s1
	s_delay_alu instid0(VALU_DEP_1) | instskip(NEXT) | instid1(VALU_DEP_1)
	v_mul_f32_e32 v10, 0x37800000, v3
	v_cndmask_b32_e32 v3, v3, v10, vcc_lo
	v_cmp_class_f32_e64 vcc_lo, v2, 0x260
	s_delay_alu instid0(VALU_DEP_2)
	v_cndmask_b32_e32 v2, v3, v2, vcc_lo
	ds_store_b32 v9, v2 offset:592
.LBB5_67:
	s_or_b32 exec_lo, exec_lo, s3
	v_mov_b32_e32 v2, 0
	s_waitcnt lgkmcnt(0)
	buffer_gl0_inv
	ds_load_b32 v2, v2 offset:592
	s_waitcnt lgkmcnt(0)
	v_cmp_neq_f32_e32 vcc_lo, 0, v2
	v_cndmask_b32_e32 v2, 1.0, v2, vcc_lo
	s_or_b32 s1, vcc_lo, s0
	s_delay_alu instid0(SALU_CYCLE_1) | instskip(NEXT) | instid1(SALU_CYCLE_1)
	s_xor_b32 s3, s1, -1
	s_and_saveexec_b32 s1, s3
	s_cbranch_execz .LBB5_71
; %bb.68:
	v_mbcnt_lo_u32_b32 v2, exec_lo, 0
	s_mov_b32 s3, exec_lo
	s_delay_alu instid0(VALU_DEP_1)
	v_cmpx_eq_u32_e32 0, v2
	s_cbranch_execz .LBB5_70
; %bb.69:
	v_dual_mov_b32 v2, 0 :: v_dual_mov_b32 v3, s2
	global_atomic_min_i32 v2, v3, s[10:11]
.LBB5_70:
	s_or_b32 exec_lo, exec_lo, s3
	v_mov_b32_e32 v2, 1.0
.LBB5_71:
	s_or_b32 exec_lo, exec_lo, s1
	s_delay_alu instid0(SALU_CYCLE_1)
	s_mov_b32 s1, exec_lo
	v_cmpx_lt_u32_e32 2, v5
	s_cbranch_execz .LBB5_73
; %bb.72:
	v_mul_u32_u24_e32 v3, 20, v5
	ds_load_2addr_b32 v[9:10], v3 offset0:138 offset1:158
	s_waitcnt lgkmcnt(0)
	v_sub_f32_e32 v9, v9, v10
	s_delay_alu instid0(VALU_DEP_1) | instskip(SKIP_1) | instid1(VALU_DEP_2)
	v_div_scale_f32 v10, null, v2, v2, v9
	v_div_scale_f32 v13, vcc_lo, v9, v2, v9
	v_rcp_f32_e32 v11, v10
	s_waitcnt_depctr 0xfff
	v_fma_f32 v12, -v10, v11, 1.0
	s_delay_alu instid0(VALU_DEP_1) | instskip(NEXT) | instid1(VALU_DEP_1)
	v_fmac_f32_e32 v11, v12, v11
	v_mul_f32_e32 v12, v13, v11
	s_delay_alu instid0(VALU_DEP_1) | instskip(NEXT) | instid1(VALU_DEP_1)
	v_fma_f32 v14, -v10, v12, v13
	v_fmac_f32_e32 v12, v14, v11
	s_delay_alu instid0(VALU_DEP_1) | instskip(NEXT) | instid1(VALU_DEP_1)
	v_fma_f32 v10, -v10, v12, v13
	v_div_fmas_f32 v10, v10, v11, v12
	s_delay_alu instid0(VALU_DEP_1)
	v_div_fixup_f32 v2, v10, v2, v9
	v_mul_u32_u24_e32 v9, 20, v4
	ds_store_b32 v3, v2 offset:552
	s_waitcnt lgkmcnt(0)
	s_waitcnt_vscnt null, 0x0
	buffer_gl0_inv
	ds_load_b32 v3, v9 offset:552
	ds_load_b32 v9, v7
	s_waitcnt lgkmcnt(0)
	v_fmac_f32_e32 v9, v2, v3
	ds_store_b32 v7, v9
.LBB5_73:
	s_or_b32 exec_lo, exec_lo, s1
	s_delay_alu instid0(SALU_CYCLE_1)
	s_mov_b32 s3, exec_lo
	s_waitcnt lgkmcnt(0)
	s_waitcnt_vscnt null, 0x0
	buffer_gl0_inv
	v_cmpx_eq_u32_e32 3, v5
	s_cbranch_execz .LBB5_75
; %bb.74:
	v_mov_b32_e32 v9, 0
	ds_load_2addr_b32 v[2:3], v9 offset0:154 offset1:174
	s_waitcnt lgkmcnt(0)
	v_sub_f32_e32 v2, v2, v3
	s_delay_alu instid0(VALU_DEP_1) | instskip(SKIP_1) | instid1(VALU_DEP_1)
	v_cmp_gt_f32_e32 vcc_lo, 0, v2
	v_cndmask_b32_e64 v2, v2, -v2, vcc_lo
	v_mul_f32_e32 v3, 0x4f800000, v2
	v_cmp_gt_f32_e32 vcc_lo, 0xf800000, v2
	s_delay_alu instid0(VALU_DEP_2) | instskip(NEXT) | instid1(VALU_DEP_1)
	v_cndmask_b32_e32 v2, v2, v3, vcc_lo
	v_sqrt_f32_e32 v3, v2
	s_waitcnt_depctr 0xfff
	v_add_nc_u32_e32 v10, -1, v3
	v_add_nc_u32_e32 v11, 1, v3
	s_delay_alu instid0(VALU_DEP_2) | instskip(NEXT) | instid1(VALU_DEP_2)
	v_fma_f32 v12, -v10, v3, v2
	v_fma_f32 v13, -v11, v3, v2
	s_delay_alu instid0(VALU_DEP_2) | instskip(NEXT) | instid1(VALU_DEP_1)
	v_cmp_ge_f32_e64 s1, 0, v12
	v_cndmask_b32_e64 v3, v3, v10, s1
	s_delay_alu instid0(VALU_DEP_3) | instskip(NEXT) | instid1(VALU_DEP_1)
	v_cmp_lt_f32_e64 s1, 0, v13
	v_cndmask_b32_e64 v3, v3, v11, s1
	s_delay_alu instid0(VALU_DEP_1) | instskip(NEXT) | instid1(VALU_DEP_1)
	v_mul_f32_e32 v10, 0x37800000, v3
	v_cndmask_b32_e32 v3, v3, v10, vcc_lo
	v_cmp_class_f32_e64 vcc_lo, v2, 0x260
	s_delay_alu instid0(VALU_DEP_2)
	v_cndmask_b32_e32 v2, v3, v2, vcc_lo
	ds_store_b32 v9, v2 offset:616
.LBB5_75:
	s_or_b32 exec_lo, exec_lo, s3
	v_mov_b32_e32 v2, 0
	s_waitcnt lgkmcnt(0)
	buffer_gl0_inv
	ds_load_b32 v2, v2 offset:616
	s_waitcnt lgkmcnt(0)
	v_cmp_neq_f32_e32 vcc_lo, 0, v2
	v_cndmask_b32_e32 v3, 1.0, v2, vcc_lo
	s_or_b32 s0, vcc_lo, s0
	s_delay_alu instid0(SALU_CYCLE_1) | instskip(NEXT) | instid1(SALU_CYCLE_1)
	s_xor_b32 s1, s0, -1
	s_and_saveexec_b32 s0, s1
	s_cbranch_execz .LBB5_79
; %bb.76:
	v_mbcnt_lo_u32_b32 v2, exec_lo, 0
	s_mov_b32 s1, exec_lo
	s_delay_alu instid0(VALU_DEP_1)
	v_cmpx_eq_u32_e32 0, v2
	s_cbranch_execz .LBB5_78
; %bb.77:
	v_dual_mov_b32 v2, 0 :: v_dual_mov_b32 v3, s2
	global_atomic_min_i32 v2, v3, s[10:11]
.LBB5_78:
	s_or_b32 exec_lo, exec_lo, s1
	v_mov_b32_e32 v3, 1.0
.LBB5_79:
	s_or_b32 exec_lo, exec_lo, s0
	v_add_nc_u32_e32 v2, 0x220, v8
	s_mov_b32 s0, exec_lo
	v_cmpx_lt_u32_e32 3, v5
	s_cbranch_execz .LBB5_81
; %bb.80:
	v_mul_u32_u24_e32 v10, 20, v5
	ds_load_2addr_b32 v[8:9], v10 offset0:139 offset1:159
	s_waitcnt lgkmcnt(0)
	v_sub_f32_e32 v8, v8, v9
	s_delay_alu instid0(VALU_DEP_1) | instskip(SKIP_1) | instid1(VALU_DEP_2)
	v_div_scale_f32 v9, null, v3, v3, v8
	v_div_scale_f32 v13, vcc_lo, v8, v3, v8
	v_rcp_f32_e32 v11, v9
	s_waitcnt_depctr 0xfff
	v_fma_f32 v12, -v9, v11, 1.0
	s_delay_alu instid0(VALU_DEP_1) | instskip(NEXT) | instid1(VALU_DEP_1)
	v_fmac_f32_e32 v11, v12, v11
	v_mul_f32_e32 v12, v13, v11
	s_delay_alu instid0(VALU_DEP_1) | instskip(NEXT) | instid1(VALU_DEP_1)
	v_fma_f32 v14, -v9, v12, v13
	v_fmac_f32_e32 v12, v14, v11
	s_delay_alu instid0(VALU_DEP_1) | instskip(NEXT) | instid1(VALU_DEP_1)
	v_fma_f32 v9, -v9, v12, v13
	v_div_fmas_f32 v9, v9, v11, v12
	s_delay_alu instid0(VALU_DEP_1)
	v_div_fixup_f32 v3, v9, v3, v8
	v_mul_u32_u24_e32 v8, 20, v4
	ds_store_b32 v10, v3 offset:556
	s_waitcnt lgkmcnt(0)
	s_waitcnt_vscnt null, 0x0
	buffer_gl0_inv
	ds_load_b32 v8, v8 offset:556
	ds_load_b32 v9, v7
	s_waitcnt lgkmcnt(0)
	v_fmac_f32_e32 v9, v3, v8
	ds_store_b32 v7, v9
.LBB5_81:
	s_or_b32 exec_lo, exec_lo, s0
	s_waitcnt lgkmcnt(0)
	s_waitcnt_vscnt null, 0x0
	buffer_gl0_inv
	ds_load_b32 v2, v2
	v_cmp_eq_u32_e64 s3, 0, v6
	s_waitcnt lgkmcnt(0)
	global_store_b32 v[0:1], v2, off
	s_branch .LBB5_87
.LBB5_82:
	v_or_b32_e32 v0, v4, v5
	s_mov_b32 s0, exec_lo
	s_delay_alu instid0(VALU_DEP_1)
	v_cmpx_eq_u32_e32 0, v0
	s_cbranch_execz .LBB5_86
; %bb.83:
	v_mbcnt_lo_u32_b32 v0, exec_lo, 0
	s_mov_b32 s1, exec_lo
	s_delay_alu instid0(VALU_DEP_1)
	v_cmpx_eq_u32_e32 0, v0
	s_cbranch_execz .LBB5_85
; %bb.84:
	s_add_i32 s2, s16, s17
	s_delay_alu instid0(SALU_CYCLE_1)
	v_dual_mov_b32 v0, 0 :: v_dual_mov_b32 v1, s2
	global_atomic_min_i32 v0, v1, s[10:11]
.LBB5_85:
	s_or_b32 exec_lo, exec_lo, s1
	s_delay_alu instid0(SALU_CYCLE_1)
	s_or_b32 s3, s3, exec_lo
.LBB5_86:
	s_or_b32 exec_lo, exec_lo, s0
.LBB5_87:
	s_and_saveexec_b32 s0, s3
	s_cbranch_execnz .LBB5_89
; %bb.88:
	s_nop 0
	s_sendmsg sendmsg(MSG_DEALLOC_VGPRS)
	s_endpgm
.LBB5_89:
	v_dual_mov_b32 v0, 0 :: v_dual_mov_b32 v1, 1
	s_add_u32 s0, s6, s8
	s_addc_u32 s1, s7, s9
	s_waitcnt_vscnt null, 0x0
	global_store_b32 v0, v1, s[0:1]
	s_nop 0
	s_sendmsg sendmsg(MSG_DEALLOC_VGPRS)
	s_endpgm
	.section	.rodata,"a",@progbits
	.p2align	6, 0x0
	.amdhsa_kernel _ZN9rocsparseL26bsric0_2_8_unrolled_kernelILi16ELi32ELi4EfEEv20rocsparse_direction_iiPKiS3_PT2_S3_PiS3_S6_21rocsparse_index_base_
		.amdhsa_group_segment_fixed_size 704
		.amdhsa_private_segment_fixed_size 0
		.amdhsa_kernarg_size 76
		.amdhsa_user_sgpr_count 15
		.amdhsa_user_sgpr_dispatch_ptr 0
		.amdhsa_user_sgpr_queue_ptr 0
		.amdhsa_user_sgpr_kernarg_segment_ptr 1
		.amdhsa_user_sgpr_dispatch_id 0
		.amdhsa_user_sgpr_private_segment_size 0
		.amdhsa_wavefront_size32 1
		.amdhsa_uses_dynamic_stack 0
		.amdhsa_enable_private_segment 0
		.amdhsa_system_sgpr_workgroup_id_x 1
		.amdhsa_system_sgpr_workgroup_id_y 0
		.amdhsa_system_sgpr_workgroup_id_z 0
		.amdhsa_system_sgpr_workgroup_info 0
		.amdhsa_system_vgpr_workitem_id 1
		.amdhsa_next_free_vgpr 39
		.amdhsa_next_free_sgpr 37
		.amdhsa_reserve_vcc 1
		.amdhsa_float_round_mode_32 0
		.amdhsa_float_round_mode_16_64 0
		.amdhsa_float_denorm_mode_32 3
		.amdhsa_float_denorm_mode_16_64 3
		.amdhsa_dx10_clamp 1
		.amdhsa_ieee_mode 1
		.amdhsa_fp16_overflow 0
		.amdhsa_workgroup_processor_mode 1
		.amdhsa_memory_ordered 1
		.amdhsa_forward_progress 0
		.amdhsa_shared_vgpr_count 0
		.amdhsa_exception_fp_ieee_invalid_op 0
		.amdhsa_exception_fp_denorm_src 0
		.amdhsa_exception_fp_ieee_div_zero 0
		.amdhsa_exception_fp_ieee_overflow 0
		.amdhsa_exception_fp_ieee_underflow 0
		.amdhsa_exception_fp_ieee_inexact 0
		.amdhsa_exception_int_div_zero 0
	.end_amdhsa_kernel
	.section	.text._ZN9rocsparseL26bsric0_2_8_unrolled_kernelILi16ELi32ELi4EfEEv20rocsparse_direction_iiPKiS3_PT2_S3_PiS3_S6_21rocsparse_index_base_,"axG",@progbits,_ZN9rocsparseL26bsric0_2_8_unrolled_kernelILi16ELi32ELi4EfEEv20rocsparse_direction_iiPKiS3_PT2_S3_PiS3_S6_21rocsparse_index_base_,comdat
.Lfunc_end5:
	.size	_ZN9rocsparseL26bsric0_2_8_unrolled_kernelILi16ELi32ELi4EfEEv20rocsparse_direction_iiPKiS3_PT2_S3_PiS3_S6_21rocsparse_index_base_, .Lfunc_end5-_ZN9rocsparseL26bsric0_2_8_unrolled_kernelILi16ELi32ELi4EfEEv20rocsparse_direction_iiPKiS3_PT2_S3_PiS3_S6_21rocsparse_index_base_
                                        ; -- End function
	.section	.AMDGPU.csdata,"",@progbits
; Kernel info:
; codeLenInByte = 5392
; NumSgprs: 39
; NumVgprs: 39
; ScratchSize: 0
; MemoryBound: 0
; FloatMode: 240
; IeeeMode: 1
; LDSByteSize: 704 bytes/workgroup (compile time only)
; SGPRBlocks: 4
; VGPRBlocks: 4
; NumSGPRsForWavesPerEU: 39
; NumVGPRsForWavesPerEU: 39
; Occupancy: 16
; WaveLimiterHint : 1
; COMPUTE_PGM_RSRC2:SCRATCH_EN: 0
; COMPUTE_PGM_RSRC2:USER_SGPR: 15
; COMPUTE_PGM_RSRC2:TRAP_HANDLER: 0
; COMPUTE_PGM_RSRC2:TGID_X_EN: 1
; COMPUTE_PGM_RSRC2:TGID_Y_EN: 0
; COMPUTE_PGM_RSRC2:TGID_Z_EN: 0
; COMPUTE_PGM_RSRC2:TIDIG_COMP_CNT: 1
	.section	.text._ZN9rocsparseL26bsric0_2_8_unrolled_kernelILi25ELi32ELi5EfEEv20rocsparse_direction_iiPKiS3_PT2_S3_PiS3_S6_21rocsparse_index_base_,"axG",@progbits,_ZN9rocsparseL26bsric0_2_8_unrolled_kernelILi25ELi32ELi5EfEEv20rocsparse_direction_iiPKiS3_PT2_S3_PiS3_S6_21rocsparse_index_base_,comdat
	.globl	_ZN9rocsparseL26bsric0_2_8_unrolled_kernelILi25ELi32ELi5EfEEv20rocsparse_direction_iiPKiS3_PT2_S3_PiS3_S6_21rocsparse_index_base_ ; -- Begin function _ZN9rocsparseL26bsric0_2_8_unrolled_kernelILi25ELi32ELi5EfEEv20rocsparse_direction_iiPKiS3_PT2_S3_PiS3_S6_21rocsparse_index_base_
	.p2align	8
	.type	_ZN9rocsparseL26bsric0_2_8_unrolled_kernelILi25ELi32ELi5EfEEv20rocsparse_direction_iiPKiS3_PT2_S3_PiS3_S6_21rocsparse_index_base_,@function
_ZN9rocsparseL26bsric0_2_8_unrolled_kernelILi25ELi32ELi5EfEEv20rocsparse_direction_iiPKiS3_PT2_S3_PiS3_S6_21rocsparse_index_base_: ; @_ZN9rocsparseL26bsric0_2_8_unrolled_kernelILi25ELi32ELi5EfEEv20rocsparse_direction_iiPKiS3_PT2_S3_PiS3_S6_21rocsparse_index_base_
; %bb.0:
	s_load_b256 s[4:11], s[0:1], 0x28
	s_mov_b32 s2, s15
	s_mov_b32 s3, 0
	v_and_b32_e32 v5, 0x3ff, v0
	s_lshl_b64 s[12:13], s[2:3], 2
	v_bfe_u32 v6, v0, 10, 10
	s_waitcnt lgkmcnt(0)
	s_add_u32 s8, s8, s12
	s_addc_u32 s9, s9, s13
	s_load_b32 s16, s[8:9], 0x0
	s_waitcnt lgkmcnt(0)
	s_ashr_i32 s17, s16, 31
	s_delay_alu instid0(SALU_CYCLE_1) | instskip(NEXT) | instid1(SALU_CYCLE_1)
	s_lshl_b64 s[8:9], s[16:17], 2
	s_add_u32 s12, s4, s8
	s_addc_u32 s13, s5, s9
	s_load_b32 s26, s[12:13], 0x0
	s_load_b32 s17, s[0:1], 0x48
	s_waitcnt lgkmcnt(0)
	s_cmp_lg_u32 s26, -1
	s_cbranch_scc0 .LBB6_97
; %bb.1:
	s_clause 0x1
	s_load_b128 s[12:15], s[0:1], 0x10
	s_load_b64 s[18:19], s[0:1], 0x20
	v_mad_u32_u24 v7, v6, 5, v5
	s_waitcnt lgkmcnt(0)
	s_add_u32 s2, s12, s8
	s_addc_u32 s3, s13, s9
	s_load_b32 s2, s[2:3], 0x0
	s_mov_b32 s3, exec_lo
	s_waitcnt lgkmcnt(0)
	s_sub_i32 s27, s2, s17
	s_delay_alu instid0(SALU_CYCLE_1) | instskip(NEXT) | instid1(VALU_DEP_1)
	v_add_nc_u32_e32 v0, s27, v7
	v_cmpx_ge_i32_e64 s26, v0
	s_cbranch_execz .LBB6_4
; %bb.2:
	v_ashrrev_i32_e32 v1, 31, v0
	v_lshl_add_u32 v3, v7, 2, 0x100
	s_mov_b32 s20, 0
	s_delay_alu instid0(VALU_DEP_2) | instskip(NEXT) | instid1(VALU_DEP_1)
	v_lshlrev_b64 v[1:2], 2, v[0:1]
	v_add_co_u32 v1, vcc_lo, s14, v1
	s_delay_alu instid0(VALU_DEP_2)
	v_add_co_ci_u32_e32 v2, vcc_lo, s15, v2, vcc_lo
	.p2align	6
.LBB6_3:                                ; =>This Inner Loop Header: Depth=1
	global_load_b32 v4, v[1:2], off
	v_add_nc_u32_e32 v0, 25, v0
	v_add_co_u32 v1, vcc_lo, 0x64, v1
	v_add_co_ci_u32_e32 v2, vcc_lo, 0, v2, vcc_lo
	s_delay_alu instid0(VALU_DEP_3) | instskip(NEXT) | instid1(VALU_DEP_1)
	v_cmp_lt_i32_e64 s2, s26, v0
	s_or_b32 s20, s2, s20
	s_waitcnt vmcnt(0)
	v_subrev_nc_u32_e32 v4, s17, v4
	ds_store_b32 v3, v4
	v_add_nc_u32_e32 v3, 0x64, v3
	s_and_not1_b32 exec_lo, exec_lo, s20
	s_cbranch_execnz .LBB6_3
.LBB6_4:
	s_or_b32 exec_lo, exec_lo, s3
	s_load_b32 s1, s[0:1], 0x0
	v_lshlrev_b32_e32 v0, 2, v5
	v_mul_u32_u24_e32 v11, 5, v6
	v_mad_u32_u24 v8, v5, 5, v6
	s_cmp_ge_i32 s27, s26
	s_delay_alu instid0(VALU_DEP_3) | instskip(NEXT) | instid1(VALU_DEP_1)
	v_mad_u32_u24 v10, v6, 24, v0
	v_dual_mov_b32 v12, 0 :: v_dual_add_nc_u32 v9, 0x300, v10
	ds_store_b32 v10, v12 offset:768
	s_waitcnt lgkmcnt(0)
	buffer_gl0_inv
	s_cbranch_scc1 .LBB6_50
; %bb.5:
	v_mad_u32_u24 v1, v5, 5, v6
	v_mad_u32_u24 v13, v6, 24, 0x280
	v_mul_u32_u24_e32 v2, 24, v6
	v_mad_u32_u24 v14, v6, 24, 0x200
	v_or_b32_e32 v3, v5, v6
	s_cmp_eq_u32 s1, 0
	v_mul_u32_u24_e32 v15, 5, v5
	s_cselect_b32 vcc_lo, -1, 0
	v_add_nc_u32_e32 v16, v13, v0
	v_add3_u32 v17, v2, v0, 0x180
	v_add_nc_u32_e32 v18, v14, v0
	v_cmp_ne_u32_e64 s0, 0, v3
	v_mad_u32_u24 v19, v5, 24, 0x280
	v_cndmask_b32_e32 v0, v1, v7, vcc_lo
	s_cmp_lg_u32 s1, 0
	s_mov_b32 s2, s27
	s_cselect_b32 s28, -1, 0
	s_branch .LBB6_9
.LBB6_6:                                ;   in Loop: Header=BB6_9 Depth=1
	s_or_b32 exec_lo, exec_lo, s21
	v_mov_b32_e32 v4, 1.0
.LBB6_7:                                ;   in Loop: Header=BB6_9 Depth=1
	s_or_b32 exec_lo, exec_lo, s20
	ds_load_b128 v[20:23], v12 offset:480
	ds_load_2addr_b64 v[24:27], v13 offset1:1
	ds_load_b32 v28, v14 offset:16
	s_add_i32 s2, s2, 1
	s_delay_alu instid0(SALU_CYCLE_1) | instskip(SKIP_3) | instid1(VALU_DEP_1)
	s_cmp_ge_i32 s2, s26
	s_cselect_b32 s24, -1, 0
	s_waitcnt lgkmcnt(0)
	v_fmac_f32_e32 v28, v20, v24
	v_fmac_f32_e32 v28, v21, v25
	s_delay_alu instid0(VALU_DEP_1) | instskip(NEXT) | instid1(VALU_DEP_1)
	v_fmac_f32_e32 v28, v22, v26
	v_fmac_f32_e32 v28, v23, v27
	s_delay_alu instid0(VALU_DEP_1) | instskip(NEXT) | instid1(VALU_DEP_1)
	v_sub_f32_e32 v3, v3, v28
	v_div_scale_f32 v20, null, v4, v4, v3
	v_div_scale_f32 v23, vcc_lo, v3, v4, v3
	s_delay_alu instid0(VALU_DEP_2) | instskip(SKIP_2) | instid1(VALU_DEP_1)
	v_rcp_f32_e32 v21, v20
	s_waitcnt_depctr 0xfff
	v_fma_f32 v22, -v20, v21, 1.0
	v_fmac_f32_e32 v21, v22, v21
	s_delay_alu instid0(VALU_DEP_1) | instskip(NEXT) | instid1(VALU_DEP_1)
	v_mul_f32_e32 v22, v23, v21
	v_fma_f32 v24, -v20, v22, v23
	s_delay_alu instid0(VALU_DEP_1) | instskip(NEXT) | instid1(VALU_DEP_1)
	v_fmac_f32_e32 v22, v24, v21
	v_fma_f32 v20, -v20, v22, v23
	s_delay_alu instid0(VALU_DEP_1) | instskip(NEXT) | instid1(VALU_DEP_1)
	v_div_fmas_f32 v20, v20, v21, v22
	v_div_fixup_f32 v3, v20, v4, v3
	ds_store_b32 v13, v3 offset:16
	s_waitcnt lgkmcnt(0)
	s_waitcnt_vscnt null, 0x0
	buffer_gl0_inv
	ds_load_b32 v4, v19 offset:16
	ds_load_b32 v20, v9
	s_waitcnt lgkmcnt(0)
	v_fmac_f32_e32 v20, v3, v4
	ds_store_b32 v9, v20
	s_waitcnt lgkmcnt(0)
	buffer_gl0_inv
	ds_load_b32 v3, v16
	s_waitcnt lgkmcnt(0)
	global_store_b32 v[1:2], v3, off
	s_waitcnt_vscnt null, 0x0
	buffer_gl1_inv
	buffer_gl0_inv
.LBB6_8:                                ;   in Loop: Header=BB6_9 Depth=1
	s_and_b32 vcc_lo, exec_lo, s24
	s_cbranch_vccnz .LBB6_50
.LBB6_9:                                ; =>This Loop Header: Depth=1
                                        ;     Child Loop BB6_12 Depth 2
                                        ;     Child Loop BB6_23 Depth 2
	s_ashr_i32 s3, s2, 31
	s_delay_alu instid0(SALU_CYCLE_1) | instskip(NEXT) | instid1(SALU_CYCLE_1)
	s_lshl_b64 s[20:21], s[2:3], 2
	s_add_u32 s20, s14, s20
	s_addc_u32 s21, s15, s21
	s_load_b32 s3, s[20:21], 0x0
	s_waitcnt lgkmcnt(0)
	s_sub_i32 s22, s3, s17
	s_delay_alu instid0(SALU_CYCLE_1) | instskip(NEXT) | instid1(SALU_CYCLE_1)
	s_ashr_i32 s23, s22, 31
	s_lshl_b64 s[20:21], s[22:23], 2
	s_delay_alu instid0(SALU_CYCLE_1)
	s_add_u32 s24, s4, s20
	s_addc_u32 s25, s5, s21
	s_load_b32 s23, s[24:25], 0x0
	s_mov_b32 s24, -1
	s_waitcnt lgkmcnt(0)
	s_cmp_eq_u32 s23, -1
	s_cbranch_scc1 .LBB6_8
; %bb.10:                               ;   in Loop: Header=BB6_9 Depth=1
	v_mad_u64_u32 v[1:2], null, s2, 25, v[0:1]
	s_add_u32 s24, s12, s20
	s_addc_u32 s25, s13, s21
	ds_load_b32 v4, v12 offset:256
	s_load_b32 s24, s[24:25], 0x0
	v_ashrrev_i32_e32 v2, 31, v1
	s_delay_alu instid0(VALU_DEP_1) | instskip(NEXT) | instid1(VALU_DEP_1)
	v_lshlrev_b64 v[1:2], 2, v[1:2]
	v_add_co_u32 v1, vcc_lo, s18, v1
	s_delay_alu instid0(VALU_DEP_2)
	v_add_co_ci_u32_e32 v2, vcc_lo, s19, v2, vcc_lo
	s_waitcnt lgkmcnt(0)
	v_cmp_ge_i32_e32 vcc_lo, s22, v4
	s_sub_i32 s24, s24, s17
	global_load_b32 v3, v[1:2], off
	s_cmp_le_i32 s24, s23
	s_cselect_b32 s25, -1, 0
	s_delay_alu instid0(SALU_CYCLE_1) | instskip(NEXT) | instid1(SALU_CYCLE_1)
	s_and_b32 s25, s25, vcc_lo
	s_and_not1_b32 vcc_lo, exec_lo, s25
	s_mov_b32 s25, 0
	s_waitcnt vmcnt(0)
	ds_store_b32 v16, v3
	s_cbranch_vccnz .LBB6_22
; %bb.11:                               ;   in Loop: Header=BB6_9 Depth=1
	s_mov_b32 s29, 0
	s_mov_b32 s30, 0
.LBB6_12:                               ;   Parent Loop BB6_9 Depth=1
                                        ; =>  This Inner Loop Header: Depth=2
	s_ashr_i32 s25, s24, 31
                                        ; implicit-def: $sgpr33
	s_delay_alu instid0(SALU_CYCLE_1) | instskip(NEXT) | instid1(SALU_CYCLE_1)
	s_lshl_b64 s[34:35], s[24:25], 2
	s_add_u32 s34, s14, s34
	s_addc_u32 s35, s15, s35
	s_lshl_b32 s25, s30, 2
	s_delay_alu instid0(SALU_CYCLE_1)
	v_mov_b32_e32 v3, s25
	s_load_b32 s25, s[34:35], 0x0
	s_mov_b32 s35, -1
                                        ; implicit-def: $sgpr34
	ds_load_b32 v3, v3 offset:256
	s_waitcnt lgkmcnt(0)
	s_sub_i32 s36, s25, s17
                                        ; implicit-def: $sgpr25
	s_delay_alu instid0(SALU_CYCLE_1)
	v_cmp_ge_i32_e32 vcc_lo, s36, v3
	v_readfirstlane_b32 s31, v3
	s_cbranch_vccz .LBB6_18
; %bb.13:                               ;   in Loop: Header=BB6_12 Depth=2
	s_delay_alu instid0(VALU_DEP_1)
	s_cmp_le_i32 s36, s31
                                        ; implicit-def: $sgpr25
                                        ; implicit-def: $sgpr34
                                        ; implicit-def: $sgpr33
	s_cbranch_scc0 .LBB6_15
; %bb.14:                               ;   in Loop: Header=BB6_12 Depth=2
	s_add_i32 s25, s30, s27
	s_lshl_b32 s33, s29, 2
	s_mul_i32 s25, s25, 25
	s_delay_alu instid0(SALU_CYCLE_1)
	v_dual_mov_b32 v3, s33 :: v_dual_mov_b32 v4, s25
	s_mul_i32 s33, s24, 25
	s_add_i32 s34, s24, 1
	v_mov_b32_e32 v20, s33
	s_add_i32 s33, s30, 1
	s_add_i32 s25, s29, 1
	s_mov_b32 s35, 0
	ds_store_2addr_b32 v3, v20, v4 offset1:32
.LBB6_15:                               ;   in Loop: Header=BB6_12 Depth=2
	s_and_not1_b32 vcc_lo, exec_lo, s35
	s_cbranch_vccnz .LBB6_17
; %bb.16:                               ;   in Loop: Header=BB6_12 Depth=2
	s_add_i32 s33, s30, 1
	s_mov_b32 s25, s29
	s_mov_b32 s34, s24
.LBB6_17:                               ;   in Loop: Header=BB6_12 Depth=2
	s_mov_b32 s35, 0
.LBB6_18:                               ;   in Loop: Header=BB6_12 Depth=2
	s_delay_alu instid0(SALU_CYCLE_1)
	s_and_not1_b32 vcc_lo, exec_lo, s35
	s_cbranch_vccnz .LBB6_20
; %bb.19:                               ;   in Loop: Header=BB6_12 Depth=2
	s_add_i32 s34, s24, 1
	s_mov_b32 s33, s30
	s_mov_b32 s25, s29
.LBB6_20:                               ;   in Loop: Header=BB6_12 Depth=2
	s_cmp_le_i32 s34, s23
	s_cselect_b32 s24, -1, 0
	s_cmp_le_i32 s31, s22
	s_cselect_b32 s29, -1, 0
	s_delay_alu instid0(SALU_CYCLE_1) | instskip(NEXT) | instid1(SALU_CYCLE_1)
	s_and_b32 s24, s24, s29
	s_and_b32 vcc_lo, exec_lo, s24
	s_cbranch_vccz .LBB6_22
; %bb.21:                               ;   in Loop: Header=BB6_12 Depth=2
	s_mov_b32 s29, s25
	s_mov_b32 s24, s34
	;; [unrolled: 1-line block ×3, first 2 shown]
	s_branch .LBB6_12
.LBB6_22:                               ;   in Loop: Header=BB6_9 Depth=1
	s_add_u32 s20, s6, s20
	s_addc_u32 s21, s7, s21
	s_waitcnt lgkmcnt(0)
	buffer_gl0_inv
.LBB6_23:                               ;   Parent Loop BB6_9 Depth=1
                                        ; =>  This Inner Loop Header: Depth=2
	global_load_b32 v3, v12, s[20:21] glc
	s_waitcnt vmcnt(0)
	v_cmp_eq_u32_e32 vcc_lo, 0, v3
	s_cbranch_vccnz .LBB6_23
; %bb.24:                               ;   in Loop: Header=BB6_9 Depth=1
	v_mad_u64_u32 v[3:4], null, s23, 25, v[0:1]
	buffer_gl1_inv
	buffer_gl0_inv
	v_mov_b32_e32 v21, 0
	s_cmp_lt_i32 s25, 2
	v_ashrrev_i32_e32 v4, 31, v3
	s_delay_alu instid0(VALU_DEP_1) | instskip(NEXT) | instid1(VALU_DEP_1)
	v_lshlrev_b64 v[3:4], 2, v[3:4]
	v_add_co_u32 v3, vcc_lo, s18, v3
	s_delay_alu instid0(VALU_DEP_2)
	v_add_co_ci_u32_e32 v4, vcc_lo, s19, v4, vcc_lo
	global_load_b32 v3, v[3:4], off
	s_waitcnt vmcnt(0)
	ds_store_b32 v17, v3
	s_waitcnt lgkmcnt(0)
	buffer_gl0_inv
	s_cbranch_scc1 .LBB6_31
; %bb.25:                               ;   in Loop: Header=BB6_9 Depth=1
	v_mov_b32_e32 v20, 0
	s_add_i32 s20, s25, -1
	s_mov_b32 s21, 0
	s_delay_alu instid0(SALU_CYCLE_1)
	v_mov_b32_e32 v3, s21
	s_and_b32 vcc_lo, exec_lo, s28
	ds_load_2addr_b32 v[3:4], v3 offset1:32
	s_cbranch_vccz .LBB6_27
.LBB6_26:                               ;   in Loop: Header=BB6_9 Depth=1
	s_waitcnt lgkmcnt(0)
	v_add_nc_u32_e32 v21, v3, v5
	v_add_nc_u32_e32 v23, v4, v6
	s_delay_alu instid0(VALU_DEP_2) | instskip(SKIP_1) | instid1(VALU_DEP_3)
	v_ashrrev_i32_e32 v22, 31, v21
	v_add_nc_u32_e32 v25, 5, v21
	v_ashrrev_i32_e32 v24, 31, v23
	v_add_nc_u32_e32 v27, 5, v23
	v_add_nc_u32_e32 v31, 10, v21
	v_lshlrev_b64 v[29:30], 2, v[21:22]
	v_ashrrev_i32_e32 v26, 31, v25
	v_lshlrev_b64 v[32:33], 2, v[23:24]
	v_ashrrev_i32_e32 v28, 31, v27
	v_add_nc_u32_e32 v36, 10, v23
	v_add_nc_u32_e32 v38, 15, v21
	v_add_co_u32 v29, vcc_lo, s18, v29
	v_lshlrev_b64 v[24:25], 2, v[25:26]
	v_add_co_ci_u32_e32 v30, vcc_lo, s19, v30, vcc_lo
	v_add_co_u32 v34, vcc_lo, s18, v32
	v_ashrrev_i32_e32 v32, 31, v31
	v_lshlrev_b64 v[26:27], 2, v[27:28]
	v_ashrrev_i32_e32 v37, 31, v36
	v_add_co_ci_u32_e32 v35, vcc_lo, s19, v33, vcc_lo
	v_add_nc_u32_e32 v40, 15, v23
	v_add_co_u32 v24, vcc_lo, s18, v24
	v_lshlrev_b64 v[31:32], 2, v[31:32]
	v_ashrrev_i32_e32 v39, 31, v38
	v_add_co_ci_u32_e32 v25, vcc_lo, s19, v25, vcc_lo
	v_add_co_u32 v26, vcc_lo, s18, v26
	v_lshlrev_b64 v[36:37], 2, v[36:37]
	v_ashrrev_i32_e32 v41, 31, v40
	v_add_co_ci_u32_e32 v27, vcc_lo, s19, v27, vcc_lo
	v_add_co_u32 v31, vcc_lo, s18, v31
	v_lshlrev_b64 v[38:39], 2, v[38:39]
	v_add_nc_u32_e32 v21, 20, v21
	v_add_co_ci_u32_e32 v32, vcc_lo, s19, v32, vcc_lo
	v_add_co_u32 v36, vcc_lo, s18, v36
	v_lshlrev_b64 v[40:41], 2, v[40:41]
	v_add_nc_u32_e32 v42, 20, v23
	v_add_co_ci_u32_e32 v37, vcc_lo, s19, v37, vcc_lo
	v_ashrrev_i32_e32 v22, 31, v21
	v_add_co_u32 v38, vcc_lo, s18, v38
	v_add_co_ci_u32_e32 v39, vcc_lo, s19, v39, vcc_lo
	v_ashrrev_i32_e32 v43, 31, v42
	v_add_co_u32 v40, vcc_lo, s18, v40
	v_lshlrev_b64 v[21:22], 2, v[21:22]
	v_add_co_ci_u32_e32 v41, vcc_lo, s19, v41, vcc_lo
	s_clause 0x7
	global_load_b32 v28, v[29:30], off
	global_load_b32 v29, v[34:35], off
	;; [unrolled: 1-line block ×8, first 2 shown]
	v_lshlrev_b64 v[23:24], 2, v[42:43]
	v_add_co_u32 v21, vcc_lo, s18, v21
	v_add_co_ci_u32_e32 v22, vcc_lo, s19, v22, vcc_lo
	s_delay_alu instid0(VALU_DEP_3) | instskip(NEXT) | instid1(VALU_DEP_4)
	v_add_co_u32 v23, vcc_lo, s18, v23
	v_add_co_ci_u32_e32 v24, vcc_lo, s19, v24, vcc_lo
	s_clause 0x1
	global_load_b32 v22, v[21:22], off
	global_load_b32 v23, v[23:24], off
	s_waitcnt vmcnt(8)
	v_fma_f32 v21, v28, v29, v20
	s_waitcnt vmcnt(6)
	s_delay_alu instid0(VALU_DEP_1) | instskip(SKIP_1) | instid1(VALU_DEP_1)
	v_fmac_f32_e32 v21, v25, v26
	s_waitcnt vmcnt(4)
	v_fmac_f32_e32 v21, v27, v30
	s_waitcnt vmcnt(2)
	s_delay_alu instid0(VALU_DEP_1) | instskip(SKIP_1) | instid1(VALU_DEP_1)
	v_fmac_f32_e32 v21, v31, v32
	s_waitcnt vmcnt(0)
	v_fmac_f32_e32 v21, v22, v23
	s_cbranch_execz .LBB6_28
	s_branch .LBB6_29
.LBB6_27:                               ;   in Loop: Header=BB6_9 Depth=1
                                        ; implicit-def: $vgpr21
.LBB6_28:                               ;   in Loop: Header=BB6_9 Depth=1
	s_waitcnt lgkmcnt(0)
	v_add_nc_u32_e32 v3, v3, v15
	v_add_nc_u32_e32 v21, v4, v11
	s_delay_alu instid0(VALU_DEP_2) | instskip(NEXT) | instid1(VALU_DEP_2)
	v_ashrrev_i32_e32 v4, 31, v3
	v_ashrrev_i32_e32 v22, 31, v21
	s_delay_alu instid0(VALU_DEP_2) | instskip(NEXT) | instid1(VALU_DEP_2)
	v_lshlrev_b64 v[3:4], 2, v[3:4]
	v_lshlrev_b64 v[21:22], 2, v[21:22]
	s_delay_alu instid0(VALU_DEP_2) | instskip(NEXT) | instid1(VALU_DEP_3)
	v_add_co_u32 v3, vcc_lo, s18, v3
	v_add_co_ci_u32_e32 v4, vcc_lo, s19, v4, vcc_lo
	s_delay_alu instid0(VALU_DEP_3) | instskip(NEXT) | instid1(VALU_DEP_4)
	v_add_co_u32 v29, vcc_lo, s18, v21
	v_add_co_ci_u32_e32 v30, vcc_lo, s19, v22, vcc_lo
	s_clause 0x3
	global_load_b128 v[21:24], v[3:4], off
	global_load_b128 v[25:28], v[29:30], off
	global_load_b32 v3, v[3:4], off offset:16
	global_load_b32 v4, v[29:30], off offset:16
	s_waitcnt vmcnt(2)
	v_fmac_f32_e32 v20, v21, v25
	s_delay_alu instid0(VALU_DEP_1) | instskip(NEXT) | instid1(VALU_DEP_1)
	v_fmac_f32_e32 v20, v22, v26
	v_fmac_f32_e32 v20, v23, v27
	s_delay_alu instid0(VALU_DEP_1) | instskip(SKIP_1) | instid1(VALU_DEP_1)
	v_fmac_f32_e32 v20, v24, v28
	s_waitcnt vmcnt(0)
	v_fmac_f32_e32 v20, v3, v4
	s_delay_alu instid0(VALU_DEP_1)
	v_mov_b32_e32 v21, v20
.LBB6_29:                               ;   in Loop: Header=BB6_9 Depth=1
	s_add_i32 s20, s20, -1
	s_add_i32 s21, s21, 4
	s_cmp_eq_u32 s20, 0
	s_cbranch_scc1 .LBB6_31
; %bb.30:                               ;   in Loop: Header=BB6_9 Depth=1
	s_waitcnt lgkmcnt(0)
	v_dual_mov_b32 v20, v21 :: v_dual_mov_b32 v3, s21
	s_and_b32 vcc_lo, exec_lo, s28
	ds_load_2addr_b32 v[3:4], v3 offset1:32
	s_cbranch_vccz .LBB6_27
	s_branch .LBB6_26
.LBB6_31:                               ;   in Loop: Header=BB6_9 Depth=1
	ds_store_b32 v18, v21
	s_waitcnt lgkmcnt(0)
	buffer_gl0_inv
	ds_load_b32 v4, v12 offset:384
	ds_load_b32 v3, v13
	s_waitcnt lgkmcnt(1)
	v_cmp_neq_f32_e32 vcc_lo, 0, v4
	v_cndmask_b32_e32 v4, 1.0, v4, vcc_lo
	s_or_b32 s20, vcc_lo, s0
	s_delay_alu instid0(SALU_CYCLE_1) | instskip(NEXT) | instid1(SALU_CYCLE_1)
	s_xor_b32 s21, s20, -1
	s_and_saveexec_b32 s20, s21
	s_cbranch_execz .LBB6_35
; %bb.32:                               ;   in Loop: Header=BB6_9 Depth=1
	v_mbcnt_lo_u32_b32 v4, exec_lo, 0
	s_mov_b32 s21, exec_lo
	s_delay_alu instid0(VALU_DEP_1)
	v_cmpx_eq_u32_e32 0, v4
	s_cbranch_execz .LBB6_34
; %bb.33:                               ;   in Loop: Header=BB6_9 Depth=1
	v_mov_b32_e32 v4, s3
	global_atomic_min_i32 v12, v4, s[10:11]
.LBB6_34:                               ;   in Loop: Header=BB6_9 Depth=1
	s_or_b32 exec_lo, exec_lo, s21
	v_mov_b32_e32 v4, 1.0
.LBB6_35:                               ;   in Loop: Header=BB6_9 Depth=1
	s_or_b32 exec_lo, exec_lo, s20
	ds_load_b32 v20, v14
	s_waitcnt lgkmcnt(0)
	v_sub_f32_e32 v3, v3, v20
	s_delay_alu instid0(VALU_DEP_1) | instskip(SKIP_1) | instid1(VALU_DEP_2)
	v_div_scale_f32 v20, null, v4, v4, v3
	v_div_scale_f32 v23, vcc_lo, v3, v4, v3
	v_rcp_f32_e32 v21, v20
	s_waitcnt_depctr 0xfff
	v_fma_f32 v22, -v20, v21, 1.0
	s_delay_alu instid0(VALU_DEP_1) | instskip(NEXT) | instid1(VALU_DEP_1)
	v_fmac_f32_e32 v21, v22, v21
	v_mul_f32_e32 v22, v23, v21
	s_delay_alu instid0(VALU_DEP_1) | instskip(NEXT) | instid1(VALU_DEP_1)
	v_fma_f32 v24, -v20, v22, v23
	v_fmac_f32_e32 v22, v24, v21
	s_delay_alu instid0(VALU_DEP_1) | instskip(NEXT) | instid1(VALU_DEP_1)
	v_fma_f32 v20, -v20, v22, v23
	v_div_fmas_f32 v20, v20, v21, v22
	s_delay_alu instid0(VALU_DEP_1)
	v_div_fixup_f32 v3, v20, v4, v3
	ds_store_b32 v13, v3
	s_waitcnt lgkmcnt(0)
	s_waitcnt_vscnt null, 0x0
	buffer_gl0_inv
	ds_load_b32 v4, v19
	ds_load_b32 v20, v9
	s_waitcnt lgkmcnt(0)
	v_fmac_f32_e32 v20, v3, v4
	ds_store_b32 v9, v20
	s_waitcnt lgkmcnt(0)
	buffer_gl0_inv
	ds_load_b32 v4, v12 offset:412
	ds_load_b32 v3, v13 offset:4
	s_waitcnt lgkmcnt(1)
	v_cmp_neq_f32_e32 vcc_lo, 0, v4
	v_cndmask_b32_e32 v4, 1.0, v4, vcc_lo
	s_or_b32 s20, vcc_lo, s0
	s_delay_alu instid0(SALU_CYCLE_1) | instskip(NEXT) | instid1(SALU_CYCLE_1)
	s_xor_b32 s21, s20, -1
	s_and_saveexec_b32 s20, s21
	s_cbranch_execz .LBB6_39
; %bb.36:                               ;   in Loop: Header=BB6_9 Depth=1
	v_mbcnt_lo_u32_b32 v4, exec_lo, 0
	s_mov_b32 s21, exec_lo
	s_delay_alu instid0(VALU_DEP_1)
	v_cmpx_eq_u32_e32 0, v4
	s_cbranch_execz .LBB6_38
; %bb.37:                               ;   in Loop: Header=BB6_9 Depth=1
	v_mov_b32_e32 v4, s3
	global_atomic_min_i32 v12, v4, s[10:11]
.LBB6_38:                               ;   in Loop: Header=BB6_9 Depth=1
	s_or_b32 exec_lo, exec_lo, s21
	v_mov_b32_e32 v4, 1.0
.LBB6_39:                               ;   in Loop: Header=BB6_9 Depth=1
	s_or_b32 exec_lo, exec_lo, s20
	ds_load_b32 v20, v13
	ds_load_b32 v21, v12 offset:408
	ds_load_b32 v22, v14 offset:4
	s_waitcnt lgkmcnt(0)
	v_fmac_f32_e32 v22, v21, v20
	s_delay_alu instid0(VALU_DEP_1) | instskip(NEXT) | instid1(VALU_DEP_1)
	v_sub_f32_e32 v3, v3, v22
	v_div_scale_f32 v20, null, v4, v4, v3
	v_div_scale_f32 v23, vcc_lo, v3, v4, v3
	s_delay_alu instid0(VALU_DEP_2) | instskip(SKIP_2) | instid1(VALU_DEP_1)
	v_rcp_f32_e32 v21, v20
	s_waitcnt_depctr 0xfff
	v_fma_f32 v22, -v20, v21, 1.0
	v_fmac_f32_e32 v21, v22, v21
	s_delay_alu instid0(VALU_DEP_1) | instskip(NEXT) | instid1(VALU_DEP_1)
	v_mul_f32_e32 v22, v23, v21
	v_fma_f32 v24, -v20, v22, v23
	s_delay_alu instid0(VALU_DEP_1) | instskip(NEXT) | instid1(VALU_DEP_1)
	v_fmac_f32_e32 v22, v24, v21
	v_fma_f32 v20, -v20, v22, v23
	s_delay_alu instid0(VALU_DEP_1) | instskip(NEXT) | instid1(VALU_DEP_1)
	v_div_fmas_f32 v20, v20, v21, v22
	v_div_fixup_f32 v3, v20, v4, v3
	ds_store_b32 v13, v3 offset:4
	s_waitcnt lgkmcnt(0)
	s_waitcnt_vscnt null, 0x0
	buffer_gl0_inv
	ds_load_b32 v4, v19 offset:4
	ds_load_b32 v20, v9
	s_waitcnt lgkmcnt(0)
	v_fmac_f32_e32 v20, v3, v4
	ds_store_b32 v9, v20
	s_waitcnt lgkmcnt(0)
	buffer_gl0_inv
	ds_load_b32 v4, v12 offset:440
	ds_load_b32 v3, v13 offset:8
	s_waitcnt lgkmcnt(1)
	v_cmp_neq_f32_e32 vcc_lo, 0, v4
	v_cndmask_b32_e32 v4, 1.0, v4, vcc_lo
	s_or_b32 s20, vcc_lo, s0
	s_delay_alu instid0(SALU_CYCLE_1) | instskip(NEXT) | instid1(SALU_CYCLE_1)
	s_xor_b32 s21, s20, -1
	s_and_saveexec_b32 s20, s21
	s_cbranch_execz .LBB6_43
; %bb.40:                               ;   in Loop: Header=BB6_9 Depth=1
	v_mbcnt_lo_u32_b32 v4, exec_lo, 0
	s_mov_b32 s21, exec_lo
	s_delay_alu instid0(VALU_DEP_1)
	v_cmpx_eq_u32_e32 0, v4
	s_cbranch_execz .LBB6_42
; %bb.41:                               ;   in Loop: Header=BB6_9 Depth=1
	v_mov_b32_e32 v4, s3
	global_atomic_min_i32 v12, v4, s[10:11]
.LBB6_42:                               ;   in Loop: Header=BB6_9 Depth=1
	s_or_b32 exec_lo, exec_lo, s21
	v_mov_b32_e32 v4, 1.0
.LBB6_43:                               ;   in Loop: Header=BB6_9 Depth=1
	s_or_b32 exec_lo, exec_lo, s20
	ds_load_b64 v[20:21], v13
	ds_load_b64 v[22:23], v12 offset:432
	ds_load_b32 v24, v14 offset:8
	s_waitcnt lgkmcnt(0)
	v_fmac_f32_e32 v24, v22, v20
	s_delay_alu instid0(VALU_DEP_1) | instskip(NEXT) | instid1(VALU_DEP_1)
	v_fmac_f32_e32 v24, v23, v21
	v_sub_f32_e32 v3, v3, v24
	s_delay_alu instid0(VALU_DEP_1) | instskip(SKIP_1) | instid1(VALU_DEP_2)
	v_div_scale_f32 v20, null, v4, v4, v3
	v_div_scale_f32 v23, vcc_lo, v3, v4, v3
	v_rcp_f32_e32 v21, v20
	s_waitcnt_depctr 0xfff
	v_fma_f32 v22, -v20, v21, 1.0
	s_delay_alu instid0(VALU_DEP_1) | instskip(NEXT) | instid1(VALU_DEP_1)
	v_fmac_f32_e32 v21, v22, v21
	v_mul_f32_e32 v22, v23, v21
	s_delay_alu instid0(VALU_DEP_1) | instskip(NEXT) | instid1(VALU_DEP_1)
	v_fma_f32 v24, -v20, v22, v23
	v_fmac_f32_e32 v22, v24, v21
	s_delay_alu instid0(VALU_DEP_1) | instskip(NEXT) | instid1(VALU_DEP_1)
	v_fma_f32 v20, -v20, v22, v23
	v_div_fmas_f32 v20, v20, v21, v22
	s_delay_alu instid0(VALU_DEP_1)
	v_div_fixup_f32 v3, v20, v4, v3
	ds_store_b32 v13, v3 offset:8
	s_waitcnt lgkmcnt(0)
	s_waitcnt_vscnt null, 0x0
	buffer_gl0_inv
	ds_load_b32 v4, v19 offset:8
	ds_load_b32 v20, v9
	s_waitcnt lgkmcnt(0)
	v_fmac_f32_e32 v20, v3, v4
	ds_store_b32 v9, v20
	s_waitcnt lgkmcnt(0)
	buffer_gl0_inv
	ds_load_b32 v4, v12 offset:468
	ds_load_b32 v3, v13 offset:12
	s_waitcnt lgkmcnt(1)
	v_cmp_neq_f32_e32 vcc_lo, 0, v4
	v_cndmask_b32_e32 v4, 1.0, v4, vcc_lo
	s_or_b32 s20, vcc_lo, s0
	s_delay_alu instid0(SALU_CYCLE_1) | instskip(NEXT) | instid1(SALU_CYCLE_1)
	s_xor_b32 s21, s20, -1
	s_and_saveexec_b32 s20, s21
	s_cbranch_execz .LBB6_47
; %bb.44:                               ;   in Loop: Header=BB6_9 Depth=1
	v_mbcnt_lo_u32_b32 v4, exec_lo, 0
	s_mov_b32 s21, exec_lo
	s_delay_alu instid0(VALU_DEP_1)
	v_cmpx_eq_u32_e32 0, v4
	s_cbranch_execz .LBB6_46
; %bb.45:                               ;   in Loop: Header=BB6_9 Depth=1
	v_mov_b32_e32 v4, s3
	global_atomic_min_i32 v12, v4, s[10:11]
.LBB6_46:                               ;   in Loop: Header=BB6_9 Depth=1
	s_or_b32 exec_lo, exec_lo, s21
	v_mov_b32_e32 v4, 1.0
.LBB6_47:                               ;   in Loop: Header=BB6_9 Depth=1
	s_or_b32 exec_lo, exec_lo, s20
	ds_load_b64 v[20:21], v12 offset:456
	ds_load_b32 v24, v14 offset:12
	ds_load_b64 v[22:23], v13
	ds_load_b32 v25, v13 offset:8
	ds_load_b32 v26, v12 offset:464
	s_waitcnt lgkmcnt(2)
	v_fmac_f32_e32 v24, v20, v22
	s_delay_alu instid0(VALU_DEP_1) | instskip(SKIP_1) | instid1(VALU_DEP_1)
	v_fmac_f32_e32 v24, v21, v23
	s_waitcnt lgkmcnt(0)
	v_fmac_f32_e32 v24, v26, v25
	s_delay_alu instid0(VALU_DEP_1) | instskip(NEXT) | instid1(VALU_DEP_1)
	v_sub_f32_e32 v3, v3, v24
	v_div_scale_f32 v20, null, v4, v4, v3
	v_div_scale_f32 v23, vcc_lo, v3, v4, v3
	s_delay_alu instid0(VALU_DEP_2) | instskip(SKIP_2) | instid1(VALU_DEP_1)
	v_rcp_f32_e32 v21, v20
	s_waitcnt_depctr 0xfff
	v_fma_f32 v22, -v20, v21, 1.0
	v_fmac_f32_e32 v21, v22, v21
	s_delay_alu instid0(VALU_DEP_1) | instskip(NEXT) | instid1(VALU_DEP_1)
	v_mul_f32_e32 v22, v23, v21
	v_fma_f32 v24, -v20, v22, v23
	s_delay_alu instid0(VALU_DEP_1) | instskip(NEXT) | instid1(VALU_DEP_1)
	v_fmac_f32_e32 v22, v24, v21
	v_fma_f32 v20, -v20, v22, v23
	s_delay_alu instid0(VALU_DEP_1) | instskip(NEXT) | instid1(VALU_DEP_1)
	v_div_fmas_f32 v20, v20, v21, v22
	v_div_fixup_f32 v3, v20, v4, v3
	ds_store_b32 v13, v3 offset:12
	s_waitcnt lgkmcnt(0)
	s_waitcnt_vscnt null, 0x0
	buffer_gl0_inv
	ds_load_b32 v4, v19 offset:12
	ds_load_b32 v20, v9
	s_waitcnt lgkmcnt(0)
	v_fmac_f32_e32 v20, v3, v4
	ds_store_b32 v9, v20
	s_waitcnt lgkmcnt(0)
	buffer_gl0_inv
	ds_load_b32 v4, v12 offset:496
	ds_load_b32 v3, v13 offset:16
	s_waitcnt lgkmcnt(1)
	v_cmp_neq_f32_e32 vcc_lo, 0, v4
	v_cndmask_b32_e32 v4, 1.0, v4, vcc_lo
	s_or_b32 s20, vcc_lo, s0
	s_delay_alu instid0(SALU_CYCLE_1) | instskip(NEXT) | instid1(SALU_CYCLE_1)
	s_xor_b32 s21, s20, -1
	s_and_saveexec_b32 s20, s21
	s_cbranch_execz .LBB6_7
; %bb.48:                               ;   in Loop: Header=BB6_9 Depth=1
	v_mbcnt_lo_u32_b32 v4, exec_lo, 0
	s_mov_b32 s21, exec_lo
	s_delay_alu instid0(VALU_DEP_1)
	v_cmpx_eq_u32_e32 0, v4
	s_cbranch_execz .LBB6_6
; %bb.49:                               ;   in Loop: Header=BB6_9 Depth=1
	v_mov_b32_e32 v4, s3
	global_atomic_min_i32 v12, v4, s[10:11]
	s_branch .LBB6_6
.LBB6_50:
	v_mov_b32_e32 v0, v7
	s_cmp_lg_u32 s1, 0
	s_cselect_b32 s2, -1, 0
	s_cmp_eq_u32 s1, 0
	s_cbranch_scc1 .LBB6_52
; %bb.51:
	v_mad_u32_u24 v0, v5, 5, v6
.LBB6_52:
	s_mul_i32 s26, s26, 25
	s_mov_b32 s3, exec_lo
	s_delay_alu instid0(VALU_DEP_1) | instskip(NEXT) | instid1(VALU_DEP_1)
	v_add_nc_u32_e32 v0, s26, v0
	v_ashrrev_i32_e32 v1, 31, v0
	s_delay_alu instid0(VALU_DEP_1) | instskip(NEXT) | instid1(VALU_DEP_1)
	v_lshlrev_b64 v[0:1], 2, v[0:1]
	v_add_co_u32 v0, vcc_lo, s18, v0
	s_delay_alu instid0(VALU_DEP_2)
	v_add_co_ci_u32_e32 v1, vcc_lo, s19, v1, vcc_lo
	v_cmp_ne_u32_e32 vcc_lo, 0, v6
	global_load_b32 v0, v[0:1], off
	s_waitcnt vmcnt(0)
	ds_store_b32 v10, v0 offset:640
	s_waitcnt lgkmcnt(0)
	buffer_gl0_inv
	v_cmpx_eq_u32_e32 0, v6
	s_cbranch_execz .LBB6_54
; %bb.53:
	v_mov_b32_e32 v2, 0
	ds_load_2addr_b32 v[0:1], v2 offset0:160 offset1:192
	s_waitcnt lgkmcnt(0)
	v_sub_f32_e32 v0, v0, v1
	s_delay_alu instid0(VALU_DEP_1) | instskip(NEXT) | instid1(VALU_DEP_1)
	v_cmp_gt_f32_e64 s0, 0, v0
	v_cndmask_b32_e64 v0, v0, -v0, s0
	s_delay_alu instid0(VALU_DEP_1) | instskip(SKIP_1) | instid1(VALU_DEP_1)
	v_mul_f32_e32 v1, 0x4f800000, v0
	v_cmp_gt_f32_e64 s0, 0xf800000, v0
	v_cndmask_b32_e64 v0, v0, v1, s0
	s_delay_alu instid0(VALU_DEP_1) | instskip(SKIP_3) | instid1(VALU_DEP_2)
	v_sqrt_f32_e32 v1, v0
	s_waitcnt_depctr 0xfff
	v_add_nc_u32_e32 v3, -1, v1
	v_add_nc_u32_e32 v4, 1, v1
	v_fma_f32 v11, -v3, v1, v0
	s_delay_alu instid0(VALU_DEP_2) | instskip(NEXT) | instid1(VALU_DEP_2)
	v_fma_f32 v12, -v4, v1, v0
	v_cmp_ge_f32_e64 s1, 0, v11
	s_delay_alu instid0(VALU_DEP_1) | instskip(NEXT) | instid1(VALU_DEP_3)
	v_cndmask_b32_e64 v1, v1, v3, s1
	v_cmp_lt_f32_e64 s1, 0, v12
	s_delay_alu instid0(VALU_DEP_1) | instskip(NEXT) | instid1(VALU_DEP_1)
	v_cndmask_b32_e64 v1, v1, v4, s1
	v_mul_f32_e32 v3, 0x37800000, v1
	s_delay_alu instid0(VALU_DEP_1) | instskip(SKIP_1) | instid1(VALU_DEP_1)
	v_cndmask_b32_e64 v1, v1, v3, s0
	v_cmp_class_f32_e64 s0, v0, 0x260
	v_cndmask_b32_e64 v0, v1, v0, s0
	ds_store_b32 v2, v0 offset:640
.LBB6_54:
	s_or_b32 exec_lo, exec_lo, s3
	v_mov_b32_e32 v0, 0
	s_waitcnt lgkmcnt(0)
	buffer_gl0_inv
	s_add_i32 s3, s16, s17
	ds_load_b32 v1, v0 offset:640
	v_or_b32_e32 v0, v5, v6
	s_delay_alu instid0(VALU_DEP_1) | instskip(SKIP_2) | instid1(VALU_DEP_1)
	v_cmp_ne_u32_e64 s0, 0, v0
	s_waitcnt lgkmcnt(0)
	v_cmp_neq_f32_e64 s1, 0, v1
	v_cndmask_b32_e64 v1, 1.0, v1, s1
	s_delay_alu instid0(VALU_DEP_3) | instskip(NEXT) | instid1(SALU_CYCLE_1)
	s_or_b32 s1, s1, s0
	s_xor_b32 s1, s1, -1
	s_delay_alu instid0(SALU_CYCLE_1)
	s_and_saveexec_b32 s4, s1
	s_cbranch_execz .LBB6_58
; %bb.55:
	v_mbcnt_lo_u32_b32 v1, exec_lo, 0
	s_mov_b32 s5, exec_lo
	s_delay_alu instid0(VALU_DEP_1)
	v_cmpx_eq_u32_e32 0, v1
	s_cbranch_execz .LBB6_57
; %bb.56:
	v_dual_mov_b32 v1, 0 :: v_dual_mov_b32 v2, s3
	global_atomic_min_i32 v1, v2, s[10:11]
.LBB6_57:
	s_or_b32 exec_lo, exec_lo, s5
	v_mov_b32_e32 v1, 1.0
.LBB6_58:
	s_or_b32 exec_lo, exec_lo, s4
	s_and_saveexec_b32 s1, vcc_lo
	s_cbranch_execz .LBB6_60
; %bb.59:
	v_mul_u32_u24_e32 v4, 24, v6
	ds_load_2addr_b32 v[2:3], v4 offset0:160 offset1:192
	s_waitcnt lgkmcnt(0)
	v_sub_f32_e32 v2, v2, v3
	s_delay_alu instid0(VALU_DEP_1) | instskip(SKIP_1) | instid1(VALU_DEP_2)
	v_div_scale_f32 v3, null, v1, v1, v2
	v_div_scale_f32 v13, vcc_lo, v2, v1, v2
	v_rcp_f32_e32 v11, v3
	s_waitcnt_depctr 0xfff
	v_fma_f32 v12, -v3, v11, 1.0
	s_delay_alu instid0(VALU_DEP_1) | instskip(NEXT) | instid1(VALU_DEP_1)
	v_fmac_f32_e32 v11, v12, v11
	v_mul_f32_e32 v12, v13, v11
	s_delay_alu instid0(VALU_DEP_1) | instskip(NEXT) | instid1(VALU_DEP_1)
	v_fma_f32 v14, -v3, v12, v13
	v_fmac_f32_e32 v12, v14, v11
	s_delay_alu instid0(VALU_DEP_1) | instskip(NEXT) | instid1(VALU_DEP_1)
	v_fma_f32 v3, -v3, v12, v13
	v_div_fmas_f32 v3, v3, v11, v12
	s_delay_alu instid0(VALU_DEP_1)
	v_div_fixup_f32 v1, v3, v1, v2
	v_mul_u32_u24_e32 v2, 24, v5
	ds_store_b32 v4, v1 offset:640
	s_waitcnt lgkmcnt(0)
	s_waitcnt_vscnt null, 0x0
	buffer_gl0_inv
	ds_load_b32 v2, v2 offset:640
	ds_load_b32 v3, v9
	s_waitcnt lgkmcnt(0)
	v_fmac_f32_e32 v3, v1, v2
	ds_store_b32 v9, v3
.LBB6_60:
	s_or_b32 exec_lo, exec_lo, s1
	s_delay_alu instid0(SALU_CYCLE_1)
	s_mov_b32 s4, exec_lo
	s_waitcnt lgkmcnt(0)
	s_waitcnt_vscnt null, 0x0
	buffer_gl0_inv
	v_cmpx_eq_u32_e32 1, v6
	s_cbranch_execz .LBB6_62
; %bb.61:
	v_mov_b32_e32 v3, 0
	ds_load_2addr_b32 v[1:2], v3 offset0:167 offset1:199
	s_waitcnt lgkmcnt(0)
	v_sub_f32_e32 v1, v1, v2
	s_delay_alu instid0(VALU_DEP_1) | instskip(SKIP_1) | instid1(VALU_DEP_1)
	v_cmp_gt_f32_e32 vcc_lo, 0, v1
	v_cndmask_b32_e64 v1, v1, -v1, vcc_lo
	v_mul_f32_e32 v2, 0x4f800000, v1
	v_cmp_gt_f32_e32 vcc_lo, 0xf800000, v1
	s_delay_alu instid0(VALU_DEP_2) | instskip(NEXT) | instid1(VALU_DEP_1)
	v_cndmask_b32_e32 v1, v1, v2, vcc_lo
	v_sqrt_f32_e32 v2, v1
	s_waitcnt_depctr 0xfff
	v_add_nc_u32_e32 v4, -1, v2
	v_add_nc_u32_e32 v11, 1, v2
	s_delay_alu instid0(VALU_DEP_2) | instskip(NEXT) | instid1(VALU_DEP_2)
	v_fma_f32 v12, -v4, v2, v1
	v_fma_f32 v13, -v11, v2, v1
	s_delay_alu instid0(VALU_DEP_2) | instskip(NEXT) | instid1(VALU_DEP_1)
	v_cmp_ge_f32_e64 s1, 0, v12
	v_cndmask_b32_e64 v2, v2, v4, s1
	s_delay_alu instid0(VALU_DEP_3) | instskip(NEXT) | instid1(VALU_DEP_1)
	v_cmp_lt_f32_e64 s1, 0, v13
	v_cndmask_b32_e64 v2, v2, v11, s1
	s_delay_alu instid0(VALU_DEP_1) | instskip(NEXT) | instid1(VALU_DEP_1)
	v_mul_f32_e32 v4, 0x37800000, v2
	v_cndmask_b32_e32 v2, v2, v4, vcc_lo
	v_cmp_class_f32_e64 vcc_lo, v1, 0x260
	s_delay_alu instid0(VALU_DEP_2)
	v_cndmask_b32_e32 v1, v2, v1, vcc_lo
	ds_store_b32 v3, v1 offset:668
.LBB6_62:
	s_or_b32 exec_lo, exec_lo, s4
	v_mov_b32_e32 v1, 0
	s_waitcnt lgkmcnt(0)
	buffer_gl0_inv
	ds_load_b32 v1, v1 offset:668
	s_waitcnt lgkmcnt(0)
	v_cmp_neq_f32_e32 vcc_lo, 0, v1
	v_cndmask_b32_e32 v1, 1.0, v1, vcc_lo
	s_or_b32 s1, vcc_lo, s0
	s_delay_alu instid0(SALU_CYCLE_1) | instskip(NEXT) | instid1(SALU_CYCLE_1)
	s_xor_b32 s4, s1, -1
	s_and_saveexec_b32 s1, s4
	s_cbranch_execz .LBB6_66
; %bb.63:
	v_mbcnt_lo_u32_b32 v1, exec_lo, 0
	s_mov_b32 s4, exec_lo
	s_delay_alu instid0(VALU_DEP_1)
	v_cmpx_eq_u32_e32 0, v1
	s_cbranch_execz .LBB6_65
; %bb.64:
	v_dual_mov_b32 v1, 0 :: v_dual_mov_b32 v2, s3
	global_atomic_min_i32 v1, v2, s[10:11]
.LBB6_65:
	s_or_b32 exec_lo, exec_lo, s4
	v_mov_b32_e32 v1, 1.0
.LBB6_66:
	s_or_b32 exec_lo, exec_lo, s1
	s_delay_alu instid0(SALU_CYCLE_1)
	s_mov_b32 s1, exec_lo
	v_cmpx_lt_u32_e32 1, v6
	s_cbranch_execz .LBB6_68
; %bb.67:
	v_mul_u32_u24_e32 v4, 24, v6
	ds_load_2addr_b32 v[2:3], v4 offset0:161 offset1:193
	s_waitcnt lgkmcnt(0)
	v_sub_f32_e32 v2, v2, v3
	s_delay_alu instid0(VALU_DEP_1) | instskip(SKIP_1) | instid1(VALU_DEP_2)
	v_div_scale_f32 v3, null, v1, v1, v2
	v_div_scale_f32 v13, vcc_lo, v2, v1, v2
	v_rcp_f32_e32 v11, v3
	s_waitcnt_depctr 0xfff
	v_fma_f32 v12, -v3, v11, 1.0
	s_delay_alu instid0(VALU_DEP_1) | instskip(NEXT) | instid1(VALU_DEP_1)
	v_fmac_f32_e32 v11, v12, v11
	v_mul_f32_e32 v12, v13, v11
	s_delay_alu instid0(VALU_DEP_1) | instskip(NEXT) | instid1(VALU_DEP_1)
	v_fma_f32 v14, -v3, v12, v13
	v_fmac_f32_e32 v12, v14, v11
	s_delay_alu instid0(VALU_DEP_1) | instskip(NEXT) | instid1(VALU_DEP_1)
	v_fma_f32 v3, -v3, v12, v13
	v_div_fmas_f32 v3, v3, v11, v12
	s_delay_alu instid0(VALU_DEP_1)
	v_div_fixup_f32 v1, v3, v1, v2
	v_mul_u32_u24_e32 v2, 24, v5
	ds_store_b32 v4, v1 offset:644
	s_waitcnt lgkmcnt(0)
	s_waitcnt_vscnt null, 0x0
	buffer_gl0_inv
	ds_load_b32 v2, v2 offset:644
	ds_load_b32 v3, v9
	s_waitcnt lgkmcnt(0)
	v_fmac_f32_e32 v3, v1, v2
	ds_store_b32 v9, v3
.LBB6_68:
	s_or_b32 exec_lo, exec_lo, s1
	s_delay_alu instid0(SALU_CYCLE_1)
	s_mov_b32 s4, exec_lo
	s_waitcnt lgkmcnt(0)
	s_waitcnt_vscnt null, 0x0
	buffer_gl0_inv
	v_cmpx_eq_u32_e32 2, v6
	s_cbranch_execz .LBB6_70
; %bb.69:
	v_mov_b32_e32 v3, 0
	ds_load_2addr_b32 v[1:2], v3 offset0:174 offset1:206
	s_waitcnt lgkmcnt(0)
	v_sub_f32_e32 v1, v1, v2
	s_delay_alu instid0(VALU_DEP_1) | instskip(SKIP_1) | instid1(VALU_DEP_1)
	v_cmp_gt_f32_e32 vcc_lo, 0, v1
	v_cndmask_b32_e64 v1, v1, -v1, vcc_lo
	v_mul_f32_e32 v2, 0x4f800000, v1
	v_cmp_gt_f32_e32 vcc_lo, 0xf800000, v1
	s_delay_alu instid0(VALU_DEP_2) | instskip(NEXT) | instid1(VALU_DEP_1)
	v_cndmask_b32_e32 v1, v1, v2, vcc_lo
	v_sqrt_f32_e32 v2, v1
	s_waitcnt_depctr 0xfff
	v_add_nc_u32_e32 v4, -1, v2
	v_add_nc_u32_e32 v11, 1, v2
	s_delay_alu instid0(VALU_DEP_2) | instskip(NEXT) | instid1(VALU_DEP_2)
	v_fma_f32 v12, -v4, v2, v1
	v_fma_f32 v13, -v11, v2, v1
	s_delay_alu instid0(VALU_DEP_2) | instskip(NEXT) | instid1(VALU_DEP_1)
	v_cmp_ge_f32_e64 s1, 0, v12
	v_cndmask_b32_e64 v2, v2, v4, s1
	s_delay_alu instid0(VALU_DEP_3) | instskip(NEXT) | instid1(VALU_DEP_1)
	v_cmp_lt_f32_e64 s1, 0, v13
	v_cndmask_b32_e64 v2, v2, v11, s1
	s_delay_alu instid0(VALU_DEP_1) | instskip(NEXT) | instid1(VALU_DEP_1)
	v_mul_f32_e32 v4, 0x37800000, v2
	v_cndmask_b32_e32 v2, v2, v4, vcc_lo
	v_cmp_class_f32_e64 vcc_lo, v1, 0x260
	s_delay_alu instid0(VALU_DEP_2)
	v_cndmask_b32_e32 v1, v2, v1, vcc_lo
	ds_store_b32 v3, v1 offset:696
.LBB6_70:
	s_or_b32 exec_lo, exec_lo, s4
	v_mov_b32_e32 v1, 0
	s_waitcnt lgkmcnt(0)
	buffer_gl0_inv
	ds_load_b32 v1, v1 offset:696
	s_waitcnt lgkmcnt(0)
	v_cmp_neq_f32_e32 vcc_lo, 0, v1
	v_cndmask_b32_e32 v1, 1.0, v1, vcc_lo
	s_or_b32 s1, vcc_lo, s0
	s_delay_alu instid0(SALU_CYCLE_1) | instskip(NEXT) | instid1(SALU_CYCLE_1)
	s_xor_b32 s4, s1, -1
	s_and_saveexec_b32 s1, s4
	s_cbranch_execz .LBB6_74
; %bb.71:
	v_mbcnt_lo_u32_b32 v1, exec_lo, 0
	s_mov_b32 s4, exec_lo
	s_delay_alu instid0(VALU_DEP_1)
	v_cmpx_eq_u32_e32 0, v1
	s_cbranch_execz .LBB6_73
; %bb.72:
	v_dual_mov_b32 v1, 0 :: v_dual_mov_b32 v2, s3
	global_atomic_min_i32 v1, v2, s[10:11]
.LBB6_73:
	s_or_b32 exec_lo, exec_lo, s4
	v_mov_b32_e32 v1, 1.0
.LBB6_74:
	s_or_b32 exec_lo, exec_lo, s1
	s_delay_alu instid0(SALU_CYCLE_1)
	s_mov_b32 s1, exec_lo
	v_cmpx_lt_u32_e32 2, v6
	s_cbranch_execz .LBB6_76
; %bb.75:
	v_mul_u32_u24_e32 v4, 24, v6
	ds_load_2addr_b32 v[2:3], v4 offset0:162 offset1:194
	s_waitcnt lgkmcnt(0)
	v_sub_f32_e32 v2, v2, v3
	s_delay_alu instid0(VALU_DEP_1) | instskip(SKIP_1) | instid1(VALU_DEP_2)
	v_div_scale_f32 v3, null, v1, v1, v2
	v_div_scale_f32 v13, vcc_lo, v2, v1, v2
	v_rcp_f32_e32 v11, v3
	s_waitcnt_depctr 0xfff
	v_fma_f32 v12, -v3, v11, 1.0
	s_delay_alu instid0(VALU_DEP_1) | instskip(NEXT) | instid1(VALU_DEP_1)
	v_fmac_f32_e32 v11, v12, v11
	v_mul_f32_e32 v12, v13, v11
	s_delay_alu instid0(VALU_DEP_1) | instskip(NEXT) | instid1(VALU_DEP_1)
	v_fma_f32 v14, -v3, v12, v13
	v_fmac_f32_e32 v12, v14, v11
	s_delay_alu instid0(VALU_DEP_1) | instskip(NEXT) | instid1(VALU_DEP_1)
	v_fma_f32 v3, -v3, v12, v13
	v_div_fmas_f32 v3, v3, v11, v12
	s_delay_alu instid0(VALU_DEP_1)
	v_div_fixup_f32 v1, v3, v1, v2
	v_mul_u32_u24_e32 v2, 24, v5
	ds_store_b32 v4, v1 offset:648
	s_waitcnt lgkmcnt(0)
	s_waitcnt_vscnt null, 0x0
	buffer_gl0_inv
	ds_load_b32 v2, v2 offset:648
	ds_load_b32 v3, v9
	s_waitcnt lgkmcnt(0)
	v_fmac_f32_e32 v3, v1, v2
	ds_store_b32 v9, v3
.LBB6_76:
	s_or_b32 exec_lo, exec_lo, s1
	s_delay_alu instid0(SALU_CYCLE_1)
	s_mov_b32 s4, exec_lo
	s_waitcnt lgkmcnt(0)
	s_waitcnt_vscnt null, 0x0
	buffer_gl0_inv
	v_cmpx_eq_u32_e32 3, v6
	s_cbranch_execz .LBB6_78
; %bb.77:
	v_mov_b32_e32 v3, 0
	ds_load_2addr_b32 v[1:2], v3 offset0:181 offset1:213
	s_waitcnt lgkmcnt(0)
	v_sub_f32_e32 v1, v1, v2
	s_delay_alu instid0(VALU_DEP_1) | instskip(SKIP_1) | instid1(VALU_DEP_1)
	v_cmp_gt_f32_e32 vcc_lo, 0, v1
	v_cndmask_b32_e64 v1, v1, -v1, vcc_lo
	v_mul_f32_e32 v2, 0x4f800000, v1
	v_cmp_gt_f32_e32 vcc_lo, 0xf800000, v1
	s_delay_alu instid0(VALU_DEP_2) | instskip(NEXT) | instid1(VALU_DEP_1)
	v_cndmask_b32_e32 v1, v1, v2, vcc_lo
	v_sqrt_f32_e32 v2, v1
	s_waitcnt_depctr 0xfff
	v_add_nc_u32_e32 v4, -1, v2
	v_add_nc_u32_e32 v11, 1, v2
	s_delay_alu instid0(VALU_DEP_2) | instskip(NEXT) | instid1(VALU_DEP_2)
	v_fma_f32 v12, -v4, v2, v1
	v_fma_f32 v13, -v11, v2, v1
	s_delay_alu instid0(VALU_DEP_2) | instskip(NEXT) | instid1(VALU_DEP_1)
	v_cmp_ge_f32_e64 s1, 0, v12
	v_cndmask_b32_e64 v2, v2, v4, s1
	s_delay_alu instid0(VALU_DEP_3) | instskip(NEXT) | instid1(VALU_DEP_1)
	v_cmp_lt_f32_e64 s1, 0, v13
	v_cndmask_b32_e64 v2, v2, v11, s1
	s_delay_alu instid0(VALU_DEP_1) | instskip(NEXT) | instid1(VALU_DEP_1)
	v_mul_f32_e32 v4, 0x37800000, v2
	v_cndmask_b32_e32 v2, v2, v4, vcc_lo
	v_cmp_class_f32_e64 vcc_lo, v1, 0x260
	s_delay_alu instid0(VALU_DEP_2)
	v_cndmask_b32_e32 v1, v2, v1, vcc_lo
	ds_store_b32 v3, v1 offset:724
.LBB6_78:
	s_or_b32 exec_lo, exec_lo, s4
	v_mov_b32_e32 v1, 0
	s_waitcnt lgkmcnt(0)
	buffer_gl0_inv
	ds_load_b32 v1, v1 offset:724
	s_waitcnt lgkmcnt(0)
	v_cmp_neq_f32_e32 vcc_lo, 0, v1
	v_cndmask_b32_e32 v1, 1.0, v1, vcc_lo
	s_or_b32 s1, vcc_lo, s0
	s_delay_alu instid0(SALU_CYCLE_1) | instskip(NEXT) | instid1(SALU_CYCLE_1)
	s_xor_b32 s4, s1, -1
	s_and_saveexec_b32 s1, s4
	s_cbranch_execz .LBB6_82
; %bb.79:
	v_mbcnt_lo_u32_b32 v1, exec_lo, 0
	s_mov_b32 s4, exec_lo
	s_delay_alu instid0(VALU_DEP_1)
	v_cmpx_eq_u32_e32 0, v1
	s_cbranch_execz .LBB6_81
; %bb.80:
	v_dual_mov_b32 v1, 0 :: v_dual_mov_b32 v2, s3
	global_atomic_min_i32 v1, v2, s[10:11]
.LBB6_81:
	s_or_b32 exec_lo, exec_lo, s4
	v_mov_b32_e32 v1, 1.0
.LBB6_82:
	s_or_b32 exec_lo, exec_lo, s1
	s_delay_alu instid0(SALU_CYCLE_1)
	s_mov_b32 s1, exec_lo
	v_cmpx_lt_u32_e32 3, v6
	s_cbranch_execz .LBB6_84
; %bb.83:
	v_mul_u32_u24_e32 v4, 24, v6
	ds_load_2addr_b32 v[2:3], v4 offset0:163 offset1:195
	s_waitcnt lgkmcnt(0)
	v_sub_f32_e32 v2, v2, v3
	s_delay_alu instid0(VALU_DEP_1) | instskip(SKIP_1) | instid1(VALU_DEP_2)
	v_div_scale_f32 v3, null, v1, v1, v2
	v_div_scale_f32 v13, vcc_lo, v2, v1, v2
	v_rcp_f32_e32 v11, v3
	s_waitcnt_depctr 0xfff
	v_fma_f32 v12, -v3, v11, 1.0
	s_delay_alu instid0(VALU_DEP_1) | instskip(NEXT) | instid1(VALU_DEP_1)
	v_fmac_f32_e32 v11, v12, v11
	v_mul_f32_e32 v12, v13, v11
	s_delay_alu instid0(VALU_DEP_1) | instskip(NEXT) | instid1(VALU_DEP_1)
	v_fma_f32 v14, -v3, v12, v13
	v_fmac_f32_e32 v12, v14, v11
	s_delay_alu instid0(VALU_DEP_1) | instskip(NEXT) | instid1(VALU_DEP_1)
	v_fma_f32 v3, -v3, v12, v13
	v_div_fmas_f32 v3, v3, v11, v12
	s_delay_alu instid0(VALU_DEP_1)
	v_div_fixup_f32 v1, v3, v1, v2
	v_mul_u32_u24_e32 v2, 24, v5
	ds_store_b32 v4, v1 offset:652
	s_waitcnt lgkmcnt(0)
	s_waitcnt_vscnt null, 0x0
	buffer_gl0_inv
	ds_load_b32 v2, v2 offset:652
	ds_load_b32 v3, v9
	s_waitcnt lgkmcnt(0)
	v_fmac_f32_e32 v3, v1, v2
	ds_store_b32 v9, v3
.LBB6_84:
	s_or_b32 exec_lo, exec_lo, s1
	s_delay_alu instid0(SALU_CYCLE_1)
	s_mov_b32 s4, exec_lo
	s_waitcnt lgkmcnt(0)
	s_waitcnt_vscnt null, 0x0
	buffer_gl0_inv
	v_cmpx_eq_u32_e32 4, v6
	s_cbranch_execz .LBB6_86
; %bb.85:
	v_mov_b32_e32 v3, 0
	ds_load_2addr_b32 v[1:2], v3 offset0:188 offset1:220
	s_waitcnt lgkmcnt(0)
	v_sub_f32_e32 v1, v1, v2
	s_delay_alu instid0(VALU_DEP_1) | instskip(SKIP_1) | instid1(VALU_DEP_1)
	v_cmp_gt_f32_e32 vcc_lo, 0, v1
	v_cndmask_b32_e64 v1, v1, -v1, vcc_lo
	v_mul_f32_e32 v2, 0x4f800000, v1
	v_cmp_gt_f32_e32 vcc_lo, 0xf800000, v1
	s_delay_alu instid0(VALU_DEP_2) | instskip(NEXT) | instid1(VALU_DEP_1)
	v_cndmask_b32_e32 v1, v1, v2, vcc_lo
	v_sqrt_f32_e32 v2, v1
	s_waitcnt_depctr 0xfff
	v_add_nc_u32_e32 v4, -1, v2
	v_add_nc_u32_e32 v11, 1, v2
	s_delay_alu instid0(VALU_DEP_2) | instskip(NEXT) | instid1(VALU_DEP_2)
	v_fma_f32 v12, -v4, v2, v1
	v_fma_f32 v13, -v11, v2, v1
	s_delay_alu instid0(VALU_DEP_2) | instskip(NEXT) | instid1(VALU_DEP_1)
	v_cmp_ge_f32_e64 s1, 0, v12
	v_cndmask_b32_e64 v2, v2, v4, s1
	s_delay_alu instid0(VALU_DEP_3) | instskip(NEXT) | instid1(VALU_DEP_1)
	v_cmp_lt_f32_e64 s1, 0, v13
	v_cndmask_b32_e64 v2, v2, v11, s1
	s_delay_alu instid0(VALU_DEP_1) | instskip(NEXT) | instid1(VALU_DEP_1)
	v_mul_f32_e32 v4, 0x37800000, v2
	v_cndmask_b32_e32 v2, v2, v4, vcc_lo
	v_cmp_class_f32_e64 vcc_lo, v1, 0x260
	s_delay_alu instid0(VALU_DEP_2)
	v_cndmask_b32_e32 v1, v2, v1, vcc_lo
	ds_store_b32 v3, v1 offset:752
.LBB6_86:
	s_or_b32 exec_lo, exec_lo, s4
	v_mov_b32_e32 v1, 0
	s_waitcnt lgkmcnt(0)
	buffer_gl0_inv
	ds_load_b32 v1, v1 offset:752
	s_waitcnt lgkmcnt(0)
	v_cmp_neq_f32_e32 vcc_lo, 0, v1
	v_cndmask_b32_e32 v2, 1.0, v1, vcc_lo
	s_or_b32 s0, vcc_lo, s0
	s_delay_alu instid0(SALU_CYCLE_1) | instskip(NEXT) | instid1(SALU_CYCLE_1)
	s_xor_b32 s1, s0, -1
	s_and_saveexec_b32 s0, s1
	s_cbranch_execz .LBB6_90
; %bb.87:
	v_mbcnt_lo_u32_b32 v1, exec_lo, 0
	s_mov_b32 s1, exec_lo
	s_delay_alu instid0(VALU_DEP_1)
	v_cmpx_eq_u32_e32 0, v1
	s_cbranch_execz .LBB6_89
; %bb.88:
	v_dual_mov_b32 v1, 0 :: v_dual_mov_b32 v2, s3
	global_atomic_min_i32 v1, v2, s[10:11]
.LBB6_89:
	s_or_b32 exec_lo, exec_lo, s1
	v_mov_b32_e32 v2, 1.0
.LBB6_90:
	s_or_b32 exec_lo, exec_lo, s0
	v_add_nc_u32_e32 v1, 0x280, v10
	s_mov_b32 s0, exec_lo
	v_cmpx_lt_u32_e32 4, v6
	s_cbranch_execz .LBB6_92
; %bb.91:
	v_mul_u32_u24_e32 v10, 24, v6
	ds_load_2addr_b32 v[3:4], v10 offset0:164 offset1:196
	s_waitcnt lgkmcnt(0)
	v_sub_f32_e32 v3, v3, v4
	s_delay_alu instid0(VALU_DEP_1) | instskip(SKIP_1) | instid1(VALU_DEP_2)
	v_div_scale_f32 v4, null, v2, v2, v3
	v_div_scale_f32 v13, vcc_lo, v3, v2, v3
	v_rcp_f32_e32 v11, v4
	s_waitcnt_depctr 0xfff
	v_fma_f32 v12, -v4, v11, 1.0
	s_delay_alu instid0(VALU_DEP_1) | instskip(NEXT) | instid1(VALU_DEP_1)
	v_fmac_f32_e32 v11, v12, v11
	v_mul_f32_e32 v12, v13, v11
	s_delay_alu instid0(VALU_DEP_1) | instskip(NEXT) | instid1(VALU_DEP_1)
	v_fma_f32 v14, -v4, v12, v13
	v_fmac_f32_e32 v12, v14, v11
	s_delay_alu instid0(VALU_DEP_1) | instskip(NEXT) | instid1(VALU_DEP_1)
	v_fma_f32 v4, -v4, v12, v13
	v_div_fmas_f32 v4, v4, v11, v12
	s_delay_alu instid0(VALU_DEP_1)
	v_div_fixup_f32 v2, v4, v2, v3
	v_mul_u32_u24_e32 v3, 24, v5
	ds_store_b32 v10, v2 offset:656
	s_waitcnt lgkmcnt(0)
	s_waitcnt_vscnt null, 0x0
	buffer_gl0_inv
	ds_load_b32 v3, v3 offset:656
	ds_load_b32 v4, v9
	s_waitcnt lgkmcnt(0)
	v_fmac_f32_e32 v4, v2, v3
	ds_store_b32 v9, v4
.LBB6_92:
	s_or_b32 exec_lo, exec_lo, s0
	s_waitcnt lgkmcnt(0)
	s_waitcnt_vscnt null, 0x0
	buffer_gl0_inv
	ds_load_b32 v1, v1
	s_and_not1_b32 vcc_lo, exec_lo, s2
	s_cbranch_vccnz .LBB6_94
; %bb.93:
	v_mov_b32_e32 v7, v8
.LBB6_94:
	s_delay_alu instid0(VALU_DEP_1) | instskip(SKIP_1) | instid1(VALU_DEP_2)
	v_add_nc_u32_e32 v2, s26, v7
	v_cmp_eq_u32_e64 s3, 0, v0
	v_ashrrev_i32_e32 v3, 31, v2
	s_delay_alu instid0(VALU_DEP_1) | instskip(NEXT) | instid1(VALU_DEP_1)
	v_lshlrev_b64 v[2:3], 2, v[2:3]
	v_add_co_u32 v2, vcc_lo, s18, v2
	s_delay_alu instid0(VALU_DEP_2)
	v_add_co_ci_u32_e32 v3, vcc_lo, s19, v3, vcc_lo
	s_waitcnt lgkmcnt(0)
	global_store_b32 v[2:3], v1, off
.LBB6_95:
	s_and_saveexec_b32 s0, s3
	s_cbranch_execnz .LBB6_103
.LBB6_96:
	s_nop 0
	s_sendmsg sendmsg(MSG_DEALLOC_VGPRS)
	s_endpgm
.LBB6_97:
	s_cbranch_execz .LBB6_95
; %bb.98:
	v_or_b32_e32 v0, v5, v6
	s_mov_b32 s0, exec_lo
	s_delay_alu instid0(VALU_DEP_1)
	v_cmpx_eq_u32_e32 0, v0
	s_cbranch_execz .LBB6_102
; %bb.99:
	v_mbcnt_lo_u32_b32 v0, exec_lo, 0
	s_mov_b32 s1, exec_lo
	s_delay_alu instid0(VALU_DEP_1)
	v_cmpx_eq_u32_e32 0, v0
	s_cbranch_execz .LBB6_101
; %bb.100:
	s_add_i32 s2, s16, s17
	s_delay_alu instid0(SALU_CYCLE_1)
	v_dual_mov_b32 v0, 0 :: v_dual_mov_b32 v1, s2
	global_atomic_min_i32 v0, v1, s[10:11]
.LBB6_101:
	s_or_b32 exec_lo, exec_lo, s1
	s_delay_alu instid0(SALU_CYCLE_1)
	s_or_b32 s3, s3, exec_lo
.LBB6_102:
	s_or_b32 exec_lo, exec_lo, s0
	s_and_saveexec_b32 s0, s3
	s_cbranch_execz .LBB6_96
.LBB6_103:
	v_dual_mov_b32 v0, 0 :: v_dual_mov_b32 v1, 1
	s_add_u32 s0, s6, s8
	s_addc_u32 s1, s7, s9
	s_waitcnt_vscnt null, 0x0
	global_store_b32 v0, v1, s[0:1]
	s_nop 0
	s_sendmsg sendmsg(MSG_DEALLOC_VGPRS)
	s_endpgm
	.section	.rodata,"a",@progbits
	.p2align	6, 0x0
	.amdhsa_kernel _ZN9rocsparseL26bsric0_2_8_unrolled_kernelILi25ELi32ELi5EfEEv20rocsparse_direction_iiPKiS3_PT2_S3_PiS3_S6_21rocsparse_index_base_
		.amdhsa_group_segment_fixed_size 888
		.amdhsa_private_segment_fixed_size 0
		.amdhsa_kernarg_size 76
		.amdhsa_user_sgpr_count 15
		.amdhsa_user_sgpr_dispatch_ptr 0
		.amdhsa_user_sgpr_queue_ptr 0
		.amdhsa_user_sgpr_kernarg_segment_ptr 1
		.amdhsa_user_sgpr_dispatch_id 0
		.amdhsa_user_sgpr_private_segment_size 0
		.amdhsa_wavefront_size32 1
		.amdhsa_uses_dynamic_stack 0
		.amdhsa_enable_private_segment 0
		.amdhsa_system_sgpr_workgroup_id_x 1
		.amdhsa_system_sgpr_workgroup_id_y 0
		.amdhsa_system_sgpr_workgroup_id_z 0
		.amdhsa_system_sgpr_workgroup_info 0
		.amdhsa_system_vgpr_workitem_id 1
		.amdhsa_next_free_vgpr 44
		.amdhsa_next_free_sgpr 37
		.amdhsa_reserve_vcc 1
		.amdhsa_float_round_mode_32 0
		.amdhsa_float_round_mode_16_64 0
		.amdhsa_float_denorm_mode_32 3
		.amdhsa_float_denorm_mode_16_64 3
		.amdhsa_dx10_clamp 1
		.amdhsa_ieee_mode 1
		.amdhsa_fp16_overflow 0
		.amdhsa_workgroup_processor_mode 1
		.amdhsa_memory_ordered 1
		.amdhsa_forward_progress 0
		.amdhsa_shared_vgpr_count 0
		.amdhsa_exception_fp_ieee_invalid_op 0
		.amdhsa_exception_fp_denorm_src 0
		.amdhsa_exception_fp_ieee_div_zero 0
		.amdhsa_exception_fp_ieee_overflow 0
		.amdhsa_exception_fp_ieee_underflow 0
		.amdhsa_exception_fp_ieee_inexact 0
		.amdhsa_exception_int_div_zero 0
	.end_amdhsa_kernel
	.section	.text._ZN9rocsparseL26bsric0_2_8_unrolled_kernelILi25ELi32ELi5EfEEv20rocsparse_direction_iiPKiS3_PT2_S3_PiS3_S6_21rocsparse_index_base_,"axG",@progbits,_ZN9rocsparseL26bsric0_2_8_unrolled_kernelILi25ELi32ELi5EfEEv20rocsparse_direction_iiPKiS3_PT2_S3_PiS3_S6_21rocsparse_index_base_,comdat
.Lfunc_end6:
	.size	_ZN9rocsparseL26bsric0_2_8_unrolled_kernelILi25ELi32ELi5EfEEv20rocsparse_direction_iiPKiS3_PT2_S3_PiS3_S6_21rocsparse_index_base_, .Lfunc_end6-_ZN9rocsparseL26bsric0_2_8_unrolled_kernelILi25ELi32ELi5EfEEv20rocsparse_direction_iiPKiS3_PT2_S3_PiS3_S6_21rocsparse_index_base_
                                        ; -- End function
	.section	.AMDGPU.csdata,"",@progbits
; Kernel info:
; codeLenInByte = 6372
; NumSgprs: 39
; NumVgprs: 44
; ScratchSize: 0
; MemoryBound: 0
; FloatMode: 240
; IeeeMode: 1
; LDSByteSize: 888 bytes/workgroup (compile time only)
; SGPRBlocks: 4
; VGPRBlocks: 5
; NumSGPRsForWavesPerEU: 39
; NumVGPRsForWavesPerEU: 44
; Occupancy: 16
; WaveLimiterHint : 1
; COMPUTE_PGM_RSRC2:SCRATCH_EN: 0
; COMPUTE_PGM_RSRC2:USER_SGPR: 15
; COMPUTE_PGM_RSRC2:TRAP_HANDLER: 0
; COMPUTE_PGM_RSRC2:TGID_X_EN: 1
; COMPUTE_PGM_RSRC2:TGID_Y_EN: 0
; COMPUTE_PGM_RSRC2:TGID_Z_EN: 0
; COMPUTE_PGM_RSRC2:TIDIG_COMP_CNT: 1
	.section	.text._ZN9rocsparseL26bsric0_2_8_unrolled_kernelILi36ELi32ELi6EfEEv20rocsparse_direction_iiPKiS3_PT2_S3_PiS3_S6_21rocsparse_index_base_,"axG",@progbits,_ZN9rocsparseL26bsric0_2_8_unrolled_kernelILi36ELi32ELi6EfEEv20rocsparse_direction_iiPKiS3_PT2_S3_PiS3_S6_21rocsparse_index_base_,comdat
	.globl	_ZN9rocsparseL26bsric0_2_8_unrolled_kernelILi36ELi32ELi6EfEEv20rocsparse_direction_iiPKiS3_PT2_S3_PiS3_S6_21rocsparse_index_base_ ; -- Begin function _ZN9rocsparseL26bsric0_2_8_unrolled_kernelILi36ELi32ELi6EfEEv20rocsparse_direction_iiPKiS3_PT2_S3_PiS3_S6_21rocsparse_index_base_
	.p2align	8
	.type	_ZN9rocsparseL26bsric0_2_8_unrolled_kernelILi36ELi32ELi6EfEEv20rocsparse_direction_iiPKiS3_PT2_S3_PiS3_S6_21rocsparse_index_base_,@function
_ZN9rocsparseL26bsric0_2_8_unrolled_kernelILi36ELi32ELi6EfEEv20rocsparse_direction_iiPKiS3_PT2_S3_PiS3_S6_21rocsparse_index_base_: ; @_ZN9rocsparseL26bsric0_2_8_unrolled_kernelILi36ELi32ELi6EfEEv20rocsparse_direction_iiPKiS3_PT2_S3_PiS3_S6_21rocsparse_index_base_
; %bb.0:
	s_load_b256 s[4:11], s[0:1], 0x28
	s_mov_b32 s2, s15
	s_mov_b32 s3, 0
	v_and_b32_e32 v5, 0x3ff, v0
	s_lshl_b64 s[12:13], s[2:3], 2
	v_bfe_u32 v6, v0, 10, 10
	s_waitcnt lgkmcnt(0)
	s_add_u32 s8, s8, s12
	s_addc_u32 s9, s9, s13
	s_load_b32 s16, s[8:9], 0x0
	s_waitcnt lgkmcnt(0)
	s_ashr_i32 s17, s16, 31
	s_delay_alu instid0(SALU_CYCLE_1) | instskip(NEXT) | instid1(SALU_CYCLE_1)
	s_lshl_b64 s[8:9], s[16:17], 2
	s_add_u32 s12, s4, s8
	s_addc_u32 s13, s5, s9
	s_load_b32 s26, s[12:13], 0x0
	s_load_b32 s17, s[0:1], 0x48
	s_waitcnt lgkmcnt(0)
	s_cmp_lg_u32 s26, -1
	s_cbranch_scc0 .LBB7_109
; %bb.1:
	s_clause 0x1
	s_load_b128 s[12:15], s[0:1], 0x10
	s_load_b64 s[18:19], s[0:1], 0x20
	v_mad_u32_u24 v7, v6, 6, v5
	s_waitcnt lgkmcnt(0)
	s_add_u32 s2, s12, s8
	s_addc_u32 s3, s13, s9
	s_load_b32 s2, s[2:3], 0x0
	s_mov_b32 s3, exec_lo
	s_waitcnt lgkmcnt(0)
	s_sub_i32 s27, s2, s17
	s_delay_alu instid0(SALU_CYCLE_1) | instskip(NEXT) | instid1(VALU_DEP_1)
	v_add_nc_u32_e32 v0, s27, v7
	v_cmpx_ge_i32_e64 s26, v0
	s_cbranch_execz .LBB7_4
; %bb.2:
	v_ashrrev_i32_e32 v1, 31, v0
	v_lshl_add_u32 v3, v7, 2, 0x3c0
	s_mov_b32 s20, 0
	s_delay_alu instid0(VALU_DEP_2) | instskip(NEXT) | instid1(VALU_DEP_1)
	v_lshlrev_b64 v[1:2], 2, v[0:1]
	v_add_co_u32 v1, vcc_lo, s14, v1
	s_delay_alu instid0(VALU_DEP_2)
	v_add_co_ci_u32_e32 v2, vcc_lo, s15, v2, vcc_lo
	.p2align	6
.LBB7_3:                                ; =>This Inner Loop Header: Depth=1
	global_load_b32 v4, v[1:2], off
	v_add_nc_u32_e32 v0, 36, v0
	v_add_co_u32 v1, vcc_lo, 0x90, v1
	v_add_co_ci_u32_e32 v2, vcc_lo, 0, v2, vcc_lo
	s_delay_alu instid0(VALU_DEP_3) | instskip(NEXT) | instid1(VALU_DEP_1)
	v_cmp_lt_i32_e64 s2, s26, v0
	s_or_b32 s20, s2, s20
	s_waitcnt vmcnt(0)
	v_subrev_nc_u32_e32 v4, s17, v4
	ds_store_b32 v3, v4
	v_add_nc_u32_e32 v3, 0x90, v3
	s_and_not1_b32 exec_lo, exec_lo, s20
	s_cbranch_execnz .LBB7_3
.LBB7_4:
	s_or_b32 exec_lo, exec_lo, s3
	s_load_b32 s1, s[0:1], 0x0
	v_lshlrev_b32_e32 v0, 2, v5
	v_mul_u32_u24_e32 v11, 6, v6
	v_mad_u32_u24 v8, v5, 6, v6
	s_cmp_ge_i32 s27, s26
	s_delay_alu instid0(VALU_DEP_3) | instskip(NEXT) | instid1(VALU_DEP_1)
	v_mad_u32_u24 v10, v6, 28, v0
	v_dual_mov_b32 v12, 0 :: v_dual_add_nc_u32 v9, 0x210, v10
	ds_store_b32 v10, v12 offset:528
	s_waitcnt lgkmcnt(0)
	buffer_gl0_inv
	s_cbranch_scc1 .LBB7_54
; %bb.5:
	v_mad_u32_u24 v1, v5, 6, v6
	v_mad_u32_u24 v13, v6, 28, 0x160
	;; [unrolled: 1-line block ×3, first 2 shown]
	v_or_b32_e32 v2, v5, v6
	s_cmp_eq_u32 s1, 0
	v_mul_u32_u24_e32 v15, 6, v5
	s_cselect_b32 vcc_lo, -1, 0
	v_add_nc_u32_e32 v16, v13, v0
	v_dual_cndmask_b32 v0, v1, v7 :: v_dual_add_nc_u32 v17, v14, v0
	v_cmp_ne_u32_e64 s0, 0, v2
	v_mad_u32_u24 v18, v5, 28, 0x160
	s_cmp_lg_u32 s1, 0
	s_mov_b32 s2, s27
	s_cselect_b32 s28, -1, 0
	s_branch .LBB7_9
.LBB7_6:                                ;   in Loop: Header=BB7_9 Depth=1
	s_or_b32 exec_lo, exec_lo, s21
	v_mov_b32_e32 v4, 1.0
.LBB7_7:                                ;   in Loop: Header=BB7_9 Depth=1
	s_or_b32 exec_lo, exec_lo, s20
	ds_load_2addr_b32 v[19:20], v12 offset0:35 offset1:36
	ds_load_2addr_b32 v[21:22], v13 offset1:1
	ds_load_b32 v27, v14 offset:20
	ds_load_2addr_b32 v[23:24], v12 offset0:37 offset1:38
	ds_load_2addr_b32 v[25:26], v13 offset0:2 offset1:3
	ds_load_b32 v28, v13 offset:16
	ds_load_b32 v29, v12 offset:156
	s_add_i32 s2, s2, 1
	s_delay_alu instid0(SALU_CYCLE_1) | instskip(SKIP_3) | instid1(VALU_DEP_1)
	s_cmp_ge_i32 s2, s26
	s_cselect_b32 s24, -1, 0
	s_waitcnt lgkmcnt(4)
	v_fmac_f32_e32 v27, v19, v21
	v_fmac_f32_e32 v27, v20, v22
	s_waitcnt lgkmcnt(2)
	s_delay_alu instid0(VALU_DEP_1) | instskip(NEXT) | instid1(VALU_DEP_1)
	v_fmac_f32_e32 v27, v23, v25
	v_fmac_f32_e32 v27, v24, v26
	s_waitcnt lgkmcnt(0)
	s_delay_alu instid0(VALU_DEP_1) | instskip(NEXT) | instid1(VALU_DEP_1)
	v_fmac_f32_e32 v27, v29, v28
	v_sub_f32_e32 v3, v3, v27
	s_delay_alu instid0(VALU_DEP_1) | instskip(SKIP_1) | instid1(VALU_DEP_2)
	v_div_scale_f32 v19, null, v4, v4, v3
	v_div_scale_f32 v22, vcc_lo, v3, v4, v3
	v_rcp_f32_e32 v20, v19
	s_waitcnt_depctr 0xfff
	v_fma_f32 v21, -v19, v20, 1.0
	s_delay_alu instid0(VALU_DEP_1) | instskip(NEXT) | instid1(VALU_DEP_1)
	v_fmac_f32_e32 v20, v21, v20
	v_mul_f32_e32 v21, v22, v20
	s_delay_alu instid0(VALU_DEP_1) | instskip(NEXT) | instid1(VALU_DEP_1)
	v_fma_f32 v23, -v19, v21, v22
	v_fmac_f32_e32 v21, v23, v20
	s_delay_alu instid0(VALU_DEP_1) | instskip(NEXT) | instid1(VALU_DEP_1)
	v_fma_f32 v19, -v19, v21, v22
	v_div_fmas_f32 v19, v19, v20, v21
	s_delay_alu instid0(VALU_DEP_1)
	v_div_fixup_f32 v3, v19, v4, v3
	ds_store_b32 v13, v3 offset:20
	s_waitcnt lgkmcnt(0)
	s_waitcnt_vscnt null, 0x0
	buffer_gl0_inv
	ds_load_b32 v4, v18 offset:20
	ds_load_b32 v19, v9
	s_waitcnt lgkmcnt(0)
	v_fmac_f32_e32 v19, v3, v4
	ds_store_b32 v9, v19
	s_waitcnt lgkmcnt(0)
	buffer_gl0_inv
	ds_load_b32 v3, v16
	s_waitcnt lgkmcnt(0)
	global_store_b32 v[1:2], v3, off
	s_waitcnt_vscnt null, 0x0
	buffer_gl1_inv
	buffer_gl0_inv
.LBB7_8:                                ;   in Loop: Header=BB7_9 Depth=1
	s_and_b32 vcc_lo, exec_lo, s24
	s_cbranch_vccnz .LBB7_54
.LBB7_9:                                ; =>This Loop Header: Depth=1
                                        ;     Child Loop BB7_12 Depth 2
                                        ;     Child Loop BB7_23 Depth 2
	s_ashr_i32 s3, s2, 31
	s_delay_alu instid0(SALU_CYCLE_1) | instskip(NEXT) | instid1(SALU_CYCLE_1)
	s_lshl_b64 s[20:21], s[2:3], 2
	s_add_u32 s20, s14, s20
	s_addc_u32 s21, s15, s21
	s_load_b32 s3, s[20:21], 0x0
	s_waitcnt lgkmcnt(0)
	s_sub_i32 s22, s3, s17
	s_delay_alu instid0(SALU_CYCLE_1) | instskip(NEXT) | instid1(SALU_CYCLE_1)
	s_ashr_i32 s23, s22, 31
	s_lshl_b64 s[20:21], s[22:23], 2
	s_delay_alu instid0(SALU_CYCLE_1)
	s_add_u32 s24, s4, s20
	s_addc_u32 s25, s5, s21
	s_load_b32 s23, s[24:25], 0x0
	s_mov_b32 s24, -1
	s_waitcnt lgkmcnt(0)
	s_cmp_eq_u32 s23, -1
	s_cbranch_scc1 .LBB7_8
; %bb.10:                               ;   in Loop: Header=BB7_9 Depth=1
	v_mad_u64_u32 v[1:2], null, s2, 36, v[0:1]
	s_add_u32 s24, s12, s20
	s_addc_u32 s25, s13, s21
	ds_load_b32 v4, v12 offset:960
	s_load_b32 s24, s[24:25], 0x0
	v_ashrrev_i32_e32 v2, 31, v1
	s_delay_alu instid0(VALU_DEP_1) | instskip(NEXT) | instid1(VALU_DEP_1)
	v_lshlrev_b64 v[1:2], 2, v[1:2]
	v_add_co_u32 v1, vcc_lo, s18, v1
	s_delay_alu instid0(VALU_DEP_2)
	v_add_co_ci_u32_e32 v2, vcc_lo, s19, v2, vcc_lo
	s_waitcnt lgkmcnt(0)
	v_cmp_ge_i32_e32 vcc_lo, s22, v4
	s_sub_i32 s24, s24, s17
	global_load_b32 v3, v[1:2], off
	s_cmp_le_i32 s24, s23
	s_cselect_b32 s25, -1, 0
	s_delay_alu instid0(SALU_CYCLE_1) | instskip(NEXT) | instid1(SALU_CYCLE_1)
	s_and_b32 s25, s25, vcc_lo
	s_and_not1_b32 vcc_lo, exec_lo, s25
	s_mov_b32 s25, 0
	s_waitcnt vmcnt(0)
	ds_store_b32 v16, v3
	s_cbranch_vccnz .LBB7_22
; %bb.11:                               ;   in Loop: Header=BB7_9 Depth=1
	s_mov_b32 s29, 0
	s_mov_b32 s30, 0
.LBB7_12:                               ;   Parent Loop BB7_9 Depth=1
                                        ; =>  This Inner Loop Header: Depth=2
	s_ashr_i32 s25, s24, 31
                                        ; implicit-def: $sgpr33
	s_delay_alu instid0(SALU_CYCLE_1) | instskip(NEXT) | instid1(SALU_CYCLE_1)
	s_lshl_b64 s[34:35], s[24:25], 2
	s_add_u32 s34, s14, s34
	s_addc_u32 s35, s15, s35
	s_lshl_b32 s25, s30, 2
	s_delay_alu instid0(SALU_CYCLE_1)
	v_mov_b32_e32 v3, s25
	s_load_b32 s25, s[34:35], 0x0
	s_mov_b32 s35, -1
                                        ; implicit-def: $sgpr34
	ds_load_b32 v3, v3 offset:960
	s_waitcnt lgkmcnt(0)
	s_sub_i32 s36, s25, s17
                                        ; implicit-def: $sgpr25
	s_delay_alu instid0(SALU_CYCLE_1)
	v_cmp_ge_i32_e32 vcc_lo, s36, v3
	v_readfirstlane_b32 s31, v3
	s_cbranch_vccz .LBB7_18
; %bb.13:                               ;   in Loop: Header=BB7_12 Depth=2
	s_delay_alu instid0(VALU_DEP_1)
	s_cmp_le_i32 s36, s31
                                        ; implicit-def: $sgpr25
                                        ; implicit-def: $sgpr34
                                        ; implicit-def: $sgpr33
	s_cbranch_scc0 .LBB7_15
; %bb.14:                               ;   in Loop: Header=BB7_12 Depth=2
	s_add_i32 s25, s30, s27
	s_lshl_b32 s33, s29, 2
	s_mul_i32 s25, s25, 36
	s_delay_alu instid0(SALU_CYCLE_1)
	v_dual_mov_b32 v3, s33 :: v_dual_mov_b32 v4, s25
	s_mul_i32 s33, s24, 36
	s_add_i32 s34, s24, 1
	v_mov_b32_e32 v19, s33
	s_add_i32 s33, s30, 1
	s_add_i32 s25, s29, 1
	s_mov_b32 s35, 0
	ds_store_2addr_b32 v3, v19, v4 offset0:176 offset1:208
.LBB7_15:                               ;   in Loop: Header=BB7_12 Depth=2
	s_and_not1_b32 vcc_lo, exec_lo, s35
	s_cbranch_vccnz .LBB7_17
; %bb.16:                               ;   in Loop: Header=BB7_12 Depth=2
	s_add_i32 s33, s30, 1
	s_mov_b32 s25, s29
	s_mov_b32 s34, s24
.LBB7_17:                               ;   in Loop: Header=BB7_12 Depth=2
	s_mov_b32 s35, 0
.LBB7_18:                               ;   in Loop: Header=BB7_12 Depth=2
	s_delay_alu instid0(SALU_CYCLE_1)
	s_and_not1_b32 vcc_lo, exec_lo, s35
	s_cbranch_vccnz .LBB7_20
; %bb.19:                               ;   in Loop: Header=BB7_12 Depth=2
	s_add_i32 s34, s24, 1
	s_mov_b32 s33, s30
	s_mov_b32 s25, s29
.LBB7_20:                               ;   in Loop: Header=BB7_12 Depth=2
	s_cmp_le_i32 s34, s23
	s_cselect_b32 s24, -1, 0
	s_cmp_le_i32 s31, s22
	s_cselect_b32 s29, -1, 0
	s_delay_alu instid0(SALU_CYCLE_1) | instskip(NEXT) | instid1(SALU_CYCLE_1)
	s_and_b32 s24, s24, s29
	s_and_b32 vcc_lo, exec_lo, s24
	s_cbranch_vccz .LBB7_22
; %bb.21:                               ;   in Loop: Header=BB7_12 Depth=2
	s_mov_b32 s29, s25
	s_mov_b32 s24, s34
	;; [unrolled: 1-line block ×3, first 2 shown]
	s_branch .LBB7_12
.LBB7_22:                               ;   in Loop: Header=BB7_9 Depth=1
	s_add_u32 s20, s6, s20
	s_addc_u32 s21, s7, s21
	s_waitcnt lgkmcnt(0)
	buffer_gl0_inv
.LBB7_23:                               ;   Parent Loop BB7_9 Depth=1
                                        ; =>  This Inner Loop Header: Depth=2
	global_load_b32 v3, v12, s[20:21] glc
	s_waitcnt vmcnt(0)
	v_cmp_eq_u32_e32 vcc_lo, 0, v3
	s_cbranch_vccnz .LBB7_23
; %bb.24:                               ;   in Loop: Header=BB7_9 Depth=1
	v_mad_u64_u32 v[3:4], null, s23, 36, v[0:1]
	buffer_gl1_inv
	buffer_gl0_inv
	v_mov_b32_e32 v20, 0
	s_cmp_lt_i32 s25, 2
	v_ashrrev_i32_e32 v4, 31, v3
	s_delay_alu instid0(VALU_DEP_1) | instskip(NEXT) | instid1(VALU_DEP_1)
	v_lshlrev_b64 v[3:4], 2, v[3:4]
	v_add_co_u32 v3, vcc_lo, s18, v3
	s_delay_alu instid0(VALU_DEP_2)
	v_add_co_ci_u32_e32 v4, vcc_lo, s19, v4, vcc_lo
	global_load_b32 v3, v[3:4], off
	s_waitcnt vmcnt(0)
	ds_store_b32 v10, v3
	s_waitcnt lgkmcnt(0)
	buffer_gl0_inv
	s_cbranch_scc1 .LBB7_31
; %bb.25:                               ;   in Loop: Header=BB7_9 Depth=1
	v_mov_b32_e32 v19, 0
	s_add_i32 s20, s25, -1
	s_movk_i32 s21, 0x2c0
	s_delay_alu instid0(SALU_CYCLE_1)
	v_mov_b32_e32 v3, s21
	s_and_b32 vcc_lo, exec_lo, s28
	ds_load_2addr_b32 v[3:4], v3 offset1:32
	s_cbranch_vccz .LBB7_27
.LBB7_26:                               ;   in Loop: Header=BB7_9 Depth=1
	s_waitcnt lgkmcnt(0)
	v_add_nc_u32_e32 v20, v3, v5
	v_add_nc_u32_e32 v22, v4, v6
	s_delay_alu instid0(VALU_DEP_2) | instskip(SKIP_1) | instid1(VALU_DEP_3)
	v_ashrrev_i32_e32 v21, 31, v20
	v_add_nc_u32_e32 v24, 6, v20
	v_ashrrev_i32_e32 v23, 31, v22
	v_add_nc_u32_e32 v26, 6, v22
	v_add_nc_u32_e32 v30, 12, v20
	v_lshlrev_b64 v[28:29], 2, v[20:21]
	v_ashrrev_i32_e32 v25, 31, v24
	v_lshlrev_b64 v[31:32], 2, v[22:23]
	v_ashrrev_i32_e32 v27, 31, v26
	v_add_nc_u32_e32 v35, 12, v22
	v_add_nc_u32_e32 v37, 18, v20
	v_add_co_u32 v28, vcc_lo, s18, v28
	v_lshlrev_b64 v[23:24], 2, v[24:25]
	v_add_co_ci_u32_e32 v29, vcc_lo, s19, v29, vcc_lo
	v_add_co_u32 v33, vcc_lo, s18, v31
	v_ashrrev_i32_e32 v31, 31, v30
	v_lshlrev_b64 v[25:26], 2, v[26:27]
	v_ashrrev_i32_e32 v36, 31, v35
	v_add_co_ci_u32_e32 v34, vcc_lo, s19, v32, vcc_lo
	v_add_nc_u32_e32 v39, 18, v22
	v_add_co_u32 v23, vcc_lo, s18, v23
	v_lshlrev_b64 v[30:31], 2, v[30:31]
	v_ashrrev_i32_e32 v38, 31, v37
	v_add_co_ci_u32_e32 v24, vcc_lo, s19, v24, vcc_lo
	v_add_co_u32 v25, vcc_lo, s18, v25
	v_lshlrev_b64 v[35:36], 2, v[35:36]
	v_ashrrev_i32_e32 v40, 31, v39
	v_add_co_ci_u32_e32 v26, vcc_lo, s19, v26, vcc_lo
	v_add_co_u32 v30, vcc_lo, s18, v30
	v_lshlrev_b64 v[37:38], 2, v[37:38]
	v_add_nc_u32_e32 v41, 24, v20
	v_add_co_ci_u32_e32 v31, vcc_lo, s19, v31, vcc_lo
	v_add_co_u32 v35, vcc_lo, s18, v35
	v_lshlrev_b64 v[39:40], 2, v[39:40]
	v_add_nc_u32_e32 v43, 24, v22
	v_add_co_ci_u32_e32 v36, vcc_lo, s19, v36, vcc_lo
	v_ashrrev_i32_e32 v42, 31, v41
	v_add_co_u32 v37, vcc_lo, s18, v37
	v_add_co_ci_u32_e32 v38, vcc_lo, s19, v38, vcc_lo
	v_ashrrev_i32_e32 v44, 31, v43
	v_add_nc_u32_e32 v20, 30, v20
	v_add_co_u32 v39, vcc_lo, s18, v39
	v_lshlrev_b64 v[41:42], 2, v[41:42]
	v_add_co_ci_u32_e32 v40, vcc_lo, s19, v40, vcc_lo
	s_clause 0x7
	global_load_b32 v29, v[28:29], off
	global_load_b32 v32, v[33:34], off
	;; [unrolled: 1-line block ×8, first 2 shown]
	v_add_nc_u32_e32 v25, 30, v22
	v_lshlrev_b64 v[23:24], 2, v[43:44]
	v_ashrrev_i32_e32 v21, 31, v20
	v_add_co_u32 v27, vcc_lo, s18, v41
	s_delay_alu instid0(VALU_DEP_4) | instskip(SKIP_1) | instid1(VALU_DEP_4)
	v_ashrrev_i32_e32 v26, 31, v25
	v_add_co_ci_u32_e32 v28, vcc_lo, s19, v42, vcc_lo
	v_lshlrev_b64 v[20:21], 2, v[20:21]
	v_add_co_u32 v22, vcc_lo, s18, v23
	v_add_co_ci_u32_e32 v23, vcc_lo, s19, v24, vcc_lo
	v_lshlrev_b64 v[24:25], 2, v[25:26]
	s_delay_alu instid0(VALU_DEP_4) | instskip(SKIP_1) | instid1(VALU_DEP_3)
	v_add_co_u32 v20, vcc_lo, s18, v20
	v_add_co_ci_u32_e32 v21, vcc_lo, s19, v21, vcc_lo
	v_add_co_u32 v24, vcc_lo, s18, v24
	s_delay_alu instid0(VALU_DEP_4)
	v_add_co_ci_u32_e32 v25, vcc_lo, s19, v25, vcc_lo
	s_clause 0x3
	global_load_b32 v26, v[27:28], off
	global_load_b32 v22, v[22:23], off
	global_load_b32 v21, v[20:21], off
	global_load_b32 v23, v[24:25], off
	s_waitcnt vmcnt(10)
	v_fma_f32 v20, v29, v32, v19
	s_waitcnt vmcnt(8)
	s_delay_alu instid0(VALU_DEP_1) | instskip(SKIP_1) | instid1(VALU_DEP_1)
	v_fmac_f32_e32 v20, v33, v34
	s_waitcnt vmcnt(6)
	v_fmac_f32_e32 v20, v30, v31
	s_waitcnt vmcnt(4)
	s_delay_alu instid0(VALU_DEP_1) | instskip(SKIP_1) | instid1(VALU_DEP_1)
	v_fmac_f32_e32 v20, v35, v36
	s_waitcnt vmcnt(2)
	v_fmac_f32_e32 v20, v26, v22
	s_waitcnt vmcnt(0)
	s_delay_alu instid0(VALU_DEP_1)
	v_fmac_f32_e32 v20, v21, v23
	s_cbranch_execz .LBB7_28
	s_branch .LBB7_29
.LBB7_27:                               ;   in Loop: Header=BB7_9 Depth=1
                                        ; implicit-def: $vgpr20
.LBB7_28:                               ;   in Loop: Header=BB7_9 Depth=1
	s_waitcnt lgkmcnt(0)
	v_add_nc_u32_e32 v3, v3, v15
	v_add_nc_u32_e32 v20, v4, v11
	s_delay_alu instid0(VALU_DEP_2) | instskip(NEXT) | instid1(VALU_DEP_2)
	v_ashrrev_i32_e32 v4, 31, v3
	v_ashrrev_i32_e32 v21, 31, v20
	s_delay_alu instid0(VALU_DEP_2) | instskip(NEXT) | instid1(VALU_DEP_2)
	v_lshlrev_b64 v[3:4], 2, v[3:4]
	v_lshlrev_b64 v[20:21], 2, v[20:21]
	s_delay_alu instid0(VALU_DEP_2) | instskip(NEXT) | instid1(VALU_DEP_3)
	v_add_co_u32 v3, vcc_lo, s18, v3
	v_add_co_ci_u32_e32 v4, vcc_lo, s19, v4, vcc_lo
	s_delay_alu instid0(VALU_DEP_3) | instskip(NEXT) | instid1(VALU_DEP_4)
	v_add_co_u32 v28, vcc_lo, s18, v20
	v_add_co_ci_u32_e32 v29, vcc_lo, s19, v21, vcc_lo
	s_clause 0x3
	global_load_b128 v[20:23], v[3:4], off
	global_load_b128 v[24:27], v[28:29], off
	global_load_b64 v[3:4], v[3:4], off offset:16
	global_load_b64 v[28:29], v[28:29], off offset:16
	s_waitcnt vmcnt(2)
	v_fmac_f32_e32 v19, v20, v24
	s_delay_alu instid0(VALU_DEP_1) | instskip(NEXT) | instid1(VALU_DEP_1)
	v_fmac_f32_e32 v19, v21, v25
	v_fmac_f32_e32 v19, v22, v26
	s_delay_alu instid0(VALU_DEP_1) | instskip(SKIP_1) | instid1(VALU_DEP_1)
	v_fmac_f32_e32 v19, v23, v27
	s_waitcnt vmcnt(0)
	v_fmac_f32_e32 v19, v3, v28
	s_delay_alu instid0(VALU_DEP_1) | instskip(NEXT) | instid1(VALU_DEP_1)
	v_fmac_f32_e32 v19, v4, v29
	v_mov_b32_e32 v20, v19
.LBB7_29:                               ;   in Loop: Header=BB7_9 Depth=1
	s_add_i32 s20, s20, -1
	s_add_i32 s21, s21, 4
	s_cmp_eq_u32 s20, 0
	s_cbranch_scc1 .LBB7_31
; %bb.30:                               ;   in Loop: Header=BB7_9 Depth=1
	v_mov_b32_e32 v19, v20
	s_waitcnt lgkmcnt(0)
	v_mov_b32_e32 v3, s21
	s_and_b32 vcc_lo, exec_lo, s28
	ds_load_2addr_b32 v[3:4], v3 offset1:32
	s_cbranch_vccz .LBB7_27
	s_branch .LBB7_26
.LBB7_31:                               ;   in Loop: Header=BB7_9 Depth=1
	ds_store_b32 v17, v20
	s_waitcnt lgkmcnt(0)
	buffer_gl0_inv
	ds_load_b32 v4, v12
	ds_load_b32 v3, v13
	s_waitcnt lgkmcnt(1)
	v_cmp_neq_f32_e32 vcc_lo, 0, v4
	v_cndmask_b32_e32 v4, 1.0, v4, vcc_lo
	s_or_b32 s20, vcc_lo, s0
	s_delay_alu instid0(SALU_CYCLE_1) | instskip(NEXT) | instid1(SALU_CYCLE_1)
	s_xor_b32 s21, s20, -1
	s_and_saveexec_b32 s20, s21
	s_cbranch_execz .LBB7_35
; %bb.32:                               ;   in Loop: Header=BB7_9 Depth=1
	v_mbcnt_lo_u32_b32 v4, exec_lo, 0
	s_mov_b32 s21, exec_lo
	s_delay_alu instid0(VALU_DEP_1)
	v_cmpx_eq_u32_e32 0, v4
	s_cbranch_execz .LBB7_34
; %bb.33:                               ;   in Loop: Header=BB7_9 Depth=1
	v_mov_b32_e32 v4, s3
	global_atomic_min_i32 v12, v4, s[10:11]
.LBB7_34:                               ;   in Loop: Header=BB7_9 Depth=1
	s_or_b32 exec_lo, exec_lo, s21
	v_mov_b32_e32 v4, 1.0
.LBB7_35:                               ;   in Loop: Header=BB7_9 Depth=1
	s_or_b32 exec_lo, exec_lo, s20
	ds_load_b32 v19, v14
	s_waitcnt lgkmcnt(0)
	v_sub_f32_e32 v3, v3, v19
	s_delay_alu instid0(VALU_DEP_1) | instskip(NEXT) | instid1(VALU_DEP_1)
	v_div_scale_f32 v19, null, v4, v4, v3
	v_rcp_f32_e32 v20, v19
	s_waitcnt_depctr 0xfff
	v_fma_f32 v21, -v19, v20, 1.0
	s_delay_alu instid0(VALU_DEP_1) | instskip(SKIP_1) | instid1(VALU_DEP_1)
	v_fmac_f32_e32 v20, v21, v20
	v_div_scale_f32 v22, vcc_lo, v3, v4, v3
	v_mul_f32_e32 v21, v22, v20
	s_delay_alu instid0(VALU_DEP_1) | instskip(NEXT) | instid1(VALU_DEP_1)
	v_fma_f32 v23, -v19, v21, v22
	v_fmac_f32_e32 v21, v23, v20
	s_delay_alu instid0(VALU_DEP_1) | instskip(NEXT) | instid1(VALU_DEP_1)
	v_fma_f32 v19, -v19, v21, v22
	v_div_fmas_f32 v19, v19, v20, v21
	s_delay_alu instid0(VALU_DEP_1)
	v_div_fixup_f32 v3, v19, v4, v3
	ds_store_b32 v13, v3
	s_waitcnt lgkmcnt(0)
	s_waitcnt_vscnt null, 0x0
	buffer_gl0_inv
	ds_load_b32 v4, v18
	ds_load_b32 v19, v9
	s_waitcnt lgkmcnt(0)
	v_fmac_f32_e32 v19, v3, v4
	ds_store_b32 v9, v19
	s_waitcnt lgkmcnt(0)
	buffer_gl0_inv
	ds_load_b32 v4, v12 offset:32
	ds_load_b32 v3, v13 offset:4
	s_waitcnt lgkmcnt(1)
	v_cmp_neq_f32_e32 vcc_lo, 0, v4
	v_cndmask_b32_e32 v4, 1.0, v4, vcc_lo
	s_or_b32 s20, vcc_lo, s0
	s_delay_alu instid0(SALU_CYCLE_1) | instskip(NEXT) | instid1(SALU_CYCLE_1)
	s_xor_b32 s21, s20, -1
	s_and_saveexec_b32 s20, s21
	s_cbranch_execz .LBB7_39
; %bb.36:                               ;   in Loop: Header=BB7_9 Depth=1
	v_mbcnt_lo_u32_b32 v4, exec_lo, 0
	s_mov_b32 s21, exec_lo
	s_delay_alu instid0(VALU_DEP_1)
	v_cmpx_eq_u32_e32 0, v4
	s_cbranch_execz .LBB7_38
; %bb.37:                               ;   in Loop: Header=BB7_9 Depth=1
	v_mov_b32_e32 v4, s3
	global_atomic_min_i32 v12, v4, s[10:11]
.LBB7_38:                               ;   in Loop: Header=BB7_9 Depth=1
	s_or_b32 exec_lo, exec_lo, s21
	v_mov_b32_e32 v4, 1.0
.LBB7_39:                               ;   in Loop: Header=BB7_9 Depth=1
	s_or_b32 exec_lo, exec_lo, s20
	ds_load_b32 v19, v13
	ds_load_b32 v20, v12 offset:28
	ds_load_b32 v21, v14 offset:4
	s_waitcnt lgkmcnt(0)
	v_fmac_f32_e32 v21, v20, v19
	s_delay_alu instid0(VALU_DEP_1) | instskip(NEXT) | instid1(VALU_DEP_1)
	v_sub_f32_e32 v3, v3, v21
	v_div_scale_f32 v19, null, v4, v4, v3
	s_delay_alu instid0(VALU_DEP_1) | instskip(SKIP_2) | instid1(VALU_DEP_1)
	v_rcp_f32_e32 v20, v19
	s_waitcnt_depctr 0xfff
	v_fma_f32 v21, -v19, v20, 1.0
	v_fmac_f32_e32 v20, v21, v20
	v_div_scale_f32 v22, vcc_lo, v3, v4, v3
	s_delay_alu instid0(VALU_DEP_1) | instskip(NEXT) | instid1(VALU_DEP_1)
	v_mul_f32_e32 v21, v22, v20
	v_fma_f32 v23, -v19, v21, v22
	s_delay_alu instid0(VALU_DEP_1) | instskip(NEXT) | instid1(VALU_DEP_1)
	v_fmac_f32_e32 v21, v23, v20
	v_fma_f32 v19, -v19, v21, v22
	s_delay_alu instid0(VALU_DEP_1) | instskip(NEXT) | instid1(VALU_DEP_1)
	v_div_fmas_f32 v19, v19, v20, v21
	v_div_fixup_f32 v3, v19, v4, v3
	ds_store_b32 v13, v3 offset:4
	s_waitcnt lgkmcnt(0)
	s_waitcnt_vscnt null, 0x0
	buffer_gl0_inv
	ds_load_b32 v4, v18 offset:4
	ds_load_b32 v19, v9
	s_waitcnt lgkmcnt(0)
	v_fmac_f32_e32 v19, v3, v4
	ds_store_b32 v9, v19
	s_waitcnt lgkmcnt(0)
	buffer_gl0_inv
	ds_load_b32 v4, v12 offset:64
	ds_load_b32 v3, v13 offset:8
	s_waitcnt lgkmcnt(1)
	v_cmp_neq_f32_e32 vcc_lo, 0, v4
	v_cndmask_b32_e32 v4, 1.0, v4, vcc_lo
	s_or_b32 s20, vcc_lo, s0
	s_delay_alu instid0(SALU_CYCLE_1) | instskip(NEXT) | instid1(SALU_CYCLE_1)
	s_xor_b32 s21, s20, -1
	s_and_saveexec_b32 s20, s21
	s_cbranch_execz .LBB7_43
; %bb.40:                               ;   in Loop: Header=BB7_9 Depth=1
	v_mbcnt_lo_u32_b32 v4, exec_lo, 0
	s_mov_b32 s21, exec_lo
	s_delay_alu instid0(VALU_DEP_1)
	v_cmpx_eq_u32_e32 0, v4
	s_cbranch_execz .LBB7_42
; %bb.41:                               ;   in Loop: Header=BB7_9 Depth=1
	v_mov_b32_e32 v4, s3
	global_atomic_min_i32 v12, v4, s[10:11]
.LBB7_42:                               ;   in Loop: Header=BB7_9 Depth=1
	s_or_b32 exec_lo, exec_lo, s21
	v_mov_b32_e32 v4, 1.0
.LBB7_43:                               ;   in Loop: Header=BB7_9 Depth=1
	s_or_b32 exec_lo, exec_lo, s20
	ds_load_2addr_b32 v[19:20], v13 offset1:1
	ds_load_b64 v[21:22], v12 offset:56
	ds_load_b32 v23, v14 offset:8
	s_waitcnt lgkmcnt(0)
	v_fmac_f32_e32 v23, v21, v19
	s_delay_alu instid0(VALU_DEP_1) | instskip(NEXT) | instid1(VALU_DEP_1)
	v_fmac_f32_e32 v23, v22, v20
	v_sub_f32_e32 v3, v3, v23
	s_delay_alu instid0(VALU_DEP_1) | instskip(NEXT) | instid1(VALU_DEP_1)
	v_div_scale_f32 v19, null, v4, v4, v3
	v_rcp_f32_e32 v20, v19
	s_waitcnt_depctr 0xfff
	v_fma_f32 v21, -v19, v20, 1.0
	s_delay_alu instid0(VALU_DEP_1) | instskip(SKIP_1) | instid1(VALU_DEP_1)
	v_fmac_f32_e32 v20, v21, v20
	v_div_scale_f32 v22, vcc_lo, v3, v4, v3
	v_mul_f32_e32 v21, v22, v20
	s_delay_alu instid0(VALU_DEP_1) | instskip(NEXT) | instid1(VALU_DEP_1)
	v_fma_f32 v23, -v19, v21, v22
	v_fmac_f32_e32 v21, v23, v20
	s_delay_alu instid0(VALU_DEP_1) | instskip(NEXT) | instid1(VALU_DEP_1)
	v_fma_f32 v19, -v19, v21, v22
	v_div_fmas_f32 v19, v19, v20, v21
	s_delay_alu instid0(VALU_DEP_1)
	v_div_fixup_f32 v3, v19, v4, v3
	ds_store_b32 v13, v3 offset:8
	s_waitcnt lgkmcnt(0)
	s_waitcnt_vscnt null, 0x0
	buffer_gl0_inv
	ds_load_b32 v4, v18 offset:8
	ds_load_b32 v19, v9
	s_waitcnt lgkmcnt(0)
	v_fmac_f32_e32 v19, v3, v4
	ds_store_b32 v9, v19
	s_waitcnt lgkmcnt(0)
	buffer_gl0_inv
	ds_load_b32 v4, v12 offset:96
	ds_load_b32 v3, v13 offset:12
	s_waitcnt lgkmcnt(1)
	v_cmp_neq_f32_e32 vcc_lo, 0, v4
	v_cndmask_b32_e32 v4, 1.0, v4, vcc_lo
	s_or_b32 s20, vcc_lo, s0
	s_delay_alu instid0(SALU_CYCLE_1) | instskip(NEXT) | instid1(SALU_CYCLE_1)
	s_xor_b32 s21, s20, -1
	s_and_saveexec_b32 s20, s21
	s_cbranch_execz .LBB7_47
; %bb.44:                               ;   in Loop: Header=BB7_9 Depth=1
	v_mbcnt_lo_u32_b32 v4, exec_lo, 0
	s_mov_b32 s21, exec_lo
	s_delay_alu instid0(VALU_DEP_1)
	v_cmpx_eq_u32_e32 0, v4
	s_cbranch_execz .LBB7_46
; %bb.45:                               ;   in Loop: Header=BB7_9 Depth=1
	v_mov_b32_e32 v4, s3
	global_atomic_min_i32 v12, v4, s[10:11]
.LBB7_46:                               ;   in Loop: Header=BB7_9 Depth=1
	s_or_b32 exec_lo, exec_lo, s21
	v_mov_b32_e32 v4, 1.0
.LBB7_47:                               ;   in Loop: Header=BB7_9 Depth=1
	s_or_b32 exec_lo, exec_lo, s20
	ds_load_2addr_b32 v[19:20], v12 offset0:21 offset1:22
	ds_load_b32 v23, v14 offset:12
	ds_load_2addr_b32 v[21:22], v13 offset1:1
	ds_load_b32 v24, v13 offset:8
	ds_load_b32 v25, v12 offset:92
	s_waitcnt lgkmcnt(2)
	v_fmac_f32_e32 v23, v19, v21
	s_delay_alu instid0(VALU_DEP_1) | instskip(SKIP_1) | instid1(VALU_DEP_1)
	v_fmac_f32_e32 v23, v20, v22
	s_waitcnt lgkmcnt(0)
	v_fmac_f32_e32 v23, v25, v24
	s_delay_alu instid0(VALU_DEP_1) | instskip(NEXT) | instid1(VALU_DEP_1)
	v_sub_f32_e32 v3, v3, v23
	v_div_scale_f32 v19, null, v4, v4, v3
	v_div_scale_f32 v22, vcc_lo, v3, v4, v3
	s_delay_alu instid0(VALU_DEP_2) | instskip(SKIP_2) | instid1(VALU_DEP_1)
	v_rcp_f32_e32 v20, v19
	s_waitcnt_depctr 0xfff
	v_fma_f32 v21, -v19, v20, 1.0
	v_fmac_f32_e32 v20, v21, v20
	s_delay_alu instid0(VALU_DEP_1) | instskip(NEXT) | instid1(VALU_DEP_1)
	v_mul_f32_e32 v21, v22, v20
	v_fma_f32 v23, -v19, v21, v22
	s_delay_alu instid0(VALU_DEP_1) | instskip(NEXT) | instid1(VALU_DEP_1)
	v_fmac_f32_e32 v21, v23, v20
	v_fma_f32 v19, -v19, v21, v22
	s_delay_alu instid0(VALU_DEP_1) | instskip(NEXT) | instid1(VALU_DEP_1)
	v_div_fmas_f32 v19, v19, v20, v21
	v_div_fixup_f32 v3, v19, v4, v3
	ds_store_b32 v13, v3 offset:12
	s_waitcnt lgkmcnt(0)
	s_waitcnt_vscnt null, 0x0
	buffer_gl0_inv
	ds_load_b32 v4, v18 offset:12
	ds_load_b32 v19, v9
	s_waitcnt lgkmcnt(0)
	v_fmac_f32_e32 v19, v3, v4
	ds_store_b32 v9, v19
	s_waitcnt lgkmcnt(0)
	buffer_gl0_inv
	ds_load_b32 v4, v12 offset:128
	ds_load_b32 v3, v13 offset:16
	s_waitcnt lgkmcnt(1)
	v_cmp_neq_f32_e32 vcc_lo, 0, v4
	v_cndmask_b32_e32 v4, 1.0, v4, vcc_lo
	s_or_b32 s20, vcc_lo, s0
	s_delay_alu instid0(SALU_CYCLE_1) | instskip(NEXT) | instid1(SALU_CYCLE_1)
	s_xor_b32 s21, s20, -1
	s_and_saveexec_b32 s20, s21
	s_cbranch_execz .LBB7_51
; %bb.48:                               ;   in Loop: Header=BB7_9 Depth=1
	v_mbcnt_lo_u32_b32 v4, exec_lo, 0
	s_mov_b32 s21, exec_lo
	s_delay_alu instid0(VALU_DEP_1)
	v_cmpx_eq_u32_e32 0, v4
	s_cbranch_execz .LBB7_50
; %bb.49:                               ;   in Loop: Header=BB7_9 Depth=1
	v_mov_b32_e32 v4, s3
	global_atomic_min_i32 v12, v4, s[10:11]
.LBB7_50:                               ;   in Loop: Header=BB7_9 Depth=1
	s_or_b32 exec_lo, exec_lo, s21
	v_mov_b32_e32 v4, 1.0
.LBB7_51:                               ;   in Loop: Header=BB7_9 Depth=1
	s_or_b32 exec_lo, exec_lo, s20
	ds_load_b128 v[19:22], v12 offset:112
	ds_load_b32 v27, v14 offset:16
	ds_load_2addr_b32 v[23:24], v13 offset1:1
	ds_load_2addr_b32 v[25:26], v13 offset0:2 offset1:3
	s_waitcnt lgkmcnt(1)
	v_fmac_f32_e32 v27, v19, v23
	s_delay_alu instid0(VALU_DEP_1) | instskip(SKIP_1) | instid1(VALU_DEP_1)
	v_fmac_f32_e32 v27, v20, v24
	s_waitcnt lgkmcnt(0)
	v_fmac_f32_e32 v27, v21, v25
	s_delay_alu instid0(VALU_DEP_1) | instskip(NEXT) | instid1(VALU_DEP_1)
	v_fmac_f32_e32 v27, v22, v26
	v_sub_f32_e32 v3, v3, v27
	s_delay_alu instid0(VALU_DEP_1) | instskip(SKIP_1) | instid1(VALU_DEP_2)
	v_div_scale_f32 v19, null, v4, v4, v3
	v_div_scale_f32 v22, vcc_lo, v3, v4, v3
	v_rcp_f32_e32 v20, v19
	s_waitcnt_depctr 0xfff
	v_fma_f32 v21, -v19, v20, 1.0
	s_delay_alu instid0(VALU_DEP_1) | instskip(NEXT) | instid1(VALU_DEP_1)
	v_fmac_f32_e32 v20, v21, v20
	v_mul_f32_e32 v21, v22, v20
	s_delay_alu instid0(VALU_DEP_1) | instskip(NEXT) | instid1(VALU_DEP_1)
	v_fma_f32 v23, -v19, v21, v22
	v_fmac_f32_e32 v21, v23, v20
	s_delay_alu instid0(VALU_DEP_1) | instskip(NEXT) | instid1(VALU_DEP_1)
	v_fma_f32 v19, -v19, v21, v22
	v_div_fmas_f32 v19, v19, v20, v21
	s_delay_alu instid0(VALU_DEP_1)
	v_div_fixup_f32 v3, v19, v4, v3
	ds_store_b32 v13, v3 offset:16
	s_waitcnt lgkmcnt(0)
	s_waitcnt_vscnt null, 0x0
	buffer_gl0_inv
	ds_load_b32 v4, v18 offset:16
	ds_load_b32 v19, v9
	s_waitcnt lgkmcnt(0)
	v_fmac_f32_e32 v19, v3, v4
	ds_store_b32 v9, v19
	s_waitcnt lgkmcnt(0)
	buffer_gl0_inv
	ds_load_b32 v4, v12 offset:160
	ds_load_b32 v3, v13 offset:20
	s_waitcnt lgkmcnt(1)
	v_cmp_neq_f32_e32 vcc_lo, 0, v4
	v_cndmask_b32_e32 v4, 1.0, v4, vcc_lo
	s_or_b32 s20, vcc_lo, s0
	s_delay_alu instid0(SALU_CYCLE_1) | instskip(NEXT) | instid1(SALU_CYCLE_1)
	s_xor_b32 s21, s20, -1
	s_and_saveexec_b32 s20, s21
	s_cbranch_execz .LBB7_7
; %bb.52:                               ;   in Loop: Header=BB7_9 Depth=1
	v_mbcnt_lo_u32_b32 v4, exec_lo, 0
	s_mov_b32 s21, exec_lo
	s_delay_alu instid0(VALU_DEP_1)
	v_cmpx_eq_u32_e32 0, v4
	s_cbranch_execz .LBB7_6
; %bb.53:                               ;   in Loop: Header=BB7_9 Depth=1
	v_mov_b32_e32 v4, s3
	global_atomic_min_i32 v12, v4, s[10:11]
	s_branch .LBB7_6
.LBB7_54:
	v_mov_b32_e32 v0, v7
	s_cmp_lg_u32 s1, 0
	s_cselect_b32 s2, -1, 0
	s_cmp_eq_u32 s1, 0
	s_cbranch_scc1 .LBB7_56
; %bb.55:
	v_mad_u32_u24 v0, v5, 6, v6
.LBB7_56:
	s_mul_i32 s26, s26, 36
	s_mov_b32 s3, exec_lo
	s_delay_alu instid0(VALU_DEP_1) | instskip(NEXT) | instid1(VALU_DEP_1)
	v_add_nc_u32_e32 v0, s26, v0
	v_ashrrev_i32_e32 v1, 31, v0
	s_delay_alu instid0(VALU_DEP_1) | instskip(NEXT) | instid1(VALU_DEP_1)
	v_lshlrev_b64 v[0:1], 2, v[0:1]
	v_add_co_u32 v0, vcc_lo, s18, v0
	s_delay_alu instid0(VALU_DEP_2)
	v_add_co_ci_u32_e32 v1, vcc_lo, s19, v1, vcc_lo
	v_cmp_ne_u32_e32 vcc_lo, 0, v6
	global_load_b32 v0, v[0:1], off
	s_waitcnt vmcnt(0)
	ds_store_b32 v10, v0 offset:352
	s_waitcnt lgkmcnt(0)
	buffer_gl0_inv
	v_cmpx_eq_u32_e32 0, v6
	s_cbranch_execz .LBB7_58
; %bb.57:
	v_mov_b32_e32 v2, 0
	ds_load_2addr_b32 v[0:1], v2 offset0:88 offset1:132
	s_waitcnt lgkmcnt(0)
	v_sub_f32_e32 v0, v0, v1
	s_delay_alu instid0(VALU_DEP_1) | instskip(NEXT) | instid1(VALU_DEP_1)
	v_cmp_gt_f32_e64 s0, 0, v0
	v_cndmask_b32_e64 v0, v0, -v0, s0
	s_delay_alu instid0(VALU_DEP_1) | instskip(SKIP_1) | instid1(VALU_DEP_1)
	v_mul_f32_e32 v1, 0x4f800000, v0
	v_cmp_gt_f32_e64 s0, 0xf800000, v0
	v_cndmask_b32_e64 v0, v0, v1, s0
	s_delay_alu instid0(VALU_DEP_1) | instskip(SKIP_3) | instid1(VALU_DEP_2)
	v_sqrt_f32_e32 v1, v0
	s_waitcnt_depctr 0xfff
	v_add_nc_u32_e32 v3, -1, v1
	v_add_nc_u32_e32 v4, 1, v1
	v_fma_f32 v11, -v3, v1, v0
	s_delay_alu instid0(VALU_DEP_2) | instskip(NEXT) | instid1(VALU_DEP_2)
	v_fma_f32 v12, -v4, v1, v0
	v_cmp_ge_f32_e64 s1, 0, v11
	s_delay_alu instid0(VALU_DEP_1) | instskip(NEXT) | instid1(VALU_DEP_3)
	v_cndmask_b32_e64 v1, v1, v3, s1
	v_cmp_lt_f32_e64 s1, 0, v12
	s_delay_alu instid0(VALU_DEP_1) | instskip(NEXT) | instid1(VALU_DEP_1)
	v_cndmask_b32_e64 v1, v1, v4, s1
	v_mul_f32_e32 v3, 0x37800000, v1
	s_delay_alu instid0(VALU_DEP_1) | instskip(SKIP_1) | instid1(VALU_DEP_1)
	v_cndmask_b32_e64 v1, v1, v3, s0
	v_cmp_class_f32_e64 s0, v0, 0x260
	v_cndmask_b32_e64 v0, v1, v0, s0
	ds_store_b32 v2, v0 offset:352
.LBB7_58:
	s_or_b32 exec_lo, exec_lo, s3
	v_mov_b32_e32 v0, 0
	s_waitcnt lgkmcnt(0)
	buffer_gl0_inv
	s_add_i32 s3, s16, s17
	ds_load_b32 v1, v0 offset:352
	v_or_b32_e32 v0, v5, v6
	s_delay_alu instid0(VALU_DEP_1) | instskip(SKIP_2) | instid1(VALU_DEP_1)
	v_cmp_ne_u32_e64 s0, 0, v0
	s_waitcnt lgkmcnt(0)
	v_cmp_neq_f32_e64 s1, 0, v1
	v_cndmask_b32_e64 v1, 1.0, v1, s1
	s_delay_alu instid0(VALU_DEP_3) | instskip(NEXT) | instid1(SALU_CYCLE_1)
	s_or_b32 s1, s1, s0
	s_xor_b32 s1, s1, -1
	s_delay_alu instid0(SALU_CYCLE_1)
	s_and_saveexec_b32 s4, s1
	s_cbranch_execz .LBB7_62
; %bb.59:
	v_mbcnt_lo_u32_b32 v1, exec_lo, 0
	s_mov_b32 s5, exec_lo
	s_delay_alu instid0(VALU_DEP_1)
	v_cmpx_eq_u32_e32 0, v1
	s_cbranch_execz .LBB7_61
; %bb.60:
	v_dual_mov_b32 v1, 0 :: v_dual_mov_b32 v2, s3
	global_atomic_min_i32 v1, v2, s[10:11]
.LBB7_61:
	s_or_b32 exec_lo, exec_lo, s5
	v_mov_b32_e32 v1, 1.0
.LBB7_62:
	s_or_b32 exec_lo, exec_lo, s4
	s_and_saveexec_b32 s1, vcc_lo
	s_cbranch_execz .LBB7_64
; %bb.63:
	v_mul_u32_u24_e32 v4, 28, v6
	ds_load_2addr_b32 v[2:3], v4 offset0:88 offset1:132
	s_waitcnt lgkmcnt(0)
	v_sub_f32_e32 v2, v2, v3
	s_delay_alu instid0(VALU_DEP_1) | instskip(SKIP_1) | instid1(VALU_DEP_2)
	v_div_scale_f32 v3, null, v1, v1, v2
	v_div_scale_f32 v13, vcc_lo, v2, v1, v2
	v_rcp_f32_e32 v11, v3
	s_waitcnt_depctr 0xfff
	v_fma_f32 v12, -v3, v11, 1.0
	s_delay_alu instid0(VALU_DEP_1) | instskip(NEXT) | instid1(VALU_DEP_1)
	v_fmac_f32_e32 v11, v12, v11
	v_mul_f32_e32 v12, v13, v11
	s_delay_alu instid0(VALU_DEP_1) | instskip(NEXT) | instid1(VALU_DEP_1)
	v_fma_f32 v14, -v3, v12, v13
	v_fmac_f32_e32 v12, v14, v11
	s_delay_alu instid0(VALU_DEP_1) | instskip(NEXT) | instid1(VALU_DEP_1)
	v_fma_f32 v3, -v3, v12, v13
	v_div_fmas_f32 v3, v3, v11, v12
	s_delay_alu instid0(VALU_DEP_1)
	v_div_fixup_f32 v1, v3, v1, v2
	v_mul_u32_u24_e32 v2, 28, v5
	ds_store_b32 v4, v1 offset:352
	s_waitcnt lgkmcnt(0)
	s_waitcnt_vscnt null, 0x0
	buffer_gl0_inv
	ds_load_b32 v2, v2 offset:352
	ds_load_b32 v3, v9
	s_waitcnt lgkmcnt(0)
	v_fmac_f32_e32 v3, v1, v2
	ds_store_b32 v9, v3
.LBB7_64:
	s_or_b32 exec_lo, exec_lo, s1
	s_delay_alu instid0(SALU_CYCLE_1)
	s_mov_b32 s4, exec_lo
	s_waitcnt lgkmcnt(0)
	s_waitcnt_vscnt null, 0x0
	buffer_gl0_inv
	v_cmpx_eq_u32_e32 1, v6
	s_cbranch_execz .LBB7_66
; %bb.65:
	v_mov_b32_e32 v3, 0
	ds_load_2addr_b32 v[1:2], v3 offset0:96 offset1:140
	s_waitcnt lgkmcnt(0)
	v_sub_f32_e32 v1, v1, v2
	s_delay_alu instid0(VALU_DEP_1) | instskip(SKIP_1) | instid1(VALU_DEP_1)
	v_cmp_gt_f32_e32 vcc_lo, 0, v1
	v_cndmask_b32_e64 v1, v1, -v1, vcc_lo
	v_mul_f32_e32 v2, 0x4f800000, v1
	v_cmp_gt_f32_e32 vcc_lo, 0xf800000, v1
	s_delay_alu instid0(VALU_DEP_2) | instskip(NEXT) | instid1(VALU_DEP_1)
	v_cndmask_b32_e32 v1, v1, v2, vcc_lo
	v_sqrt_f32_e32 v2, v1
	s_waitcnt_depctr 0xfff
	v_add_nc_u32_e32 v4, -1, v2
	v_add_nc_u32_e32 v11, 1, v2
	s_delay_alu instid0(VALU_DEP_2) | instskip(NEXT) | instid1(VALU_DEP_2)
	v_fma_f32 v12, -v4, v2, v1
	v_fma_f32 v13, -v11, v2, v1
	s_delay_alu instid0(VALU_DEP_2) | instskip(NEXT) | instid1(VALU_DEP_1)
	v_cmp_ge_f32_e64 s1, 0, v12
	v_cndmask_b32_e64 v2, v2, v4, s1
	s_delay_alu instid0(VALU_DEP_3) | instskip(NEXT) | instid1(VALU_DEP_1)
	v_cmp_lt_f32_e64 s1, 0, v13
	v_cndmask_b32_e64 v2, v2, v11, s1
	s_delay_alu instid0(VALU_DEP_1) | instskip(NEXT) | instid1(VALU_DEP_1)
	v_mul_f32_e32 v4, 0x37800000, v2
	v_cndmask_b32_e32 v2, v2, v4, vcc_lo
	v_cmp_class_f32_e64 vcc_lo, v1, 0x260
	s_delay_alu instid0(VALU_DEP_2)
	v_cndmask_b32_e32 v1, v2, v1, vcc_lo
	ds_store_b32 v3, v1 offset:384
.LBB7_66:
	s_or_b32 exec_lo, exec_lo, s4
	v_mov_b32_e32 v1, 0
	s_waitcnt lgkmcnt(0)
	buffer_gl0_inv
	ds_load_b32 v1, v1 offset:384
	s_waitcnt lgkmcnt(0)
	v_cmp_neq_f32_e32 vcc_lo, 0, v1
	v_cndmask_b32_e32 v1, 1.0, v1, vcc_lo
	s_or_b32 s1, vcc_lo, s0
	s_delay_alu instid0(SALU_CYCLE_1) | instskip(NEXT) | instid1(SALU_CYCLE_1)
	s_xor_b32 s4, s1, -1
	s_and_saveexec_b32 s1, s4
	s_cbranch_execz .LBB7_70
; %bb.67:
	v_mbcnt_lo_u32_b32 v1, exec_lo, 0
	s_mov_b32 s4, exec_lo
	s_delay_alu instid0(VALU_DEP_1)
	v_cmpx_eq_u32_e32 0, v1
	s_cbranch_execz .LBB7_69
; %bb.68:
	v_dual_mov_b32 v1, 0 :: v_dual_mov_b32 v2, s3
	global_atomic_min_i32 v1, v2, s[10:11]
.LBB7_69:
	s_or_b32 exec_lo, exec_lo, s4
	v_mov_b32_e32 v1, 1.0
.LBB7_70:
	s_or_b32 exec_lo, exec_lo, s1
	s_delay_alu instid0(SALU_CYCLE_1)
	s_mov_b32 s1, exec_lo
	v_cmpx_lt_u32_e32 1, v6
	s_cbranch_execz .LBB7_72
; %bb.71:
	v_mul_u32_u24_e32 v4, 28, v6
	ds_load_2addr_b32 v[2:3], v4 offset0:89 offset1:133
	s_waitcnt lgkmcnt(0)
	v_sub_f32_e32 v2, v2, v3
	s_delay_alu instid0(VALU_DEP_1) | instskip(SKIP_1) | instid1(VALU_DEP_2)
	v_div_scale_f32 v3, null, v1, v1, v2
	v_div_scale_f32 v13, vcc_lo, v2, v1, v2
	v_rcp_f32_e32 v11, v3
	s_waitcnt_depctr 0xfff
	v_fma_f32 v12, -v3, v11, 1.0
	s_delay_alu instid0(VALU_DEP_1) | instskip(NEXT) | instid1(VALU_DEP_1)
	v_fmac_f32_e32 v11, v12, v11
	v_mul_f32_e32 v12, v13, v11
	s_delay_alu instid0(VALU_DEP_1) | instskip(NEXT) | instid1(VALU_DEP_1)
	v_fma_f32 v14, -v3, v12, v13
	v_fmac_f32_e32 v12, v14, v11
	s_delay_alu instid0(VALU_DEP_1) | instskip(NEXT) | instid1(VALU_DEP_1)
	v_fma_f32 v3, -v3, v12, v13
	v_div_fmas_f32 v3, v3, v11, v12
	s_delay_alu instid0(VALU_DEP_1)
	v_div_fixup_f32 v1, v3, v1, v2
	v_mul_u32_u24_e32 v2, 28, v5
	ds_store_b32 v4, v1 offset:356
	s_waitcnt lgkmcnt(0)
	s_waitcnt_vscnt null, 0x0
	buffer_gl0_inv
	ds_load_b32 v2, v2 offset:356
	ds_load_b32 v3, v9
	s_waitcnt lgkmcnt(0)
	v_fmac_f32_e32 v3, v1, v2
	ds_store_b32 v9, v3
.LBB7_72:
	s_or_b32 exec_lo, exec_lo, s1
	s_delay_alu instid0(SALU_CYCLE_1)
	s_mov_b32 s4, exec_lo
	s_waitcnt lgkmcnt(0)
	s_waitcnt_vscnt null, 0x0
	buffer_gl0_inv
	v_cmpx_eq_u32_e32 2, v6
	s_cbranch_execz .LBB7_74
; %bb.73:
	v_mov_b32_e32 v3, 0
	ds_load_2addr_b32 v[1:2], v3 offset0:104 offset1:148
	s_waitcnt lgkmcnt(0)
	v_sub_f32_e32 v1, v1, v2
	s_delay_alu instid0(VALU_DEP_1) | instskip(SKIP_1) | instid1(VALU_DEP_1)
	v_cmp_gt_f32_e32 vcc_lo, 0, v1
	v_cndmask_b32_e64 v1, v1, -v1, vcc_lo
	v_mul_f32_e32 v2, 0x4f800000, v1
	v_cmp_gt_f32_e32 vcc_lo, 0xf800000, v1
	s_delay_alu instid0(VALU_DEP_2) | instskip(NEXT) | instid1(VALU_DEP_1)
	v_cndmask_b32_e32 v1, v1, v2, vcc_lo
	v_sqrt_f32_e32 v2, v1
	s_waitcnt_depctr 0xfff
	v_add_nc_u32_e32 v4, -1, v2
	v_add_nc_u32_e32 v11, 1, v2
	s_delay_alu instid0(VALU_DEP_2) | instskip(NEXT) | instid1(VALU_DEP_2)
	v_fma_f32 v12, -v4, v2, v1
	v_fma_f32 v13, -v11, v2, v1
	s_delay_alu instid0(VALU_DEP_2) | instskip(NEXT) | instid1(VALU_DEP_1)
	v_cmp_ge_f32_e64 s1, 0, v12
	v_cndmask_b32_e64 v2, v2, v4, s1
	s_delay_alu instid0(VALU_DEP_3) | instskip(NEXT) | instid1(VALU_DEP_1)
	v_cmp_lt_f32_e64 s1, 0, v13
	v_cndmask_b32_e64 v2, v2, v11, s1
	s_delay_alu instid0(VALU_DEP_1) | instskip(NEXT) | instid1(VALU_DEP_1)
	v_mul_f32_e32 v4, 0x37800000, v2
	v_cndmask_b32_e32 v2, v2, v4, vcc_lo
	v_cmp_class_f32_e64 vcc_lo, v1, 0x260
	s_delay_alu instid0(VALU_DEP_2)
	v_cndmask_b32_e32 v1, v2, v1, vcc_lo
	ds_store_b32 v3, v1 offset:416
.LBB7_74:
	s_or_b32 exec_lo, exec_lo, s4
	v_mov_b32_e32 v1, 0
	s_waitcnt lgkmcnt(0)
	buffer_gl0_inv
	ds_load_b32 v1, v1 offset:416
	s_waitcnt lgkmcnt(0)
	v_cmp_neq_f32_e32 vcc_lo, 0, v1
	v_cndmask_b32_e32 v1, 1.0, v1, vcc_lo
	s_or_b32 s1, vcc_lo, s0
	s_delay_alu instid0(SALU_CYCLE_1) | instskip(NEXT) | instid1(SALU_CYCLE_1)
	s_xor_b32 s4, s1, -1
	s_and_saveexec_b32 s1, s4
	s_cbranch_execz .LBB7_78
; %bb.75:
	v_mbcnt_lo_u32_b32 v1, exec_lo, 0
	s_mov_b32 s4, exec_lo
	s_delay_alu instid0(VALU_DEP_1)
	v_cmpx_eq_u32_e32 0, v1
	s_cbranch_execz .LBB7_77
; %bb.76:
	v_dual_mov_b32 v1, 0 :: v_dual_mov_b32 v2, s3
	global_atomic_min_i32 v1, v2, s[10:11]
.LBB7_77:
	s_or_b32 exec_lo, exec_lo, s4
	v_mov_b32_e32 v1, 1.0
.LBB7_78:
	s_or_b32 exec_lo, exec_lo, s1
	s_delay_alu instid0(SALU_CYCLE_1)
	s_mov_b32 s1, exec_lo
	v_cmpx_lt_u32_e32 2, v6
	s_cbranch_execz .LBB7_80
; %bb.79:
	v_mul_u32_u24_e32 v4, 28, v6
	ds_load_2addr_b32 v[2:3], v4 offset0:90 offset1:134
	s_waitcnt lgkmcnt(0)
	v_sub_f32_e32 v2, v2, v3
	s_delay_alu instid0(VALU_DEP_1) | instskip(SKIP_1) | instid1(VALU_DEP_2)
	v_div_scale_f32 v3, null, v1, v1, v2
	v_div_scale_f32 v13, vcc_lo, v2, v1, v2
	v_rcp_f32_e32 v11, v3
	s_waitcnt_depctr 0xfff
	v_fma_f32 v12, -v3, v11, 1.0
	s_delay_alu instid0(VALU_DEP_1) | instskip(NEXT) | instid1(VALU_DEP_1)
	v_fmac_f32_e32 v11, v12, v11
	v_mul_f32_e32 v12, v13, v11
	s_delay_alu instid0(VALU_DEP_1) | instskip(NEXT) | instid1(VALU_DEP_1)
	v_fma_f32 v14, -v3, v12, v13
	v_fmac_f32_e32 v12, v14, v11
	s_delay_alu instid0(VALU_DEP_1) | instskip(NEXT) | instid1(VALU_DEP_1)
	v_fma_f32 v3, -v3, v12, v13
	v_div_fmas_f32 v3, v3, v11, v12
	s_delay_alu instid0(VALU_DEP_1)
	v_div_fixup_f32 v1, v3, v1, v2
	v_mul_u32_u24_e32 v2, 28, v5
	ds_store_b32 v4, v1 offset:360
	s_waitcnt lgkmcnt(0)
	s_waitcnt_vscnt null, 0x0
	buffer_gl0_inv
	ds_load_b32 v2, v2 offset:360
	ds_load_b32 v3, v9
	s_waitcnt lgkmcnt(0)
	v_fmac_f32_e32 v3, v1, v2
	ds_store_b32 v9, v3
.LBB7_80:
	s_or_b32 exec_lo, exec_lo, s1
	s_delay_alu instid0(SALU_CYCLE_1)
	s_mov_b32 s4, exec_lo
	s_waitcnt lgkmcnt(0)
	s_waitcnt_vscnt null, 0x0
	buffer_gl0_inv
	v_cmpx_eq_u32_e32 3, v6
	s_cbranch_execz .LBB7_82
; %bb.81:
	v_mov_b32_e32 v3, 0
	ds_load_2addr_b32 v[1:2], v3 offset0:112 offset1:156
	s_waitcnt lgkmcnt(0)
	v_sub_f32_e32 v1, v1, v2
	s_delay_alu instid0(VALU_DEP_1) | instskip(SKIP_1) | instid1(VALU_DEP_1)
	v_cmp_gt_f32_e32 vcc_lo, 0, v1
	v_cndmask_b32_e64 v1, v1, -v1, vcc_lo
	v_mul_f32_e32 v2, 0x4f800000, v1
	v_cmp_gt_f32_e32 vcc_lo, 0xf800000, v1
	s_delay_alu instid0(VALU_DEP_2) | instskip(NEXT) | instid1(VALU_DEP_1)
	v_cndmask_b32_e32 v1, v1, v2, vcc_lo
	v_sqrt_f32_e32 v2, v1
	s_waitcnt_depctr 0xfff
	v_add_nc_u32_e32 v4, -1, v2
	v_add_nc_u32_e32 v11, 1, v2
	s_delay_alu instid0(VALU_DEP_2) | instskip(NEXT) | instid1(VALU_DEP_2)
	v_fma_f32 v12, -v4, v2, v1
	v_fma_f32 v13, -v11, v2, v1
	s_delay_alu instid0(VALU_DEP_2) | instskip(NEXT) | instid1(VALU_DEP_1)
	v_cmp_ge_f32_e64 s1, 0, v12
	v_cndmask_b32_e64 v2, v2, v4, s1
	s_delay_alu instid0(VALU_DEP_3) | instskip(NEXT) | instid1(VALU_DEP_1)
	v_cmp_lt_f32_e64 s1, 0, v13
	v_cndmask_b32_e64 v2, v2, v11, s1
	s_delay_alu instid0(VALU_DEP_1) | instskip(NEXT) | instid1(VALU_DEP_1)
	v_mul_f32_e32 v4, 0x37800000, v2
	v_cndmask_b32_e32 v2, v2, v4, vcc_lo
	v_cmp_class_f32_e64 vcc_lo, v1, 0x260
	s_delay_alu instid0(VALU_DEP_2)
	v_cndmask_b32_e32 v1, v2, v1, vcc_lo
	ds_store_b32 v3, v1 offset:448
.LBB7_82:
	s_or_b32 exec_lo, exec_lo, s4
	v_mov_b32_e32 v1, 0
	s_waitcnt lgkmcnt(0)
	buffer_gl0_inv
	ds_load_b32 v1, v1 offset:448
	s_waitcnt lgkmcnt(0)
	v_cmp_neq_f32_e32 vcc_lo, 0, v1
	v_cndmask_b32_e32 v1, 1.0, v1, vcc_lo
	s_or_b32 s1, vcc_lo, s0
	s_delay_alu instid0(SALU_CYCLE_1) | instskip(NEXT) | instid1(SALU_CYCLE_1)
	s_xor_b32 s4, s1, -1
	s_and_saveexec_b32 s1, s4
	s_cbranch_execz .LBB7_86
; %bb.83:
	v_mbcnt_lo_u32_b32 v1, exec_lo, 0
	s_mov_b32 s4, exec_lo
	s_delay_alu instid0(VALU_DEP_1)
	v_cmpx_eq_u32_e32 0, v1
	s_cbranch_execz .LBB7_85
; %bb.84:
	v_dual_mov_b32 v1, 0 :: v_dual_mov_b32 v2, s3
	global_atomic_min_i32 v1, v2, s[10:11]
.LBB7_85:
	s_or_b32 exec_lo, exec_lo, s4
	v_mov_b32_e32 v1, 1.0
.LBB7_86:
	s_or_b32 exec_lo, exec_lo, s1
	s_delay_alu instid0(SALU_CYCLE_1)
	s_mov_b32 s1, exec_lo
	v_cmpx_lt_u32_e32 3, v6
	s_cbranch_execz .LBB7_88
; %bb.87:
	v_mul_u32_u24_e32 v4, 28, v6
	ds_load_2addr_b32 v[2:3], v4 offset0:91 offset1:135
	s_waitcnt lgkmcnt(0)
	v_sub_f32_e32 v2, v2, v3
	s_delay_alu instid0(VALU_DEP_1) | instskip(SKIP_1) | instid1(VALU_DEP_2)
	v_div_scale_f32 v3, null, v1, v1, v2
	v_div_scale_f32 v13, vcc_lo, v2, v1, v2
	v_rcp_f32_e32 v11, v3
	s_waitcnt_depctr 0xfff
	v_fma_f32 v12, -v3, v11, 1.0
	s_delay_alu instid0(VALU_DEP_1) | instskip(NEXT) | instid1(VALU_DEP_1)
	v_fmac_f32_e32 v11, v12, v11
	v_mul_f32_e32 v12, v13, v11
	s_delay_alu instid0(VALU_DEP_1) | instskip(NEXT) | instid1(VALU_DEP_1)
	v_fma_f32 v14, -v3, v12, v13
	v_fmac_f32_e32 v12, v14, v11
	s_delay_alu instid0(VALU_DEP_1) | instskip(NEXT) | instid1(VALU_DEP_1)
	v_fma_f32 v3, -v3, v12, v13
	v_div_fmas_f32 v3, v3, v11, v12
	s_delay_alu instid0(VALU_DEP_1)
	v_div_fixup_f32 v1, v3, v1, v2
	v_mul_u32_u24_e32 v2, 28, v5
	ds_store_b32 v4, v1 offset:364
	s_waitcnt lgkmcnt(0)
	s_waitcnt_vscnt null, 0x0
	buffer_gl0_inv
	ds_load_b32 v2, v2 offset:364
	ds_load_b32 v3, v9
	s_waitcnt lgkmcnt(0)
	v_fmac_f32_e32 v3, v1, v2
	ds_store_b32 v9, v3
.LBB7_88:
	s_or_b32 exec_lo, exec_lo, s1
	s_delay_alu instid0(SALU_CYCLE_1)
	s_mov_b32 s4, exec_lo
	s_waitcnt lgkmcnt(0)
	s_waitcnt_vscnt null, 0x0
	buffer_gl0_inv
	v_cmpx_eq_u32_e32 4, v6
	s_cbranch_execz .LBB7_90
; %bb.89:
	v_mov_b32_e32 v3, 0
	ds_load_2addr_b32 v[1:2], v3 offset0:120 offset1:164
	s_waitcnt lgkmcnt(0)
	v_sub_f32_e32 v1, v1, v2
	s_delay_alu instid0(VALU_DEP_1) | instskip(SKIP_1) | instid1(VALU_DEP_1)
	v_cmp_gt_f32_e32 vcc_lo, 0, v1
	v_cndmask_b32_e64 v1, v1, -v1, vcc_lo
	v_mul_f32_e32 v2, 0x4f800000, v1
	v_cmp_gt_f32_e32 vcc_lo, 0xf800000, v1
	s_delay_alu instid0(VALU_DEP_2) | instskip(NEXT) | instid1(VALU_DEP_1)
	v_cndmask_b32_e32 v1, v1, v2, vcc_lo
	v_sqrt_f32_e32 v2, v1
	s_waitcnt_depctr 0xfff
	v_add_nc_u32_e32 v4, -1, v2
	v_add_nc_u32_e32 v11, 1, v2
	s_delay_alu instid0(VALU_DEP_2) | instskip(NEXT) | instid1(VALU_DEP_2)
	v_fma_f32 v12, -v4, v2, v1
	v_fma_f32 v13, -v11, v2, v1
	s_delay_alu instid0(VALU_DEP_2) | instskip(NEXT) | instid1(VALU_DEP_1)
	v_cmp_ge_f32_e64 s1, 0, v12
	v_cndmask_b32_e64 v2, v2, v4, s1
	s_delay_alu instid0(VALU_DEP_3) | instskip(NEXT) | instid1(VALU_DEP_1)
	v_cmp_lt_f32_e64 s1, 0, v13
	v_cndmask_b32_e64 v2, v2, v11, s1
	s_delay_alu instid0(VALU_DEP_1) | instskip(NEXT) | instid1(VALU_DEP_1)
	v_mul_f32_e32 v4, 0x37800000, v2
	v_cndmask_b32_e32 v2, v2, v4, vcc_lo
	v_cmp_class_f32_e64 vcc_lo, v1, 0x260
	s_delay_alu instid0(VALU_DEP_2)
	v_cndmask_b32_e32 v1, v2, v1, vcc_lo
	ds_store_b32 v3, v1 offset:480
.LBB7_90:
	s_or_b32 exec_lo, exec_lo, s4
	v_mov_b32_e32 v1, 0
	s_waitcnt lgkmcnt(0)
	buffer_gl0_inv
	ds_load_b32 v1, v1 offset:480
	s_waitcnt lgkmcnt(0)
	v_cmp_neq_f32_e32 vcc_lo, 0, v1
	v_cndmask_b32_e32 v1, 1.0, v1, vcc_lo
	s_or_b32 s1, vcc_lo, s0
	s_delay_alu instid0(SALU_CYCLE_1) | instskip(NEXT) | instid1(SALU_CYCLE_1)
	s_xor_b32 s4, s1, -1
	s_and_saveexec_b32 s1, s4
	s_cbranch_execz .LBB7_94
; %bb.91:
	v_mbcnt_lo_u32_b32 v1, exec_lo, 0
	s_mov_b32 s4, exec_lo
	s_delay_alu instid0(VALU_DEP_1)
	v_cmpx_eq_u32_e32 0, v1
	s_cbranch_execz .LBB7_93
; %bb.92:
	v_dual_mov_b32 v1, 0 :: v_dual_mov_b32 v2, s3
	global_atomic_min_i32 v1, v2, s[10:11]
.LBB7_93:
	s_or_b32 exec_lo, exec_lo, s4
	v_mov_b32_e32 v1, 1.0
.LBB7_94:
	s_or_b32 exec_lo, exec_lo, s1
	s_delay_alu instid0(SALU_CYCLE_1)
	s_mov_b32 s1, exec_lo
	v_cmpx_lt_u32_e32 4, v6
	s_cbranch_execz .LBB7_96
; %bb.95:
	v_mul_u32_u24_e32 v4, 28, v6
	ds_load_2addr_b32 v[2:3], v4 offset0:92 offset1:136
	s_waitcnt lgkmcnt(0)
	v_sub_f32_e32 v2, v2, v3
	s_delay_alu instid0(VALU_DEP_1) | instskip(SKIP_1) | instid1(VALU_DEP_2)
	v_div_scale_f32 v3, null, v1, v1, v2
	v_div_scale_f32 v13, vcc_lo, v2, v1, v2
	v_rcp_f32_e32 v11, v3
	s_waitcnt_depctr 0xfff
	v_fma_f32 v12, -v3, v11, 1.0
	s_delay_alu instid0(VALU_DEP_1) | instskip(NEXT) | instid1(VALU_DEP_1)
	v_fmac_f32_e32 v11, v12, v11
	v_mul_f32_e32 v12, v13, v11
	s_delay_alu instid0(VALU_DEP_1) | instskip(NEXT) | instid1(VALU_DEP_1)
	v_fma_f32 v14, -v3, v12, v13
	v_fmac_f32_e32 v12, v14, v11
	s_delay_alu instid0(VALU_DEP_1) | instskip(NEXT) | instid1(VALU_DEP_1)
	v_fma_f32 v3, -v3, v12, v13
	v_div_fmas_f32 v3, v3, v11, v12
	s_delay_alu instid0(VALU_DEP_1)
	v_div_fixup_f32 v1, v3, v1, v2
	v_mul_u32_u24_e32 v2, 28, v5
	ds_store_b32 v4, v1 offset:368
	s_waitcnt lgkmcnt(0)
	s_waitcnt_vscnt null, 0x0
	buffer_gl0_inv
	ds_load_b32 v2, v2 offset:368
	ds_load_b32 v3, v9
	s_waitcnt lgkmcnt(0)
	v_fmac_f32_e32 v3, v1, v2
	ds_store_b32 v9, v3
.LBB7_96:
	s_or_b32 exec_lo, exec_lo, s1
	s_delay_alu instid0(SALU_CYCLE_1)
	s_mov_b32 s4, exec_lo
	s_waitcnt lgkmcnt(0)
	s_waitcnt_vscnt null, 0x0
	buffer_gl0_inv
	v_cmpx_eq_u32_e32 5, v6
	s_cbranch_execz .LBB7_98
; %bb.97:
	v_mov_b32_e32 v3, 0
	ds_load_2addr_b32 v[1:2], v3 offset0:128 offset1:172
	s_waitcnt lgkmcnt(0)
	v_sub_f32_e32 v1, v1, v2
	s_delay_alu instid0(VALU_DEP_1) | instskip(SKIP_1) | instid1(VALU_DEP_1)
	v_cmp_gt_f32_e32 vcc_lo, 0, v1
	v_cndmask_b32_e64 v1, v1, -v1, vcc_lo
	v_mul_f32_e32 v2, 0x4f800000, v1
	v_cmp_gt_f32_e32 vcc_lo, 0xf800000, v1
	s_delay_alu instid0(VALU_DEP_2) | instskip(NEXT) | instid1(VALU_DEP_1)
	v_cndmask_b32_e32 v1, v1, v2, vcc_lo
	v_sqrt_f32_e32 v2, v1
	s_waitcnt_depctr 0xfff
	v_add_nc_u32_e32 v4, -1, v2
	v_add_nc_u32_e32 v11, 1, v2
	s_delay_alu instid0(VALU_DEP_2) | instskip(NEXT) | instid1(VALU_DEP_2)
	v_fma_f32 v12, -v4, v2, v1
	v_fma_f32 v13, -v11, v2, v1
	s_delay_alu instid0(VALU_DEP_2) | instskip(NEXT) | instid1(VALU_DEP_1)
	v_cmp_ge_f32_e64 s1, 0, v12
	v_cndmask_b32_e64 v2, v2, v4, s1
	s_delay_alu instid0(VALU_DEP_3) | instskip(NEXT) | instid1(VALU_DEP_1)
	v_cmp_lt_f32_e64 s1, 0, v13
	v_cndmask_b32_e64 v2, v2, v11, s1
	s_delay_alu instid0(VALU_DEP_1) | instskip(NEXT) | instid1(VALU_DEP_1)
	v_mul_f32_e32 v4, 0x37800000, v2
	v_cndmask_b32_e32 v2, v2, v4, vcc_lo
	v_cmp_class_f32_e64 vcc_lo, v1, 0x260
	s_delay_alu instid0(VALU_DEP_2)
	v_cndmask_b32_e32 v1, v2, v1, vcc_lo
	ds_store_b32 v3, v1 offset:512
.LBB7_98:
	s_or_b32 exec_lo, exec_lo, s4
	v_mov_b32_e32 v1, 0
	s_waitcnt lgkmcnt(0)
	buffer_gl0_inv
	ds_load_b32 v1, v1 offset:512
	s_waitcnt lgkmcnt(0)
	v_cmp_neq_f32_e32 vcc_lo, 0, v1
	v_cndmask_b32_e32 v2, 1.0, v1, vcc_lo
	s_or_b32 s0, vcc_lo, s0
	s_delay_alu instid0(SALU_CYCLE_1) | instskip(NEXT) | instid1(SALU_CYCLE_1)
	s_xor_b32 s1, s0, -1
	s_and_saveexec_b32 s0, s1
	s_cbranch_execz .LBB7_102
; %bb.99:
	v_mbcnt_lo_u32_b32 v1, exec_lo, 0
	s_mov_b32 s1, exec_lo
	s_delay_alu instid0(VALU_DEP_1)
	v_cmpx_eq_u32_e32 0, v1
	s_cbranch_execz .LBB7_101
; %bb.100:
	v_dual_mov_b32 v1, 0 :: v_dual_mov_b32 v2, s3
	global_atomic_min_i32 v1, v2, s[10:11]
.LBB7_101:
	s_or_b32 exec_lo, exec_lo, s1
	v_mov_b32_e32 v2, 1.0
.LBB7_102:
	s_or_b32 exec_lo, exec_lo, s0
	v_add_nc_u32_e32 v1, 0x160, v10
	s_mov_b32 s0, exec_lo
	v_cmpx_lt_u32_e32 5, v6
	s_cbranch_execz .LBB7_104
; %bb.103:
	v_mul_u32_u24_e32 v10, 28, v6
	ds_load_2addr_b32 v[3:4], v10 offset0:93 offset1:137
	s_waitcnt lgkmcnt(0)
	v_sub_f32_e32 v3, v3, v4
	s_delay_alu instid0(VALU_DEP_1) | instskip(SKIP_1) | instid1(VALU_DEP_2)
	v_div_scale_f32 v4, null, v2, v2, v3
	v_div_scale_f32 v13, vcc_lo, v3, v2, v3
	v_rcp_f32_e32 v11, v4
	s_waitcnt_depctr 0xfff
	v_fma_f32 v12, -v4, v11, 1.0
	s_delay_alu instid0(VALU_DEP_1) | instskip(NEXT) | instid1(VALU_DEP_1)
	v_fmac_f32_e32 v11, v12, v11
	v_mul_f32_e32 v12, v13, v11
	s_delay_alu instid0(VALU_DEP_1) | instskip(NEXT) | instid1(VALU_DEP_1)
	v_fma_f32 v14, -v4, v12, v13
	v_fmac_f32_e32 v12, v14, v11
	s_delay_alu instid0(VALU_DEP_1) | instskip(NEXT) | instid1(VALU_DEP_1)
	v_fma_f32 v4, -v4, v12, v13
	v_div_fmas_f32 v4, v4, v11, v12
	s_delay_alu instid0(VALU_DEP_1)
	v_div_fixup_f32 v2, v4, v2, v3
	v_mul_u32_u24_e32 v3, 28, v5
	ds_store_b32 v10, v2 offset:372
	s_waitcnt lgkmcnt(0)
	s_waitcnt_vscnt null, 0x0
	buffer_gl0_inv
	ds_load_b32 v3, v3 offset:372
	ds_load_b32 v4, v9
	s_waitcnt lgkmcnt(0)
	v_fmac_f32_e32 v4, v2, v3
	ds_store_b32 v9, v4
.LBB7_104:
	s_or_b32 exec_lo, exec_lo, s0
	s_waitcnt lgkmcnt(0)
	s_waitcnt_vscnt null, 0x0
	buffer_gl0_inv
	ds_load_b32 v1, v1
	s_and_not1_b32 vcc_lo, exec_lo, s2
	s_cbranch_vccnz .LBB7_106
; %bb.105:
	v_mov_b32_e32 v7, v8
.LBB7_106:
	s_delay_alu instid0(VALU_DEP_1) | instskip(SKIP_1) | instid1(VALU_DEP_2)
	v_add_nc_u32_e32 v2, s26, v7
	v_cmp_eq_u32_e64 s3, 0, v0
	v_ashrrev_i32_e32 v3, 31, v2
	s_delay_alu instid0(VALU_DEP_1) | instskip(NEXT) | instid1(VALU_DEP_1)
	v_lshlrev_b64 v[2:3], 2, v[2:3]
	v_add_co_u32 v2, vcc_lo, s18, v2
	s_delay_alu instid0(VALU_DEP_2)
	v_add_co_ci_u32_e32 v3, vcc_lo, s19, v3, vcc_lo
	s_waitcnt lgkmcnt(0)
	global_store_b32 v[2:3], v1, off
.LBB7_107:
	s_and_saveexec_b32 s0, s3
	s_cbranch_execnz .LBB7_115
.LBB7_108:
	s_nop 0
	s_sendmsg sendmsg(MSG_DEALLOC_VGPRS)
	s_endpgm
.LBB7_109:
	s_cbranch_execz .LBB7_107
; %bb.110:
	v_or_b32_e32 v0, v5, v6
	s_mov_b32 s0, exec_lo
	s_delay_alu instid0(VALU_DEP_1)
	v_cmpx_eq_u32_e32 0, v0
	s_cbranch_execz .LBB7_114
; %bb.111:
	v_mbcnt_lo_u32_b32 v0, exec_lo, 0
	s_mov_b32 s1, exec_lo
	s_delay_alu instid0(VALU_DEP_1)
	v_cmpx_eq_u32_e32 0, v0
	s_cbranch_execz .LBB7_113
; %bb.112:
	s_add_i32 s2, s16, s17
	s_delay_alu instid0(SALU_CYCLE_1)
	v_dual_mov_b32 v0, 0 :: v_dual_mov_b32 v1, s2
	global_atomic_min_i32 v0, v1, s[10:11]
.LBB7_113:
	s_or_b32 exec_lo, exec_lo, s1
	s_delay_alu instid0(SALU_CYCLE_1)
	s_or_b32 s3, s3, exec_lo
.LBB7_114:
	s_or_b32 exec_lo, exec_lo, s0
	s_and_saveexec_b32 s0, s3
	s_cbranch_execz .LBB7_108
.LBB7_115:
	v_dual_mov_b32 v0, 0 :: v_dual_mov_b32 v1, 1
	s_add_u32 s0, s6, s8
	s_addc_u32 s1, s7, s9
	s_waitcnt_vscnt null, 0x0
	global_store_b32 v0, v1, s[0:1]
	s_nop 0
	s_sendmsg sendmsg(MSG_DEALLOC_VGPRS)
	s_endpgm
	.section	.rodata,"a",@progbits
	.p2align	6, 0x0
	.amdhsa_kernel _ZN9rocsparseL26bsric0_2_8_unrolled_kernelILi36ELi32ELi6EfEEv20rocsparse_direction_iiPKiS3_PT2_S3_PiS3_S6_21rocsparse_index_base_
		.amdhsa_group_segment_fixed_size 1088
		.amdhsa_private_segment_fixed_size 0
		.amdhsa_kernarg_size 76
		.amdhsa_user_sgpr_count 15
		.amdhsa_user_sgpr_dispatch_ptr 0
		.amdhsa_user_sgpr_queue_ptr 0
		.amdhsa_user_sgpr_kernarg_segment_ptr 1
		.amdhsa_user_sgpr_dispatch_id 0
		.amdhsa_user_sgpr_private_segment_size 0
		.amdhsa_wavefront_size32 1
		.amdhsa_uses_dynamic_stack 0
		.amdhsa_enable_private_segment 0
		.amdhsa_system_sgpr_workgroup_id_x 1
		.amdhsa_system_sgpr_workgroup_id_y 0
		.amdhsa_system_sgpr_workgroup_id_z 0
		.amdhsa_system_sgpr_workgroup_info 0
		.amdhsa_system_vgpr_workitem_id 1
		.amdhsa_next_free_vgpr 45
		.amdhsa_next_free_sgpr 37
		.amdhsa_reserve_vcc 1
		.amdhsa_float_round_mode_32 0
		.amdhsa_float_round_mode_16_64 0
		.amdhsa_float_denorm_mode_32 3
		.amdhsa_float_denorm_mode_16_64 3
		.amdhsa_dx10_clamp 1
		.amdhsa_ieee_mode 1
		.amdhsa_fp16_overflow 0
		.amdhsa_workgroup_processor_mode 1
		.amdhsa_memory_ordered 1
		.amdhsa_forward_progress 0
		.amdhsa_shared_vgpr_count 0
		.amdhsa_exception_fp_ieee_invalid_op 0
		.amdhsa_exception_fp_denorm_src 0
		.amdhsa_exception_fp_ieee_div_zero 0
		.amdhsa_exception_fp_ieee_overflow 0
		.amdhsa_exception_fp_ieee_underflow 0
		.amdhsa_exception_fp_ieee_inexact 0
		.amdhsa_exception_int_div_zero 0
	.end_amdhsa_kernel
	.section	.text._ZN9rocsparseL26bsric0_2_8_unrolled_kernelILi36ELi32ELi6EfEEv20rocsparse_direction_iiPKiS3_PT2_S3_PiS3_S6_21rocsparse_index_base_,"axG",@progbits,_ZN9rocsparseL26bsric0_2_8_unrolled_kernelILi36ELi32ELi6EfEEv20rocsparse_direction_iiPKiS3_PT2_S3_PiS3_S6_21rocsparse_index_base_,comdat
.Lfunc_end7:
	.size	_ZN9rocsparseL26bsric0_2_8_unrolled_kernelILi36ELi32ELi6EfEEv20rocsparse_direction_iiPKiS3_PT2_S3_PiS3_S6_21rocsparse_index_base_, .Lfunc_end7-_ZN9rocsparseL26bsric0_2_8_unrolled_kernelILi36ELi32ELi6EfEEv20rocsparse_direction_iiPKiS3_PT2_S3_PiS3_S6_21rocsparse_index_base_
                                        ; -- End function
	.section	.AMDGPU.csdata,"",@progbits
; Kernel info:
; codeLenInByte = 7348
; NumSgprs: 39
; NumVgprs: 45
; ScratchSize: 0
; MemoryBound: 0
; FloatMode: 240
; IeeeMode: 1
; LDSByteSize: 1088 bytes/workgroup (compile time only)
; SGPRBlocks: 4
; VGPRBlocks: 5
; NumSGPRsForWavesPerEU: 39
; NumVGPRsForWavesPerEU: 45
; Occupancy: 16
; WaveLimiterHint : 1
; COMPUTE_PGM_RSRC2:SCRATCH_EN: 0
; COMPUTE_PGM_RSRC2:USER_SGPR: 15
; COMPUTE_PGM_RSRC2:TRAP_HANDLER: 0
; COMPUTE_PGM_RSRC2:TGID_X_EN: 1
; COMPUTE_PGM_RSRC2:TGID_Y_EN: 0
; COMPUTE_PGM_RSRC2:TGID_Z_EN: 0
; COMPUTE_PGM_RSRC2:TIDIG_COMP_CNT: 1
	.section	.text._ZN9rocsparseL26bsric0_2_8_unrolled_kernelILi49ELi32ELi7EfEEv20rocsparse_direction_iiPKiS3_PT2_S3_PiS3_S6_21rocsparse_index_base_,"axG",@progbits,_ZN9rocsparseL26bsric0_2_8_unrolled_kernelILi49ELi32ELi7EfEEv20rocsparse_direction_iiPKiS3_PT2_S3_PiS3_S6_21rocsparse_index_base_,comdat
	.globl	_ZN9rocsparseL26bsric0_2_8_unrolled_kernelILi49ELi32ELi7EfEEv20rocsparse_direction_iiPKiS3_PT2_S3_PiS3_S6_21rocsparse_index_base_ ; -- Begin function _ZN9rocsparseL26bsric0_2_8_unrolled_kernelILi49ELi32ELi7EfEEv20rocsparse_direction_iiPKiS3_PT2_S3_PiS3_S6_21rocsparse_index_base_
	.p2align	8
	.type	_ZN9rocsparseL26bsric0_2_8_unrolled_kernelILi49ELi32ELi7EfEEv20rocsparse_direction_iiPKiS3_PT2_S3_PiS3_S6_21rocsparse_index_base_,@function
_ZN9rocsparseL26bsric0_2_8_unrolled_kernelILi49ELi32ELi7EfEEv20rocsparse_direction_iiPKiS3_PT2_S3_PiS3_S6_21rocsparse_index_base_: ; @_ZN9rocsparseL26bsric0_2_8_unrolled_kernelILi49ELi32ELi7EfEEv20rocsparse_direction_iiPKiS3_PT2_S3_PiS3_S6_21rocsparse_index_base_
; %bb.0:
	s_load_b256 s[4:11], s[0:1], 0x28
	s_mov_b32 s2, s15
	s_mov_b32 s3, 0
	v_and_b32_e32 v5, 0x3ff, v0
	s_lshl_b64 s[12:13], s[2:3], 2
	v_bfe_u32 v6, v0, 10, 10
	s_waitcnt lgkmcnt(0)
	s_add_u32 s8, s8, s12
	s_addc_u32 s9, s9, s13
	s_load_b32 s16, s[8:9], 0x0
	s_waitcnt lgkmcnt(0)
	s_ashr_i32 s17, s16, 31
	s_delay_alu instid0(SALU_CYCLE_1) | instskip(NEXT) | instid1(SALU_CYCLE_1)
	s_lshl_b64 s[8:9], s[16:17], 2
	s_add_u32 s12, s4, s8
	s_addc_u32 s13, s5, s9
	s_load_b32 s26, s[12:13], 0x0
	s_load_b32 s17, s[0:1], 0x48
	s_waitcnt lgkmcnt(0)
	s_cmp_lg_u32 s26, -1
	s_cbranch_scc0 .LBB8_121
; %bb.1:
	s_clause 0x1
	s_load_b128 s[12:15], s[0:1], 0x10
	s_load_b64 s[18:19], s[0:1], 0x20
	v_mad_u32_u24 v7, v6, 7, v5
	s_waitcnt lgkmcnt(0)
	s_add_u32 s2, s12, s8
	s_addc_u32 s3, s13, s9
	s_load_b32 s2, s[2:3], 0x0
	s_mov_b32 s3, exec_lo
	s_waitcnt lgkmcnt(0)
	s_sub_i32 s27, s2, s17
	s_delay_alu instid0(SALU_CYCLE_1) | instskip(NEXT) | instid1(VALU_DEP_1)
	v_add_nc_u32_e32 v0, s27, v7
	v_cmpx_ge_i32_e64 s26, v0
	s_cbranch_execz .LBB8_4
; %bb.2:
	v_ashrrev_i32_e32 v1, 31, v0
	v_lshl_add_u32 v3, v7, 2, 0x480
	s_mov_b32 s20, 0
	s_delay_alu instid0(VALU_DEP_2) | instskip(NEXT) | instid1(VALU_DEP_1)
	v_lshlrev_b64 v[1:2], 2, v[0:1]
	v_add_co_u32 v1, vcc_lo, s14, v1
	s_delay_alu instid0(VALU_DEP_2)
	v_add_co_ci_u32_e32 v2, vcc_lo, s15, v2, vcc_lo
	.p2align	6
.LBB8_3:                                ; =>This Inner Loop Header: Depth=1
	global_load_b32 v4, v[1:2], off
	v_add_nc_u32_e32 v0, 49, v0
	v_add_co_u32 v1, vcc_lo, 0xc4, v1
	v_add_co_ci_u32_e32 v2, vcc_lo, 0, v2, vcc_lo
	s_delay_alu instid0(VALU_DEP_3) | instskip(NEXT) | instid1(VALU_DEP_1)
	v_cmp_lt_i32_e64 s2, s26, v0
	s_or_b32 s20, s2, s20
	s_waitcnt vmcnt(0)
	v_subrev_nc_u32_e32 v4, s17, v4
	ds_store_b32 v3, v4
	v_add_nc_u32_e32 v3, 0xc4, v3
	s_and_not1_b32 exec_lo, exec_lo, s20
	s_cbranch_execnz .LBB8_3
.LBB8_4:
	s_or_b32 exec_lo, exec_lo, s3
	s_load_b32 s1, s[0:1], 0x0
	v_lshlrev_b32_e32 v0, 2, v5
	v_mul_u32_u24_e32 v11, 7, v6
	v_mad_u32_u24 v8, v5, 7, v6
	s_cmp_ge_i32 s27, s26
	s_delay_alu instid0(VALU_DEP_3) | instskip(NEXT) | instid1(VALU_DEP_1)
	v_lshl_add_u32 v10, v6, 5, v0
	v_dual_mov_b32 v12, 0 :: v_dual_add_nc_u32 v9, 0x2a0, v10
	ds_store_b32 v10, v12 offset:672
	s_waitcnt lgkmcnt(0)
	buffer_gl0_inv
	s_cbranch_scc1 .LBB8_58
; %bb.5:
	s_cmp_eq_u32 s1, 0
	v_mad_u32_u24 v2, v5, 7, v6
	s_cselect_b32 vcc_lo, -1, 0
	v_lshlrev_b32_e32 v1, 5, v6
	v_or_b32_e32 v3, v5, v6
	v_mul_u32_u24_e32 v13, 7, v5
	v_lshl_add_u32 v19, v5, 5, 0x1c0
	s_cmp_lg_u32 s1, 0
	v_add_nc_u32_e32 v14, 0x1c0, v1
	v_add_nc_u32_e32 v15, 0xe0, v1
	;; [unrolled: 1-line block ×3, first 2 shown]
	v_cmp_ne_u32_e64 s0, 0, v3
	s_cselect_b32 s28, -1, 0
	v_add_nc_u32_e32 v17, v14, v0
	v_add_nc_u32_e32 v18, v15, v0
	v_cndmask_b32_e32 v0, v2, v7, vcc_lo
	s_mov_b32 s2, s27
	s_branch .LBB8_9
.LBB8_6:                                ;   in Loop: Header=BB8_9 Depth=1
	s_or_b32 exec_lo, exec_lo, s21
	v_mov_b32_e32 v4, 1.0
.LBB8_7:                                ;   in Loop: Header=BB8_9 Depth=1
	s_or_b32 exec_lo, exec_lo, s20
	ds_load_b128 v[20:23], v12 offset:192
	ds_load_b32 v32, v15 offset:24
	ds_load_b128 v[24:27], v14
	ds_load_b64 v[28:29], v12 offset:208
	ds_load_b64 v[30:31], v14 offset:16
	s_add_i32 s2, s2, 1
	s_delay_alu instid0(SALU_CYCLE_1) | instskip(SKIP_3) | instid1(VALU_DEP_1)
	s_cmp_ge_i32 s2, s26
	s_cselect_b32 s24, -1, 0
	s_waitcnt lgkmcnt(2)
	v_fmac_f32_e32 v32, v20, v24
	v_fmac_f32_e32 v32, v21, v25
	s_delay_alu instid0(VALU_DEP_1) | instskip(NEXT) | instid1(VALU_DEP_1)
	v_fmac_f32_e32 v32, v22, v26
	v_fmac_f32_e32 v32, v23, v27
	s_waitcnt lgkmcnt(0)
	s_delay_alu instid0(VALU_DEP_1) | instskip(NEXT) | instid1(VALU_DEP_1)
	v_fmac_f32_e32 v32, v28, v30
	v_fmac_f32_e32 v32, v29, v31
	s_delay_alu instid0(VALU_DEP_1) | instskip(NEXT) | instid1(VALU_DEP_1)
	v_sub_f32_e32 v3, v3, v32
	v_div_scale_f32 v20, null, v4, v4, v3
	v_div_scale_f32 v23, vcc_lo, v3, v4, v3
	s_delay_alu instid0(VALU_DEP_2) | instskip(SKIP_2) | instid1(VALU_DEP_1)
	v_rcp_f32_e32 v21, v20
	s_waitcnt_depctr 0xfff
	v_fma_f32 v22, -v20, v21, 1.0
	v_fmac_f32_e32 v21, v22, v21
	s_delay_alu instid0(VALU_DEP_1) | instskip(NEXT) | instid1(VALU_DEP_1)
	v_mul_f32_e32 v22, v23, v21
	v_fma_f32 v24, -v20, v22, v23
	s_delay_alu instid0(VALU_DEP_1) | instskip(NEXT) | instid1(VALU_DEP_1)
	v_fmac_f32_e32 v22, v24, v21
	v_fma_f32 v20, -v20, v22, v23
	s_delay_alu instid0(VALU_DEP_1) | instskip(NEXT) | instid1(VALU_DEP_1)
	v_div_fmas_f32 v20, v20, v21, v22
	v_div_fixup_f32 v3, v20, v4, v3
	ds_store_b32 v14, v3 offset:24
	s_waitcnt lgkmcnt(0)
	s_waitcnt_vscnt null, 0x0
	buffer_gl0_inv
	ds_load_b32 v4, v19 offset:24
	ds_load_b32 v20, v9
	s_waitcnt lgkmcnt(0)
	v_fmac_f32_e32 v20, v3, v4
	ds_store_b32 v9, v20
	s_waitcnt lgkmcnt(0)
	buffer_gl0_inv
	ds_load_b32 v3, v17
	s_waitcnt lgkmcnt(0)
	global_store_b32 v[1:2], v3, off
	s_waitcnt_vscnt null, 0x0
	buffer_gl1_inv
	buffer_gl0_inv
.LBB8_8:                                ;   in Loop: Header=BB8_9 Depth=1
	s_and_b32 vcc_lo, exec_lo, s24
	s_cbranch_vccnz .LBB8_58
.LBB8_9:                                ; =>This Loop Header: Depth=1
                                        ;     Child Loop BB8_12 Depth 2
                                        ;     Child Loop BB8_23 Depth 2
	s_ashr_i32 s3, s2, 31
	s_delay_alu instid0(SALU_CYCLE_1) | instskip(NEXT) | instid1(SALU_CYCLE_1)
	s_lshl_b64 s[20:21], s[2:3], 2
	s_add_u32 s20, s14, s20
	s_addc_u32 s21, s15, s21
	s_load_b32 s3, s[20:21], 0x0
	s_waitcnt lgkmcnt(0)
	s_sub_i32 s22, s3, s17
	s_delay_alu instid0(SALU_CYCLE_1) | instskip(NEXT) | instid1(SALU_CYCLE_1)
	s_ashr_i32 s23, s22, 31
	s_lshl_b64 s[20:21], s[22:23], 2
	s_delay_alu instid0(SALU_CYCLE_1)
	s_add_u32 s24, s4, s20
	s_addc_u32 s25, s5, s21
	s_load_b32 s23, s[24:25], 0x0
	s_mov_b32 s24, -1
	s_waitcnt lgkmcnt(0)
	s_cmp_eq_u32 s23, -1
	s_cbranch_scc1 .LBB8_8
; %bb.10:                               ;   in Loop: Header=BB8_9 Depth=1
	v_mad_u64_u32 v[1:2], null, s2, 49, v[0:1]
	s_add_u32 s24, s12, s20
	s_addc_u32 s25, s13, s21
	ds_load_b32 v4, v12 offset:1152
	s_load_b32 s24, s[24:25], 0x0
	v_ashrrev_i32_e32 v2, 31, v1
	s_delay_alu instid0(VALU_DEP_1) | instskip(NEXT) | instid1(VALU_DEP_1)
	v_lshlrev_b64 v[1:2], 2, v[1:2]
	v_add_co_u32 v1, vcc_lo, s18, v1
	s_delay_alu instid0(VALU_DEP_2)
	v_add_co_ci_u32_e32 v2, vcc_lo, s19, v2, vcc_lo
	s_waitcnt lgkmcnt(0)
	v_cmp_ge_i32_e32 vcc_lo, s22, v4
	s_sub_i32 s24, s24, s17
	global_load_b32 v3, v[1:2], off
	s_cmp_le_i32 s24, s23
	s_cselect_b32 s25, -1, 0
	s_delay_alu instid0(SALU_CYCLE_1) | instskip(NEXT) | instid1(SALU_CYCLE_1)
	s_and_b32 s25, s25, vcc_lo
	s_and_not1_b32 vcc_lo, exec_lo, s25
	s_mov_b32 s25, 0
	s_waitcnt vmcnt(0)
	ds_store_b32 v17, v3
	s_cbranch_vccnz .LBB8_22
; %bb.11:                               ;   in Loop: Header=BB8_9 Depth=1
	s_mov_b32 s29, 0
	s_mov_b32 s30, 0
.LBB8_12:                               ;   Parent Loop BB8_9 Depth=1
                                        ; =>  This Inner Loop Header: Depth=2
	s_ashr_i32 s25, s24, 31
                                        ; implicit-def: $sgpr33
	s_delay_alu instid0(SALU_CYCLE_1) | instskip(NEXT) | instid1(SALU_CYCLE_1)
	s_lshl_b64 s[34:35], s[24:25], 2
	s_add_u32 s34, s14, s34
	s_addc_u32 s35, s15, s35
	s_lshl_b32 s25, s30, 2
	s_delay_alu instid0(SALU_CYCLE_1)
	v_mov_b32_e32 v3, s25
	s_load_b32 s25, s[34:35], 0x0
	s_mov_b32 s35, -1
                                        ; implicit-def: $sgpr34
	ds_load_b32 v3, v3 offset:1152
	s_waitcnt lgkmcnt(0)
	s_sub_i32 s36, s25, s17
                                        ; implicit-def: $sgpr25
	s_delay_alu instid0(SALU_CYCLE_1)
	v_cmp_ge_i32_e32 vcc_lo, s36, v3
	v_readfirstlane_b32 s31, v3
	s_cbranch_vccz .LBB8_18
; %bb.13:                               ;   in Loop: Header=BB8_12 Depth=2
	s_delay_alu instid0(VALU_DEP_1)
	s_cmp_le_i32 s36, s31
                                        ; implicit-def: $sgpr25
                                        ; implicit-def: $sgpr34
                                        ; implicit-def: $sgpr33
	s_cbranch_scc0 .LBB8_15
; %bb.14:                               ;   in Loop: Header=BB8_12 Depth=2
	s_add_i32 s25, s30, s27
	s_lshl_b32 s33, s29, 2
	s_mul_i32 s25, s25, 49
	s_mul_i32 s34, s24, 49
	s_delay_alu instid0(SALU_CYCLE_1)
	v_dual_mov_b32 v3, s25 :: v_dual_mov_b32 v4, s34
	v_add_nc_u32_e64 v20, 0x200, s33
	s_add_i32 s33, s30, 1
	s_add_i32 s34, s24, 1
	;; [unrolled: 1-line block ×3, first 2 shown]
	s_mov_b32 s35, 0
	ds_store_2addr_b32 v20, v4, v3 offset0:96 offset1:128
.LBB8_15:                               ;   in Loop: Header=BB8_12 Depth=2
	s_and_not1_b32 vcc_lo, exec_lo, s35
	s_cbranch_vccnz .LBB8_17
; %bb.16:                               ;   in Loop: Header=BB8_12 Depth=2
	s_add_i32 s33, s30, 1
	s_mov_b32 s25, s29
	s_mov_b32 s34, s24
.LBB8_17:                               ;   in Loop: Header=BB8_12 Depth=2
	s_mov_b32 s35, 0
.LBB8_18:                               ;   in Loop: Header=BB8_12 Depth=2
	s_delay_alu instid0(SALU_CYCLE_1)
	s_and_not1_b32 vcc_lo, exec_lo, s35
	s_cbranch_vccnz .LBB8_20
; %bb.19:                               ;   in Loop: Header=BB8_12 Depth=2
	s_add_i32 s34, s24, 1
	s_mov_b32 s33, s30
	s_mov_b32 s25, s29
.LBB8_20:                               ;   in Loop: Header=BB8_12 Depth=2
	s_cmp_le_i32 s34, s23
	s_cselect_b32 s24, -1, 0
	s_cmp_le_i32 s31, s22
	s_cselect_b32 s29, -1, 0
	s_delay_alu instid0(SALU_CYCLE_1) | instskip(NEXT) | instid1(SALU_CYCLE_1)
	s_and_b32 s24, s24, s29
	s_and_b32 vcc_lo, exec_lo, s24
	s_cbranch_vccz .LBB8_22
; %bb.21:                               ;   in Loop: Header=BB8_12 Depth=2
	s_mov_b32 s29, s25
	s_mov_b32 s24, s34
	;; [unrolled: 1-line block ×3, first 2 shown]
	s_branch .LBB8_12
.LBB8_22:                               ;   in Loop: Header=BB8_9 Depth=1
	s_add_u32 s20, s6, s20
	s_addc_u32 s21, s7, s21
	s_waitcnt lgkmcnt(0)
	buffer_gl0_inv
.LBB8_23:                               ;   Parent Loop BB8_9 Depth=1
                                        ; =>  This Inner Loop Header: Depth=2
	global_load_b32 v3, v12, s[20:21] glc
	s_waitcnt vmcnt(0)
	v_cmp_eq_u32_e32 vcc_lo, 0, v3
	s_cbranch_vccnz .LBB8_23
; %bb.24:                               ;   in Loop: Header=BB8_9 Depth=1
	v_mad_u64_u32 v[3:4], null, s23, 49, v[0:1]
	buffer_gl1_inv
	buffer_gl0_inv
	v_mov_b32_e32 v21, 0
	s_cmp_lt_i32 s25, 2
	v_ashrrev_i32_e32 v4, 31, v3
	s_delay_alu instid0(VALU_DEP_1) | instskip(NEXT) | instid1(VALU_DEP_1)
	v_lshlrev_b64 v[3:4], 2, v[3:4]
	v_add_co_u32 v3, vcc_lo, s18, v3
	s_delay_alu instid0(VALU_DEP_2)
	v_add_co_ci_u32_e32 v4, vcc_lo, s19, v4, vcc_lo
	global_load_b32 v3, v[3:4], off
	s_waitcnt vmcnt(0)
	ds_store_b32 v16, v3
	s_waitcnt lgkmcnt(0)
	buffer_gl0_inv
	s_cbranch_scc1 .LBB8_31
; %bb.25:                               ;   in Loop: Header=BB8_9 Depth=1
	v_mov_b32_e32 v20, 0
	s_add_i32 s20, s25, -1
	s_movk_i32 s21, 0x380
	s_delay_alu instid0(SALU_CYCLE_1)
	v_mov_b32_e32 v3, s21
	s_and_b32 vcc_lo, exec_lo, s28
	ds_load_2addr_b32 v[3:4], v3 offset1:32
	s_cbranch_vccz .LBB8_27
.LBB8_26:                               ;   in Loop: Header=BB8_9 Depth=1
	s_waitcnt lgkmcnt(0)
	v_add_nc_u32_e32 v21, v3, v5
	v_add_nc_u32_e32 v23, v4, v6
	s_delay_alu instid0(VALU_DEP_2) | instskip(SKIP_1) | instid1(VALU_DEP_3)
	v_ashrrev_i32_e32 v22, 31, v21
	v_add_nc_u32_e32 v25, 7, v21
	v_ashrrev_i32_e32 v24, 31, v23
	v_add_nc_u32_e32 v27, 7, v23
	v_add_nc_u32_e32 v31, 14, v21
	v_lshlrev_b64 v[29:30], 2, v[21:22]
	v_ashrrev_i32_e32 v26, 31, v25
	v_lshlrev_b64 v[32:33], 2, v[23:24]
	v_ashrrev_i32_e32 v28, 31, v27
	v_add_nc_u32_e32 v36, 14, v23
	v_add_nc_u32_e32 v38, 21, v21
	v_add_co_u32 v29, vcc_lo, s18, v29
	v_lshlrev_b64 v[24:25], 2, v[25:26]
	v_add_co_ci_u32_e32 v30, vcc_lo, s19, v30, vcc_lo
	v_add_co_u32 v34, vcc_lo, s18, v32
	v_ashrrev_i32_e32 v32, 31, v31
	v_lshlrev_b64 v[26:27], 2, v[27:28]
	v_ashrrev_i32_e32 v37, 31, v36
	v_add_co_ci_u32_e32 v35, vcc_lo, s19, v33, vcc_lo
	v_add_nc_u32_e32 v40, 21, v23
	v_add_co_u32 v24, vcc_lo, s18, v24
	v_lshlrev_b64 v[31:32], 2, v[31:32]
	v_ashrrev_i32_e32 v39, 31, v38
	v_add_co_ci_u32_e32 v25, vcc_lo, s19, v25, vcc_lo
	v_add_co_u32 v26, vcc_lo, s18, v26
	v_lshlrev_b64 v[36:37], 2, v[36:37]
	v_ashrrev_i32_e32 v41, 31, v40
	v_add_nc_u32_e32 v42, 28, v21
	v_add_co_ci_u32_e32 v27, vcc_lo, s19, v27, vcc_lo
	v_add_co_u32 v31, vcc_lo, s18, v31
	v_lshlrev_b64 v[38:39], 2, v[38:39]
	v_add_nc_u32_e32 v44, 28, v23
	v_add_co_ci_u32_e32 v32, vcc_lo, s19, v32, vcc_lo
	v_add_co_u32 v36, vcc_lo, s18, v36
	v_lshlrev_b64 v[40:41], 2, v[40:41]
	v_ashrrev_i32_e32 v43, 31, v42
	v_add_co_ci_u32_e32 v37, vcc_lo, s19, v37, vcc_lo
	v_add_co_u32 v38, vcc_lo, s18, v38
	v_ashrrev_i32_e32 v45, 31, v44
	v_add_co_ci_u32_e32 v39, vcc_lo, s19, v39, vcc_lo
	v_lshlrev_b64 v[42:43], 2, v[42:43]
	v_add_co_u32 v40, vcc_lo, s18, v40
	v_add_co_ci_u32_e32 v41, vcc_lo, s19, v41, vcc_lo
	s_clause 0x7
	global_load_b32 v33, v[29:30], off
	global_load_b32 v34, v[34:35], off
	;; [unrolled: 1-line block ×8, first 2 shown]
	v_lshlrev_b64 v[24:25], 2, v[44:45]
	v_add_nc_u32_e32 v26, 35, v21
	v_add_co_u32 v28, vcc_lo, s18, v42
	v_add_co_ci_u32_e32 v29, vcc_lo, s19, v43, vcc_lo
	v_add_nc_u32_e32 v30, 35, v23
	v_add_co_u32 v24, vcc_lo, s18, v24
	v_ashrrev_i32_e32 v27, 31, v26
	v_add_co_ci_u32_e32 v25, vcc_lo, s19, v25, vcc_lo
	v_add_nc_u32_e32 v21, 42, v21
	v_ashrrev_i32_e32 v31, 31, v30
	s_clause 0x1
	global_load_b32 v39, v[28:29], off
	global_load_b32 v40, v[24:25], off
	v_add_nc_u32_e32 v28, 42, v23
	v_lshlrev_b64 v[26:27], 2, v[26:27]
	v_ashrrev_i32_e32 v22, 31, v21
	v_lshlrev_b64 v[24:25], 2, v[30:31]
	s_delay_alu instid0(VALU_DEP_4) | instskip(NEXT) | instid1(VALU_DEP_4)
	v_ashrrev_i32_e32 v29, 31, v28
	v_add_co_u32 v26, vcc_lo, s18, v26
	s_delay_alu instid0(VALU_DEP_4)
	v_lshlrev_b64 v[21:22], 2, v[21:22]
	v_add_co_ci_u32_e32 v27, vcc_lo, s19, v27, vcc_lo
	v_add_co_u32 v23, vcc_lo, s18, v24
	v_lshlrev_b64 v[28:29], 2, v[28:29]
	v_add_co_ci_u32_e32 v24, vcc_lo, s19, v25, vcc_lo
	v_add_co_u32 v21, vcc_lo, s18, v21
	v_add_co_ci_u32_e32 v22, vcc_lo, s19, v22, vcc_lo
	s_delay_alu instid0(VALU_DEP_4)
	v_add_co_u32 v28, vcc_lo, s18, v28
	v_add_co_ci_u32_e32 v29, vcc_lo, s19, v29, vcc_lo
	s_clause 0x3
	global_load_b32 v25, v[26:27], off
	global_load_b32 v23, v[23:24], off
	;; [unrolled: 1-line block ×4, first 2 shown]
	s_waitcnt vmcnt(12)
	v_fma_f32 v21, v33, v34, v20
	s_waitcnt vmcnt(10)
	s_delay_alu instid0(VALU_DEP_1) | instskip(SKIP_1) | instid1(VALU_DEP_1)
	v_fmac_f32_e32 v21, v35, v46
	s_waitcnt vmcnt(8)
	v_fmac_f32_e32 v21, v32, v36
	s_waitcnt vmcnt(6)
	s_delay_alu instid0(VALU_DEP_1) | instskip(SKIP_1) | instid1(VALU_DEP_1)
	v_fmac_f32_e32 v21, v37, v38
	s_waitcnt vmcnt(4)
	v_fmac_f32_e32 v21, v39, v40
	;; [unrolled: 5-line block ×3, first 2 shown]
	s_cbranch_execz .LBB8_28
	s_branch .LBB8_29
.LBB8_27:                               ;   in Loop: Header=BB8_9 Depth=1
                                        ; implicit-def: $vgpr21
.LBB8_28:                               ;   in Loop: Header=BB8_9 Depth=1
	s_waitcnt lgkmcnt(0)
	v_add_nc_u32_e32 v3, v3, v13
	v_add_nc_u32_e32 v21, v4, v11
	s_delay_alu instid0(VALU_DEP_2) | instskip(NEXT) | instid1(VALU_DEP_2)
	v_ashrrev_i32_e32 v4, 31, v3
	v_ashrrev_i32_e32 v22, 31, v21
	s_delay_alu instid0(VALU_DEP_2) | instskip(NEXT) | instid1(VALU_DEP_2)
	v_lshlrev_b64 v[3:4], 2, v[3:4]
	v_lshlrev_b64 v[21:22], 2, v[21:22]
	s_delay_alu instid0(VALU_DEP_2) | instskip(NEXT) | instid1(VALU_DEP_3)
	v_add_co_u32 v3, vcc_lo, s18, v3
	v_add_co_ci_u32_e32 v4, vcc_lo, s19, v4, vcc_lo
	s_delay_alu instid0(VALU_DEP_3) | instskip(NEXT) | instid1(VALU_DEP_4)
	v_add_co_u32 v32, vcc_lo, s18, v21
	v_add_co_ci_u32_e32 v33, vcc_lo, s19, v22, vcc_lo
	s_clause 0x3
	global_load_b128 v[21:24], v[3:4], off
	global_load_b128 v[25:28], v[32:33], off
	global_load_b96 v[29:31], v[3:4], off offset:16
	global_load_b96 v[32:34], v[32:33], off offset:16
	s_waitcnt vmcnt(2)
	v_fmac_f32_e32 v20, v21, v25
	s_delay_alu instid0(VALU_DEP_1) | instskip(NEXT) | instid1(VALU_DEP_1)
	v_fmac_f32_e32 v20, v22, v26
	v_fmac_f32_e32 v20, v23, v27
	s_delay_alu instid0(VALU_DEP_1) | instskip(SKIP_1) | instid1(VALU_DEP_1)
	v_fmac_f32_e32 v20, v24, v28
	s_waitcnt vmcnt(0)
	v_fmac_f32_e32 v20, v29, v32
	s_delay_alu instid0(VALU_DEP_1) | instskip(NEXT) | instid1(VALU_DEP_1)
	v_fmac_f32_e32 v20, v30, v33
	v_fmac_f32_e32 v20, v31, v34
	s_delay_alu instid0(VALU_DEP_1)
	v_mov_b32_e32 v21, v20
.LBB8_29:                               ;   in Loop: Header=BB8_9 Depth=1
	s_add_i32 s20, s20, -1
	s_add_i32 s21, s21, 4
	s_cmp_eq_u32 s20, 0
	s_cbranch_scc1 .LBB8_31
; %bb.30:                               ;   in Loop: Header=BB8_9 Depth=1
	s_waitcnt lgkmcnt(0)
	v_dual_mov_b32 v20, v21 :: v_dual_mov_b32 v3, s21
	s_and_b32 vcc_lo, exec_lo, s28
	ds_load_2addr_b32 v[3:4], v3 offset1:32
	s_cbranch_vccz .LBB8_27
	s_branch .LBB8_26
.LBB8_31:                               ;   in Loop: Header=BB8_9 Depth=1
	ds_store_b32 v18, v21
	s_waitcnt lgkmcnt(0)
	buffer_gl0_inv
	ds_load_b32 v4, v12
	ds_load_b32 v3, v14
	s_waitcnt lgkmcnt(1)
	v_cmp_neq_f32_e32 vcc_lo, 0, v4
	v_cndmask_b32_e32 v4, 1.0, v4, vcc_lo
	s_or_b32 s20, vcc_lo, s0
	s_delay_alu instid0(SALU_CYCLE_1) | instskip(NEXT) | instid1(SALU_CYCLE_1)
	s_xor_b32 s21, s20, -1
	s_and_saveexec_b32 s20, s21
	s_cbranch_execz .LBB8_35
; %bb.32:                               ;   in Loop: Header=BB8_9 Depth=1
	v_mbcnt_lo_u32_b32 v4, exec_lo, 0
	s_mov_b32 s21, exec_lo
	s_delay_alu instid0(VALU_DEP_1)
	v_cmpx_eq_u32_e32 0, v4
	s_cbranch_execz .LBB8_34
; %bb.33:                               ;   in Loop: Header=BB8_9 Depth=1
	v_mov_b32_e32 v4, s3
	global_atomic_min_i32 v12, v4, s[10:11]
.LBB8_34:                               ;   in Loop: Header=BB8_9 Depth=1
	s_or_b32 exec_lo, exec_lo, s21
	v_mov_b32_e32 v4, 1.0
.LBB8_35:                               ;   in Loop: Header=BB8_9 Depth=1
	s_or_b32 exec_lo, exec_lo, s20
	ds_load_b32 v20, v15
	s_waitcnt lgkmcnt(0)
	v_sub_f32_e32 v3, v3, v20
	s_delay_alu instid0(VALU_DEP_1) | instskip(SKIP_1) | instid1(VALU_DEP_2)
	v_div_scale_f32 v20, null, v4, v4, v3
	v_div_scale_f32 v23, vcc_lo, v3, v4, v3
	v_rcp_f32_e32 v21, v20
	s_waitcnt_depctr 0xfff
	v_fma_f32 v22, -v20, v21, 1.0
	s_delay_alu instid0(VALU_DEP_1) | instskip(NEXT) | instid1(VALU_DEP_1)
	v_fmac_f32_e32 v21, v22, v21
	v_mul_f32_e32 v22, v23, v21
	s_delay_alu instid0(VALU_DEP_1) | instskip(NEXT) | instid1(VALU_DEP_1)
	v_fma_f32 v24, -v20, v22, v23
	v_fmac_f32_e32 v22, v24, v21
	s_delay_alu instid0(VALU_DEP_1) | instskip(NEXT) | instid1(VALU_DEP_1)
	v_fma_f32 v20, -v20, v22, v23
	v_div_fmas_f32 v20, v20, v21, v22
	s_delay_alu instid0(VALU_DEP_1)
	v_div_fixup_f32 v3, v20, v4, v3
	ds_store_b32 v14, v3
	s_waitcnt lgkmcnt(0)
	s_waitcnt_vscnt null, 0x0
	buffer_gl0_inv
	ds_load_b32 v4, v19
	ds_load_b32 v20, v9
	s_waitcnt lgkmcnt(0)
	v_fmac_f32_e32 v20, v3, v4
	ds_store_b32 v9, v20
	s_waitcnt lgkmcnt(0)
	buffer_gl0_inv
	ds_load_b32 v4, v12 offset:36
	ds_load_b32 v3, v14 offset:4
	s_waitcnt lgkmcnt(1)
	v_cmp_neq_f32_e32 vcc_lo, 0, v4
	v_cndmask_b32_e32 v4, 1.0, v4, vcc_lo
	s_or_b32 s20, vcc_lo, s0
	s_delay_alu instid0(SALU_CYCLE_1) | instskip(NEXT) | instid1(SALU_CYCLE_1)
	s_xor_b32 s21, s20, -1
	s_and_saveexec_b32 s20, s21
	s_cbranch_execz .LBB8_39
; %bb.36:                               ;   in Loop: Header=BB8_9 Depth=1
	v_mbcnt_lo_u32_b32 v4, exec_lo, 0
	s_mov_b32 s21, exec_lo
	s_delay_alu instid0(VALU_DEP_1)
	v_cmpx_eq_u32_e32 0, v4
	s_cbranch_execz .LBB8_38
; %bb.37:                               ;   in Loop: Header=BB8_9 Depth=1
	v_mov_b32_e32 v4, s3
	global_atomic_min_i32 v12, v4, s[10:11]
.LBB8_38:                               ;   in Loop: Header=BB8_9 Depth=1
	s_or_b32 exec_lo, exec_lo, s21
	v_mov_b32_e32 v4, 1.0
.LBB8_39:                               ;   in Loop: Header=BB8_9 Depth=1
	s_or_b32 exec_lo, exec_lo, s20
	ds_load_b32 v20, v14
	ds_load_b32 v21, v12 offset:32
	ds_load_b32 v22, v15 offset:4
	s_waitcnt lgkmcnt(0)
	v_fmac_f32_e32 v22, v21, v20
	s_delay_alu instid0(VALU_DEP_1) | instskip(NEXT) | instid1(VALU_DEP_1)
	v_sub_f32_e32 v3, v3, v22
	v_div_scale_f32 v20, null, v4, v4, v3
	v_div_scale_f32 v23, vcc_lo, v3, v4, v3
	s_delay_alu instid0(VALU_DEP_2) | instskip(SKIP_2) | instid1(VALU_DEP_1)
	v_rcp_f32_e32 v21, v20
	s_waitcnt_depctr 0xfff
	v_fma_f32 v22, -v20, v21, 1.0
	v_fmac_f32_e32 v21, v22, v21
	s_delay_alu instid0(VALU_DEP_1) | instskip(NEXT) | instid1(VALU_DEP_1)
	v_mul_f32_e32 v22, v23, v21
	v_fma_f32 v24, -v20, v22, v23
	s_delay_alu instid0(VALU_DEP_1) | instskip(NEXT) | instid1(VALU_DEP_1)
	v_fmac_f32_e32 v22, v24, v21
	v_fma_f32 v20, -v20, v22, v23
	s_delay_alu instid0(VALU_DEP_1) | instskip(NEXT) | instid1(VALU_DEP_1)
	v_div_fmas_f32 v20, v20, v21, v22
	v_div_fixup_f32 v3, v20, v4, v3
	ds_store_b32 v14, v3 offset:4
	s_waitcnt lgkmcnt(0)
	s_waitcnt_vscnt null, 0x0
	buffer_gl0_inv
	ds_load_b32 v4, v19 offset:4
	ds_load_b32 v20, v9
	s_waitcnt lgkmcnt(0)
	v_fmac_f32_e32 v20, v3, v4
	ds_store_b32 v9, v20
	s_waitcnt lgkmcnt(0)
	buffer_gl0_inv
	ds_load_b32 v4, v12 offset:72
	ds_load_b32 v3, v14 offset:8
	s_waitcnt lgkmcnt(1)
	v_cmp_neq_f32_e32 vcc_lo, 0, v4
	v_cndmask_b32_e32 v4, 1.0, v4, vcc_lo
	s_or_b32 s20, vcc_lo, s0
	s_delay_alu instid0(SALU_CYCLE_1) | instskip(NEXT) | instid1(SALU_CYCLE_1)
	s_xor_b32 s21, s20, -1
	s_and_saveexec_b32 s20, s21
	s_cbranch_execz .LBB8_43
; %bb.40:                               ;   in Loop: Header=BB8_9 Depth=1
	v_mbcnt_lo_u32_b32 v4, exec_lo, 0
	s_mov_b32 s21, exec_lo
	s_delay_alu instid0(VALU_DEP_1)
	v_cmpx_eq_u32_e32 0, v4
	s_cbranch_execz .LBB8_42
; %bb.41:                               ;   in Loop: Header=BB8_9 Depth=1
	v_mov_b32_e32 v4, s3
	global_atomic_min_i32 v12, v4, s[10:11]
.LBB8_42:                               ;   in Loop: Header=BB8_9 Depth=1
	s_or_b32 exec_lo, exec_lo, s21
	v_mov_b32_e32 v4, 1.0
.LBB8_43:                               ;   in Loop: Header=BB8_9 Depth=1
	s_or_b32 exec_lo, exec_lo, s20
	ds_load_b64 v[20:21], v14
	ds_load_b64 v[22:23], v12 offset:64
	ds_load_b32 v24, v15 offset:8
	s_waitcnt lgkmcnt(0)
	v_fmac_f32_e32 v24, v22, v20
	s_delay_alu instid0(VALU_DEP_1) | instskip(NEXT) | instid1(VALU_DEP_1)
	v_fmac_f32_e32 v24, v23, v21
	v_sub_f32_e32 v3, v3, v24
	s_delay_alu instid0(VALU_DEP_1) | instskip(SKIP_1) | instid1(VALU_DEP_2)
	v_div_scale_f32 v20, null, v4, v4, v3
	v_div_scale_f32 v23, vcc_lo, v3, v4, v3
	v_rcp_f32_e32 v21, v20
	s_waitcnt_depctr 0xfff
	v_fma_f32 v22, -v20, v21, 1.0
	s_delay_alu instid0(VALU_DEP_1) | instskip(NEXT) | instid1(VALU_DEP_1)
	v_fmac_f32_e32 v21, v22, v21
	v_mul_f32_e32 v22, v23, v21
	s_delay_alu instid0(VALU_DEP_1) | instskip(NEXT) | instid1(VALU_DEP_1)
	v_fma_f32 v24, -v20, v22, v23
	v_fmac_f32_e32 v22, v24, v21
	s_delay_alu instid0(VALU_DEP_1) | instskip(NEXT) | instid1(VALU_DEP_1)
	v_fma_f32 v20, -v20, v22, v23
	v_div_fmas_f32 v20, v20, v21, v22
	s_delay_alu instid0(VALU_DEP_1)
	v_div_fixup_f32 v3, v20, v4, v3
	ds_store_b32 v14, v3 offset:8
	s_waitcnt lgkmcnt(0)
	s_waitcnt_vscnt null, 0x0
	buffer_gl0_inv
	ds_load_b32 v4, v19 offset:8
	ds_load_b32 v20, v9
	s_waitcnt lgkmcnt(0)
	v_fmac_f32_e32 v20, v3, v4
	ds_store_b32 v9, v20
	s_waitcnt lgkmcnt(0)
	buffer_gl0_inv
	ds_load_b32 v4, v12 offset:108
	ds_load_b32 v3, v14 offset:12
	s_waitcnt lgkmcnt(1)
	v_cmp_neq_f32_e32 vcc_lo, 0, v4
	v_cndmask_b32_e32 v4, 1.0, v4, vcc_lo
	s_or_b32 s20, vcc_lo, s0
	s_delay_alu instid0(SALU_CYCLE_1) | instskip(NEXT) | instid1(SALU_CYCLE_1)
	s_xor_b32 s21, s20, -1
	s_and_saveexec_b32 s20, s21
	s_cbranch_execz .LBB8_47
; %bb.44:                               ;   in Loop: Header=BB8_9 Depth=1
	v_mbcnt_lo_u32_b32 v4, exec_lo, 0
	s_mov_b32 s21, exec_lo
	s_delay_alu instid0(VALU_DEP_1)
	v_cmpx_eq_u32_e32 0, v4
	s_cbranch_execz .LBB8_46
; %bb.45:                               ;   in Loop: Header=BB8_9 Depth=1
	v_mov_b32_e32 v4, s3
	global_atomic_min_i32 v12, v4, s[10:11]
.LBB8_46:                               ;   in Loop: Header=BB8_9 Depth=1
	s_or_b32 exec_lo, exec_lo, s21
	v_mov_b32_e32 v4, 1.0
.LBB8_47:                               ;   in Loop: Header=BB8_9 Depth=1
	s_or_b32 exec_lo, exec_lo, s20
	ds_load_b96 v[20:22], v12 offset:96
	ds_load_b96 v[23:25], v14
	ds_load_b32 v26, v15 offset:12
	s_waitcnt lgkmcnt(0)
	v_fmac_f32_e32 v26, v20, v23
	s_delay_alu instid0(VALU_DEP_1) | instskip(NEXT) | instid1(VALU_DEP_1)
	v_fmac_f32_e32 v26, v21, v24
	v_fmac_f32_e32 v26, v22, v25
	s_delay_alu instid0(VALU_DEP_1) | instskip(NEXT) | instid1(VALU_DEP_1)
	v_sub_f32_e32 v3, v3, v26
	v_div_scale_f32 v20, null, v4, v4, v3
	v_div_scale_f32 v23, vcc_lo, v3, v4, v3
	s_delay_alu instid0(VALU_DEP_2) | instskip(SKIP_2) | instid1(VALU_DEP_1)
	v_rcp_f32_e32 v21, v20
	s_waitcnt_depctr 0xfff
	v_fma_f32 v22, -v20, v21, 1.0
	v_fmac_f32_e32 v21, v22, v21
	s_delay_alu instid0(VALU_DEP_1) | instskip(NEXT) | instid1(VALU_DEP_1)
	v_mul_f32_e32 v22, v23, v21
	v_fma_f32 v24, -v20, v22, v23
	s_delay_alu instid0(VALU_DEP_1) | instskip(NEXT) | instid1(VALU_DEP_1)
	v_fmac_f32_e32 v22, v24, v21
	v_fma_f32 v20, -v20, v22, v23
	s_delay_alu instid0(VALU_DEP_1) | instskip(NEXT) | instid1(VALU_DEP_1)
	v_div_fmas_f32 v20, v20, v21, v22
	v_div_fixup_f32 v3, v20, v4, v3
	ds_store_b32 v14, v3 offset:12
	s_waitcnt lgkmcnt(0)
	s_waitcnt_vscnt null, 0x0
	buffer_gl0_inv
	ds_load_b32 v4, v19 offset:12
	ds_load_b32 v20, v9
	s_waitcnt lgkmcnt(0)
	v_fmac_f32_e32 v20, v3, v4
	ds_store_b32 v9, v20
	s_waitcnt lgkmcnt(0)
	buffer_gl0_inv
	ds_load_b32 v4, v12 offset:144
	ds_load_b32 v3, v14 offset:16
	s_waitcnt lgkmcnt(1)
	v_cmp_neq_f32_e32 vcc_lo, 0, v4
	v_cndmask_b32_e32 v4, 1.0, v4, vcc_lo
	s_or_b32 s20, vcc_lo, s0
	s_delay_alu instid0(SALU_CYCLE_1) | instskip(NEXT) | instid1(SALU_CYCLE_1)
	s_xor_b32 s21, s20, -1
	s_and_saveexec_b32 s20, s21
	s_cbranch_execz .LBB8_51
; %bb.48:                               ;   in Loop: Header=BB8_9 Depth=1
	v_mbcnt_lo_u32_b32 v4, exec_lo, 0
	s_mov_b32 s21, exec_lo
	s_delay_alu instid0(VALU_DEP_1)
	v_cmpx_eq_u32_e32 0, v4
	s_cbranch_execz .LBB8_50
; %bb.49:                               ;   in Loop: Header=BB8_9 Depth=1
	v_mov_b32_e32 v4, s3
	global_atomic_min_i32 v12, v4, s[10:11]
.LBB8_50:                               ;   in Loop: Header=BB8_9 Depth=1
	s_or_b32 exec_lo, exec_lo, s21
	v_mov_b32_e32 v4, 1.0
.LBB8_51:                               ;   in Loop: Header=BB8_9 Depth=1
	s_or_b32 exec_lo, exec_lo, s20
	ds_load_b128 v[20:23], v12 offset:128
	ds_load_b128 v[24:27], v14
	ds_load_b32 v28, v15 offset:16
	s_waitcnt lgkmcnt(0)
	v_fmac_f32_e32 v28, v20, v24
	s_delay_alu instid0(VALU_DEP_1) | instskip(NEXT) | instid1(VALU_DEP_1)
	v_fmac_f32_e32 v28, v21, v25
	v_fmac_f32_e32 v28, v22, v26
	s_delay_alu instid0(VALU_DEP_1) | instskip(NEXT) | instid1(VALU_DEP_1)
	v_fmac_f32_e32 v28, v23, v27
	v_sub_f32_e32 v3, v3, v28
	s_delay_alu instid0(VALU_DEP_1) | instskip(SKIP_1) | instid1(VALU_DEP_2)
	v_div_scale_f32 v20, null, v4, v4, v3
	v_div_scale_f32 v23, vcc_lo, v3, v4, v3
	v_rcp_f32_e32 v21, v20
	s_waitcnt_depctr 0xfff
	v_fma_f32 v22, -v20, v21, 1.0
	s_delay_alu instid0(VALU_DEP_1) | instskip(NEXT) | instid1(VALU_DEP_1)
	v_fmac_f32_e32 v21, v22, v21
	v_mul_f32_e32 v22, v23, v21
	s_delay_alu instid0(VALU_DEP_1) | instskip(NEXT) | instid1(VALU_DEP_1)
	v_fma_f32 v24, -v20, v22, v23
	v_fmac_f32_e32 v22, v24, v21
	s_delay_alu instid0(VALU_DEP_1) | instskip(NEXT) | instid1(VALU_DEP_1)
	v_fma_f32 v20, -v20, v22, v23
	v_div_fmas_f32 v20, v20, v21, v22
	s_delay_alu instid0(VALU_DEP_1)
	v_div_fixup_f32 v3, v20, v4, v3
	ds_store_b32 v14, v3 offset:16
	s_waitcnt lgkmcnt(0)
	s_waitcnt_vscnt null, 0x0
	buffer_gl0_inv
	ds_load_b32 v4, v19 offset:16
	ds_load_b32 v20, v9
	s_waitcnt lgkmcnt(0)
	v_fmac_f32_e32 v20, v3, v4
	ds_store_b32 v9, v20
	s_waitcnt lgkmcnt(0)
	buffer_gl0_inv
	ds_load_b32 v4, v12 offset:180
	ds_load_b32 v3, v14 offset:20
	s_waitcnt lgkmcnt(1)
	v_cmp_neq_f32_e32 vcc_lo, 0, v4
	v_cndmask_b32_e32 v4, 1.0, v4, vcc_lo
	s_or_b32 s20, vcc_lo, s0
	s_delay_alu instid0(SALU_CYCLE_1) | instskip(NEXT) | instid1(SALU_CYCLE_1)
	s_xor_b32 s21, s20, -1
	s_and_saveexec_b32 s20, s21
	s_cbranch_execz .LBB8_55
; %bb.52:                               ;   in Loop: Header=BB8_9 Depth=1
	v_mbcnt_lo_u32_b32 v4, exec_lo, 0
	s_mov_b32 s21, exec_lo
	s_delay_alu instid0(VALU_DEP_1)
	v_cmpx_eq_u32_e32 0, v4
	s_cbranch_execz .LBB8_54
; %bb.53:                               ;   in Loop: Header=BB8_9 Depth=1
	v_mov_b32_e32 v4, s3
	global_atomic_min_i32 v12, v4, s[10:11]
.LBB8_54:                               ;   in Loop: Header=BB8_9 Depth=1
	s_or_b32 exec_lo, exec_lo, s21
	v_mov_b32_e32 v4, 1.0
.LBB8_55:                               ;   in Loop: Header=BB8_9 Depth=1
	s_or_b32 exec_lo, exec_lo, s20
	ds_load_b128 v[20:23], v12 offset:160
	ds_load_b32 v28, v15 offset:20
	ds_load_b128 v[24:27], v14
	ds_load_b32 v29, v14 offset:16
	ds_load_b32 v30, v12 offset:176
	s_waitcnt lgkmcnt(2)
	v_fmac_f32_e32 v28, v20, v24
	s_delay_alu instid0(VALU_DEP_1) | instskip(NEXT) | instid1(VALU_DEP_1)
	v_fmac_f32_e32 v28, v21, v25
	v_fmac_f32_e32 v28, v22, v26
	s_delay_alu instid0(VALU_DEP_1) | instskip(SKIP_1) | instid1(VALU_DEP_1)
	v_fmac_f32_e32 v28, v23, v27
	s_waitcnt lgkmcnt(0)
	v_fmac_f32_e32 v28, v30, v29
	s_delay_alu instid0(VALU_DEP_1) | instskip(NEXT) | instid1(VALU_DEP_1)
	v_sub_f32_e32 v3, v3, v28
	v_div_scale_f32 v20, null, v4, v4, v3
	v_div_scale_f32 v23, vcc_lo, v3, v4, v3
	s_delay_alu instid0(VALU_DEP_2) | instskip(SKIP_2) | instid1(VALU_DEP_1)
	v_rcp_f32_e32 v21, v20
	s_waitcnt_depctr 0xfff
	v_fma_f32 v22, -v20, v21, 1.0
	v_fmac_f32_e32 v21, v22, v21
	s_delay_alu instid0(VALU_DEP_1) | instskip(NEXT) | instid1(VALU_DEP_1)
	v_mul_f32_e32 v22, v23, v21
	v_fma_f32 v24, -v20, v22, v23
	s_delay_alu instid0(VALU_DEP_1) | instskip(NEXT) | instid1(VALU_DEP_1)
	v_fmac_f32_e32 v22, v24, v21
	v_fma_f32 v20, -v20, v22, v23
	s_delay_alu instid0(VALU_DEP_1) | instskip(NEXT) | instid1(VALU_DEP_1)
	v_div_fmas_f32 v20, v20, v21, v22
	v_div_fixup_f32 v3, v20, v4, v3
	ds_store_b32 v14, v3 offset:20
	s_waitcnt lgkmcnt(0)
	s_waitcnt_vscnt null, 0x0
	buffer_gl0_inv
	ds_load_b32 v4, v19 offset:20
	ds_load_b32 v20, v9
	s_waitcnt lgkmcnt(0)
	v_fmac_f32_e32 v20, v3, v4
	ds_store_b32 v9, v20
	s_waitcnt lgkmcnt(0)
	buffer_gl0_inv
	ds_load_b32 v4, v12 offset:216
	ds_load_b32 v3, v14 offset:24
	s_waitcnt lgkmcnt(1)
	v_cmp_neq_f32_e32 vcc_lo, 0, v4
	v_cndmask_b32_e32 v4, 1.0, v4, vcc_lo
	s_or_b32 s20, vcc_lo, s0
	s_delay_alu instid0(SALU_CYCLE_1) | instskip(NEXT) | instid1(SALU_CYCLE_1)
	s_xor_b32 s21, s20, -1
	s_and_saveexec_b32 s20, s21
	s_cbranch_execz .LBB8_7
; %bb.56:                               ;   in Loop: Header=BB8_9 Depth=1
	v_mbcnt_lo_u32_b32 v4, exec_lo, 0
	s_mov_b32 s21, exec_lo
	s_delay_alu instid0(VALU_DEP_1)
	v_cmpx_eq_u32_e32 0, v4
	s_cbranch_execz .LBB8_6
; %bb.57:                               ;   in Loop: Header=BB8_9 Depth=1
	v_mov_b32_e32 v4, s3
	global_atomic_min_i32 v12, v4, s[10:11]
	s_branch .LBB8_6
.LBB8_58:
	v_mov_b32_e32 v0, v7
	s_cmp_lg_u32 s1, 0
	s_cselect_b32 s2, -1, 0
	s_cmp_eq_u32 s1, 0
	s_cbranch_scc1 .LBB8_60
; %bb.59:
	v_mad_u32_u24 v0, v5, 7, v6
.LBB8_60:
	s_mul_i32 s26, s26, 49
	s_mov_b32 s3, exec_lo
	s_delay_alu instid0(VALU_DEP_1) | instskip(NEXT) | instid1(VALU_DEP_1)
	v_add_nc_u32_e32 v0, s26, v0
	v_ashrrev_i32_e32 v1, 31, v0
	s_delay_alu instid0(VALU_DEP_1) | instskip(NEXT) | instid1(VALU_DEP_1)
	v_lshlrev_b64 v[0:1], 2, v[0:1]
	v_add_co_u32 v0, vcc_lo, s18, v0
	s_delay_alu instid0(VALU_DEP_2)
	v_add_co_ci_u32_e32 v1, vcc_lo, s19, v1, vcc_lo
	v_cmp_ne_u32_e32 vcc_lo, 0, v6
	global_load_b32 v0, v[0:1], off
	s_waitcnt vmcnt(0)
	ds_store_b32 v10, v0 offset:448
	s_waitcnt lgkmcnt(0)
	buffer_gl0_inv
	v_cmpx_eq_u32_e32 0, v6
	s_cbranch_execz .LBB8_62
; %bb.61:
	v_mov_b32_e32 v2, 0
	ds_load_2addr_b32 v[0:1], v2 offset0:112 offset1:168
	s_waitcnt lgkmcnt(0)
	v_sub_f32_e32 v0, v0, v1
	s_delay_alu instid0(VALU_DEP_1) | instskip(NEXT) | instid1(VALU_DEP_1)
	v_cmp_gt_f32_e64 s0, 0, v0
	v_cndmask_b32_e64 v0, v0, -v0, s0
	s_delay_alu instid0(VALU_DEP_1) | instskip(SKIP_1) | instid1(VALU_DEP_1)
	v_mul_f32_e32 v1, 0x4f800000, v0
	v_cmp_gt_f32_e64 s0, 0xf800000, v0
	v_cndmask_b32_e64 v0, v0, v1, s0
	s_delay_alu instid0(VALU_DEP_1) | instskip(SKIP_3) | instid1(VALU_DEP_2)
	v_sqrt_f32_e32 v1, v0
	s_waitcnt_depctr 0xfff
	v_add_nc_u32_e32 v3, -1, v1
	v_add_nc_u32_e32 v4, 1, v1
	v_fma_f32 v11, -v3, v1, v0
	s_delay_alu instid0(VALU_DEP_2) | instskip(NEXT) | instid1(VALU_DEP_2)
	v_fma_f32 v12, -v4, v1, v0
	v_cmp_ge_f32_e64 s1, 0, v11
	s_delay_alu instid0(VALU_DEP_1) | instskip(NEXT) | instid1(VALU_DEP_3)
	v_cndmask_b32_e64 v1, v1, v3, s1
	v_cmp_lt_f32_e64 s1, 0, v12
	s_delay_alu instid0(VALU_DEP_1) | instskip(NEXT) | instid1(VALU_DEP_1)
	v_cndmask_b32_e64 v1, v1, v4, s1
	v_mul_f32_e32 v3, 0x37800000, v1
	s_delay_alu instid0(VALU_DEP_1) | instskip(SKIP_1) | instid1(VALU_DEP_1)
	v_cndmask_b32_e64 v1, v1, v3, s0
	v_cmp_class_f32_e64 s0, v0, 0x260
	v_cndmask_b32_e64 v0, v1, v0, s0
	ds_store_b32 v2, v0 offset:448
.LBB8_62:
	s_or_b32 exec_lo, exec_lo, s3
	v_mov_b32_e32 v0, 0
	s_waitcnt lgkmcnt(0)
	buffer_gl0_inv
	s_add_i32 s3, s16, s17
	ds_load_b32 v1, v0 offset:448
	v_or_b32_e32 v0, v5, v6
	s_delay_alu instid0(VALU_DEP_1) | instskip(SKIP_2) | instid1(VALU_DEP_1)
	v_cmp_ne_u32_e64 s0, 0, v0
	s_waitcnt lgkmcnt(0)
	v_cmp_neq_f32_e64 s1, 0, v1
	v_cndmask_b32_e64 v1, 1.0, v1, s1
	s_delay_alu instid0(VALU_DEP_3) | instskip(NEXT) | instid1(SALU_CYCLE_1)
	s_or_b32 s1, s1, s0
	s_xor_b32 s1, s1, -1
	s_delay_alu instid0(SALU_CYCLE_1)
	s_and_saveexec_b32 s4, s1
	s_cbranch_execz .LBB8_66
; %bb.63:
	v_mbcnt_lo_u32_b32 v1, exec_lo, 0
	s_mov_b32 s5, exec_lo
	s_delay_alu instid0(VALU_DEP_1)
	v_cmpx_eq_u32_e32 0, v1
	s_cbranch_execz .LBB8_65
; %bb.64:
	v_dual_mov_b32 v1, 0 :: v_dual_mov_b32 v2, s3
	global_atomic_min_i32 v1, v2, s[10:11]
.LBB8_65:
	s_or_b32 exec_lo, exec_lo, s5
	v_mov_b32_e32 v1, 1.0
.LBB8_66:
	s_or_b32 exec_lo, exec_lo, s4
	s_and_saveexec_b32 s1, vcc_lo
	s_cbranch_execz .LBB8_68
; %bb.67:
	v_lshlrev_b32_e32 v4, 5, v6
	ds_load_2addr_b32 v[2:3], v4 offset0:112 offset1:168
	s_waitcnt lgkmcnt(0)
	v_sub_f32_e32 v2, v2, v3
	s_delay_alu instid0(VALU_DEP_1) | instskip(SKIP_1) | instid1(VALU_DEP_2)
	v_div_scale_f32 v3, null, v1, v1, v2
	v_div_scale_f32 v13, vcc_lo, v2, v1, v2
	v_rcp_f32_e32 v11, v3
	s_waitcnt_depctr 0xfff
	v_fma_f32 v12, -v3, v11, 1.0
	s_delay_alu instid0(VALU_DEP_1) | instskip(NEXT) | instid1(VALU_DEP_1)
	v_fmac_f32_e32 v11, v12, v11
	v_mul_f32_e32 v12, v13, v11
	s_delay_alu instid0(VALU_DEP_1) | instskip(NEXT) | instid1(VALU_DEP_1)
	v_fma_f32 v14, -v3, v12, v13
	v_fmac_f32_e32 v12, v14, v11
	s_delay_alu instid0(VALU_DEP_1) | instskip(NEXT) | instid1(VALU_DEP_1)
	v_fma_f32 v3, -v3, v12, v13
	v_div_fmas_f32 v3, v3, v11, v12
	s_delay_alu instid0(VALU_DEP_1)
	v_div_fixup_f32 v1, v3, v1, v2
	v_lshlrev_b32_e32 v2, 5, v5
	ds_store_b32 v4, v1 offset:448
	s_waitcnt lgkmcnt(0)
	s_waitcnt_vscnt null, 0x0
	buffer_gl0_inv
	ds_load_b32 v2, v2 offset:448
	ds_load_b32 v3, v9
	s_waitcnt lgkmcnt(0)
	v_fmac_f32_e32 v3, v1, v2
	ds_store_b32 v9, v3
.LBB8_68:
	s_or_b32 exec_lo, exec_lo, s1
	s_delay_alu instid0(SALU_CYCLE_1)
	s_mov_b32 s4, exec_lo
	s_waitcnt lgkmcnt(0)
	s_waitcnt_vscnt null, 0x0
	buffer_gl0_inv
	v_cmpx_eq_u32_e32 1, v6
	s_cbranch_execz .LBB8_70
; %bb.69:
	v_mov_b32_e32 v3, 0
	ds_load_2addr_b32 v[1:2], v3 offset0:121 offset1:177
	s_waitcnt lgkmcnt(0)
	v_sub_f32_e32 v1, v1, v2
	s_delay_alu instid0(VALU_DEP_1) | instskip(SKIP_1) | instid1(VALU_DEP_1)
	v_cmp_gt_f32_e32 vcc_lo, 0, v1
	v_cndmask_b32_e64 v1, v1, -v1, vcc_lo
	v_mul_f32_e32 v2, 0x4f800000, v1
	v_cmp_gt_f32_e32 vcc_lo, 0xf800000, v1
	s_delay_alu instid0(VALU_DEP_2) | instskip(NEXT) | instid1(VALU_DEP_1)
	v_cndmask_b32_e32 v1, v1, v2, vcc_lo
	v_sqrt_f32_e32 v2, v1
	s_waitcnt_depctr 0xfff
	v_add_nc_u32_e32 v4, -1, v2
	v_add_nc_u32_e32 v11, 1, v2
	s_delay_alu instid0(VALU_DEP_2) | instskip(NEXT) | instid1(VALU_DEP_2)
	v_fma_f32 v12, -v4, v2, v1
	v_fma_f32 v13, -v11, v2, v1
	s_delay_alu instid0(VALU_DEP_2) | instskip(NEXT) | instid1(VALU_DEP_1)
	v_cmp_ge_f32_e64 s1, 0, v12
	v_cndmask_b32_e64 v2, v2, v4, s1
	s_delay_alu instid0(VALU_DEP_3) | instskip(NEXT) | instid1(VALU_DEP_1)
	v_cmp_lt_f32_e64 s1, 0, v13
	v_cndmask_b32_e64 v2, v2, v11, s1
	s_delay_alu instid0(VALU_DEP_1) | instskip(NEXT) | instid1(VALU_DEP_1)
	v_mul_f32_e32 v4, 0x37800000, v2
	v_cndmask_b32_e32 v2, v2, v4, vcc_lo
	v_cmp_class_f32_e64 vcc_lo, v1, 0x260
	s_delay_alu instid0(VALU_DEP_2)
	v_cndmask_b32_e32 v1, v2, v1, vcc_lo
	ds_store_b32 v3, v1 offset:484
.LBB8_70:
	s_or_b32 exec_lo, exec_lo, s4
	v_mov_b32_e32 v1, 0
	s_waitcnt lgkmcnt(0)
	buffer_gl0_inv
	ds_load_b32 v1, v1 offset:484
	s_waitcnt lgkmcnt(0)
	v_cmp_neq_f32_e32 vcc_lo, 0, v1
	v_cndmask_b32_e32 v1, 1.0, v1, vcc_lo
	s_or_b32 s1, vcc_lo, s0
	s_delay_alu instid0(SALU_CYCLE_1) | instskip(NEXT) | instid1(SALU_CYCLE_1)
	s_xor_b32 s4, s1, -1
	s_and_saveexec_b32 s1, s4
	s_cbranch_execz .LBB8_74
; %bb.71:
	v_mbcnt_lo_u32_b32 v1, exec_lo, 0
	s_mov_b32 s4, exec_lo
	s_delay_alu instid0(VALU_DEP_1)
	v_cmpx_eq_u32_e32 0, v1
	s_cbranch_execz .LBB8_73
; %bb.72:
	v_dual_mov_b32 v1, 0 :: v_dual_mov_b32 v2, s3
	global_atomic_min_i32 v1, v2, s[10:11]
.LBB8_73:
	s_or_b32 exec_lo, exec_lo, s4
	v_mov_b32_e32 v1, 1.0
.LBB8_74:
	s_or_b32 exec_lo, exec_lo, s1
	s_delay_alu instid0(SALU_CYCLE_1)
	s_mov_b32 s1, exec_lo
	v_cmpx_lt_u32_e32 1, v6
	s_cbranch_execz .LBB8_76
; %bb.75:
	v_lshlrev_b32_e32 v4, 5, v6
	ds_load_2addr_b32 v[2:3], v4 offset0:113 offset1:169
	s_waitcnt lgkmcnt(0)
	v_sub_f32_e32 v2, v2, v3
	s_delay_alu instid0(VALU_DEP_1) | instskip(SKIP_1) | instid1(VALU_DEP_2)
	v_div_scale_f32 v3, null, v1, v1, v2
	v_div_scale_f32 v13, vcc_lo, v2, v1, v2
	v_rcp_f32_e32 v11, v3
	s_waitcnt_depctr 0xfff
	v_fma_f32 v12, -v3, v11, 1.0
	s_delay_alu instid0(VALU_DEP_1) | instskip(NEXT) | instid1(VALU_DEP_1)
	v_fmac_f32_e32 v11, v12, v11
	v_mul_f32_e32 v12, v13, v11
	s_delay_alu instid0(VALU_DEP_1) | instskip(NEXT) | instid1(VALU_DEP_1)
	v_fma_f32 v14, -v3, v12, v13
	v_fmac_f32_e32 v12, v14, v11
	s_delay_alu instid0(VALU_DEP_1) | instskip(NEXT) | instid1(VALU_DEP_1)
	v_fma_f32 v3, -v3, v12, v13
	v_div_fmas_f32 v3, v3, v11, v12
	s_delay_alu instid0(VALU_DEP_1)
	v_div_fixup_f32 v1, v3, v1, v2
	v_lshlrev_b32_e32 v2, 5, v5
	ds_store_b32 v4, v1 offset:452
	s_waitcnt lgkmcnt(0)
	s_waitcnt_vscnt null, 0x0
	buffer_gl0_inv
	ds_load_b32 v2, v2 offset:452
	ds_load_b32 v3, v9
	s_waitcnt lgkmcnt(0)
	v_fmac_f32_e32 v3, v1, v2
	ds_store_b32 v9, v3
.LBB8_76:
	s_or_b32 exec_lo, exec_lo, s1
	s_delay_alu instid0(SALU_CYCLE_1)
	s_mov_b32 s4, exec_lo
	s_waitcnt lgkmcnt(0)
	s_waitcnt_vscnt null, 0x0
	buffer_gl0_inv
	v_cmpx_eq_u32_e32 2, v6
	s_cbranch_execz .LBB8_78
; %bb.77:
	v_mov_b32_e32 v3, 0
	ds_load_2addr_b32 v[1:2], v3 offset0:130 offset1:186
	s_waitcnt lgkmcnt(0)
	v_sub_f32_e32 v1, v1, v2
	s_delay_alu instid0(VALU_DEP_1) | instskip(SKIP_1) | instid1(VALU_DEP_1)
	v_cmp_gt_f32_e32 vcc_lo, 0, v1
	v_cndmask_b32_e64 v1, v1, -v1, vcc_lo
	v_mul_f32_e32 v2, 0x4f800000, v1
	v_cmp_gt_f32_e32 vcc_lo, 0xf800000, v1
	s_delay_alu instid0(VALU_DEP_2) | instskip(NEXT) | instid1(VALU_DEP_1)
	v_cndmask_b32_e32 v1, v1, v2, vcc_lo
	v_sqrt_f32_e32 v2, v1
	s_waitcnt_depctr 0xfff
	v_add_nc_u32_e32 v4, -1, v2
	v_add_nc_u32_e32 v11, 1, v2
	s_delay_alu instid0(VALU_DEP_2) | instskip(NEXT) | instid1(VALU_DEP_2)
	v_fma_f32 v12, -v4, v2, v1
	v_fma_f32 v13, -v11, v2, v1
	s_delay_alu instid0(VALU_DEP_2) | instskip(NEXT) | instid1(VALU_DEP_1)
	v_cmp_ge_f32_e64 s1, 0, v12
	v_cndmask_b32_e64 v2, v2, v4, s1
	s_delay_alu instid0(VALU_DEP_3) | instskip(NEXT) | instid1(VALU_DEP_1)
	v_cmp_lt_f32_e64 s1, 0, v13
	v_cndmask_b32_e64 v2, v2, v11, s1
	s_delay_alu instid0(VALU_DEP_1) | instskip(NEXT) | instid1(VALU_DEP_1)
	v_mul_f32_e32 v4, 0x37800000, v2
	v_cndmask_b32_e32 v2, v2, v4, vcc_lo
	v_cmp_class_f32_e64 vcc_lo, v1, 0x260
	s_delay_alu instid0(VALU_DEP_2)
	v_cndmask_b32_e32 v1, v2, v1, vcc_lo
	ds_store_b32 v3, v1 offset:520
.LBB8_78:
	s_or_b32 exec_lo, exec_lo, s4
	v_mov_b32_e32 v1, 0
	s_waitcnt lgkmcnt(0)
	buffer_gl0_inv
	ds_load_b32 v1, v1 offset:520
	s_waitcnt lgkmcnt(0)
	v_cmp_neq_f32_e32 vcc_lo, 0, v1
	v_cndmask_b32_e32 v1, 1.0, v1, vcc_lo
	s_or_b32 s1, vcc_lo, s0
	s_delay_alu instid0(SALU_CYCLE_1) | instskip(NEXT) | instid1(SALU_CYCLE_1)
	s_xor_b32 s4, s1, -1
	s_and_saveexec_b32 s1, s4
	s_cbranch_execz .LBB8_82
; %bb.79:
	v_mbcnt_lo_u32_b32 v1, exec_lo, 0
	s_mov_b32 s4, exec_lo
	s_delay_alu instid0(VALU_DEP_1)
	v_cmpx_eq_u32_e32 0, v1
	s_cbranch_execz .LBB8_81
; %bb.80:
	v_dual_mov_b32 v1, 0 :: v_dual_mov_b32 v2, s3
	global_atomic_min_i32 v1, v2, s[10:11]
.LBB8_81:
	s_or_b32 exec_lo, exec_lo, s4
	v_mov_b32_e32 v1, 1.0
.LBB8_82:
	s_or_b32 exec_lo, exec_lo, s1
	s_delay_alu instid0(SALU_CYCLE_1)
	s_mov_b32 s1, exec_lo
	v_cmpx_lt_u32_e32 2, v6
	s_cbranch_execz .LBB8_84
; %bb.83:
	v_lshlrev_b32_e32 v4, 5, v6
	ds_load_2addr_b32 v[2:3], v4 offset0:114 offset1:170
	s_waitcnt lgkmcnt(0)
	v_sub_f32_e32 v2, v2, v3
	s_delay_alu instid0(VALU_DEP_1) | instskip(SKIP_1) | instid1(VALU_DEP_2)
	v_div_scale_f32 v3, null, v1, v1, v2
	v_div_scale_f32 v13, vcc_lo, v2, v1, v2
	v_rcp_f32_e32 v11, v3
	s_waitcnt_depctr 0xfff
	v_fma_f32 v12, -v3, v11, 1.0
	s_delay_alu instid0(VALU_DEP_1) | instskip(NEXT) | instid1(VALU_DEP_1)
	v_fmac_f32_e32 v11, v12, v11
	v_mul_f32_e32 v12, v13, v11
	s_delay_alu instid0(VALU_DEP_1) | instskip(NEXT) | instid1(VALU_DEP_1)
	v_fma_f32 v14, -v3, v12, v13
	v_fmac_f32_e32 v12, v14, v11
	s_delay_alu instid0(VALU_DEP_1) | instskip(NEXT) | instid1(VALU_DEP_1)
	v_fma_f32 v3, -v3, v12, v13
	v_div_fmas_f32 v3, v3, v11, v12
	s_delay_alu instid0(VALU_DEP_1)
	v_div_fixup_f32 v1, v3, v1, v2
	v_lshlrev_b32_e32 v2, 5, v5
	ds_store_b32 v4, v1 offset:456
	s_waitcnt lgkmcnt(0)
	s_waitcnt_vscnt null, 0x0
	buffer_gl0_inv
	ds_load_b32 v2, v2 offset:456
	ds_load_b32 v3, v9
	s_waitcnt lgkmcnt(0)
	v_fmac_f32_e32 v3, v1, v2
	ds_store_b32 v9, v3
.LBB8_84:
	s_or_b32 exec_lo, exec_lo, s1
	s_delay_alu instid0(SALU_CYCLE_1)
	s_mov_b32 s4, exec_lo
	s_waitcnt lgkmcnt(0)
	s_waitcnt_vscnt null, 0x0
	buffer_gl0_inv
	v_cmpx_eq_u32_e32 3, v6
	s_cbranch_execz .LBB8_86
; %bb.85:
	v_mov_b32_e32 v3, 0
	ds_load_2addr_b32 v[1:2], v3 offset0:139 offset1:195
	s_waitcnt lgkmcnt(0)
	v_sub_f32_e32 v1, v1, v2
	s_delay_alu instid0(VALU_DEP_1) | instskip(SKIP_1) | instid1(VALU_DEP_1)
	v_cmp_gt_f32_e32 vcc_lo, 0, v1
	v_cndmask_b32_e64 v1, v1, -v1, vcc_lo
	v_mul_f32_e32 v2, 0x4f800000, v1
	v_cmp_gt_f32_e32 vcc_lo, 0xf800000, v1
	s_delay_alu instid0(VALU_DEP_2) | instskip(NEXT) | instid1(VALU_DEP_1)
	v_cndmask_b32_e32 v1, v1, v2, vcc_lo
	v_sqrt_f32_e32 v2, v1
	s_waitcnt_depctr 0xfff
	v_add_nc_u32_e32 v4, -1, v2
	v_add_nc_u32_e32 v11, 1, v2
	s_delay_alu instid0(VALU_DEP_2) | instskip(NEXT) | instid1(VALU_DEP_2)
	v_fma_f32 v12, -v4, v2, v1
	v_fma_f32 v13, -v11, v2, v1
	s_delay_alu instid0(VALU_DEP_2) | instskip(NEXT) | instid1(VALU_DEP_1)
	v_cmp_ge_f32_e64 s1, 0, v12
	v_cndmask_b32_e64 v2, v2, v4, s1
	s_delay_alu instid0(VALU_DEP_3) | instskip(NEXT) | instid1(VALU_DEP_1)
	v_cmp_lt_f32_e64 s1, 0, v13
	v_cndmask_b32_e64 v2, v2, v11, s1
	s_delay_alu instid0(VALU_DEP_1) | instskip(NEXT) | instid1(VALU_DEP_1)
	v_mul_f32_e32 v4, 0x37800000, v2
	v_cndmask_b32_e32 v2, v2, v4, vcc_lo
	v_cmp_class_f32_e64 vcc_lo, v1, 0x260
	s_delay_alu instid0(VALU_DEP_2)
	v_cndmask_b32_e32 v1, v2, v1, vcc_lo
	ds_store_b32 v3, v1 offset:556
.LBB8_86:
	s_or_b32 exec_lo, exec_lo, s4
	v_mov_b32_e32 v1, 0
	s_waitcnt lgkmcnt(0)
	buffer_gl0_inv
	ds_load_b32 v1, v1 offset:556
	s_waitcnt lgkmcnt(0)
	v_cmp_neq_f32_e32 vcc_lo, 0, v1
	v_cndmask_b32_e32 v1, 1.0, v1, vcc_lo
	s_or_b32 s1, vcc_lo, s0
	s_delay_alu instid0(SALU_CYCLE_1) | instskip(NEXT) | instid1(SALU_CYCLE_1)
	s_xor_b32 s4, s1, -1
	s_and_saveexec_b32 s1, s4
	s_cbranch_execz .LBB8_90
; %bb.87:
	v_mbcnt_lo_u32_b32 v1, exec_lo, 0
	s_mov_b32 s4, exec_lo
	s_delay_alu instid0(VALU_DEP_1)
	v_cmpx_eq_u32_e32 0, v1
	s_cbranch_execz .LBB8_89
; %bb.88:
	v_dual_mov_b32 v1, 0 :: v_dual_mov_b32 v2, s3
	global_atomic_min_i32 v1, v2, s[10:11]
.LBB8_89:
	s_or_b32 exec_lo, exec_lo, s4
	v_mov_b32_e32 v1, 1.0
.LBB8_90:
	s_or_b32 exec_lo, exec_lo, s1
	s_delay_alu instid0(SALU_CYCLE_1)
	s_mov_b32 s1, exec_lo
	v_cmpx_lt_u32_e32 3, v6
	s_cbranch_execz .LBB8_92
; %bb.91:
	v_lshlrev_b32_e32 v4, 5, v6
	ds_load_2addr_b32 v[2:3], v4 offset0:115 offset1:171
	s_waitcnt lgkmcnt(0)
	v_sub_f32_e32 v2, v2, v3
	s_delay_alu instid0(VALU_DEP_1) | instskip(SKIP_1) | instid1(VALU_DEP_2)
	v_div_scale_f32 v3, null, v1, v1, v2
	v_div_scale_f32 v13, vcc_lo, v2, v1, v2
	v_rcp_f32_e32 v11, v3
	s_waitcnt_depctr 0xfff
	v_fma_f32 v12, -v3, v11, 1.0
	s_delay_alu instid0(VALU_DEP_1) | instskip(NEXT) | instid1(VALU_DEP_1)
	v_fmac_f32_e32 v11, v12, v11
	v_mul_f32_e32 v12, v13, v11
	s_delay_alu instid0(VALU_DEP_1) | instskip(NEXT) | instid1(VALU_DEP_1)
	v_fma_f32 v14, -v3, v12, v13
	v_fmac_f32_e32 v12, v14, v11
	s_delay_alu instid0(VALU_DEP_1) | instskip(NEXT) | instid1(VALU_DEP_1)
	v_fma_f32 v3, -v3, v12, v13
	v_div_fmas_f32 v3, v3, v11, v12
	s_delay_alu instid0(VALU_DEP_1)
	v_div_fixup_f32 v1, v3, v1, v2
	v_lshlrev_b32_e32 v2, 5, v5
	ds_store_b32 v4, v1 offset:460
	s_waitcnt lgkmcnt(0)
	s_waitcnt_vscnt null, 0x0
	buffer_gl0_inv
	ds_load_b32 v2, v2 offset:460
	ds_load_b32 v3, v9
	s_waitcnt lgkmcnt(0)
	v_fmac_f32_e32 v3, v1, v2
	ds_store_b32 v9, v3
.LBB8_92:
	s_or_b32 exec_lo, exec_lo, s1
	s_delay_alu instid0(SALU_CYCLE_1)
	s_mov_b32 s4, exec_lo
	s_waitcnt lgkmcnt(0)
	s_waitcnt_vscnt null, 0x0
	buffer_gl0_inv
	v_cmpx_eq_u32_e32 4, v6
	s_cbranch_execz .LBB8_94
; %bb.93:
	v_mov_b32_e32 v3, 0
	ds_load_2addr_b32 v[1:2], v3 offset0:148 offset1:204
	s_waitcnt lgkmcnt(0)
	v_sub_f32_e32 v1, v1, v2
	s_delay_alu instid0(VALU_DEP_1) | instskip(SKIP_1) | instid1(VALU_DEP_1)
	v_cmp_gt_f32_e32 vcc_lo, 0, v1
	v_cndmask_b32_e64 v1, v1, -v1, vcc_lo
	v_mul_f32_e32 v2, 0x4f800000, v1
	v_cmp_gt_f32_e32 vcc_lo, 0xf800000, v1
	s_delay_alu instid0(VALU_DEP_2) | instskip(NEXT) | instid1(VALU_DEP_1)
	v_cndmask_b32_e32 v1, v1, v2, vcc_lo
	v_sqrt_f32_e32 v2, v1
	s_waitcnt_depctr 0xfff
	v_add_nc_u32_e32 v4, -1, v2
	v_add_nc_u32_e32 v11, 1, v2
	s_delay_alu instid0(VALU_DEP_2) | instskip(NEXT) | instid1(VALU_DEP_2)
	v_fma_f32 v12, -v4, v2, v1
	v_fma_f32 v13, -v11, v2, v1
	s_delay_alu instid0(VALU_DEP_2) | instskip(NEXT) | instid1(VALU_DEP_1)
	v_cmp_ge_f32_e64 s1, 0, v12
	v_cndmask_b32_e64 v2, v2, v4, s1
	s_delay_alu instid0(VALU_DEP_3) | instskip(NEXT) | instid1(VALU_DEP_1)
	v_cmp_lt_f32_e64 s1, 0, v13
	v_cndmask_b32_e64 v2, v2, v11, s1
	s_delay_alu instid0(VALU_DEP_1) | instskip(NEXT) | instid1(VALU_DEP_1)
	v_mul_f32_e32 v4, 0x37800000, v2
	v_cndmask_b32_e32 v2, v2, v4, vcc_lo
	v_cmp_class_f32_e64 vcc_lo, v1, 0x260
	s_delay_alu instid0(VALU_DEP_2)
	v_cndmask_b32_e32 v1, v2, v1, vcc_lo
	ds_store_b32 v3, v1 offset:592
.LBB8_94:
	s_or_b32 exec_lo, exec_lo, s4
	v_mov_b32_e32 v1, 0
	s_waitcnt lgkmcnt(0)
	buffer_gl0_inv
	ds_load_b32 v1, v1 offset:592
	s_waitcnt lgkmcnt(0)
	v_cmp_neq_f32_e32 vcc_lo, 0, v1
	v_cndmask_b32_e32 v1, 1.0, v1, vcc_lo
	s_or_b32 s1, vcc_lo, s0
	s_delay_alu instid0(SALU_CYCLE_1) | instskip(NEXT) | instid1(SALU_CYCLE_1)
	s_xor_b32 s4, s1, -1
	s_and_saveexec_b32 s1, s4
	s_cbranch_execz .LBB8_98
; %bb.95:
	v_mbcnt_lo_u32_b32 v1, exec_lo, 0
	s_mov_b32 s4, exec_lo
	s_delay_alu instid0(VALU_DEP_1)
	v_cmpx_eq_u32_e32 0, v1
	s_cbranch_execz .LBB8_97
; %bb.96:
	v_dual_mov_b32 v1, 0 :: v_dual_mov_b32 v2, s3
	global_atomic_min_i32 v1, v2, s[10:11]
.LBB8_97:
	s_or_b32 exec_lo, exec_lo, s4
	v_mov_b32_e32 v1, 1.0
.LBB8_98:
	s_or_b32 exec_lo, exec_lo, s1
	s_delay_alu instid0(SALU_CYCLE_1)
	s_mov_b32 s1, exec_lo
	v_cmpx_lt_u32_e32 4, v6
	s_cbranch_execz .LBB8_100
; %bb.99:
	v_lshlrev_b32_e32 v4, 5, v6
	ds_load_2addr_b32 v[2:3], v4 offset0:116 offset1:172
	s_waitcnt lgkmcnt(0)
	v_sub_f32_e32 v2, v2, v3
	s_delay_alu instid0(VALU_DEP_1) | instskip(SKIP_1) | instid1(VALU_DEP_2)
	v_div_scale_f32 v3, null, v1, v1, v2
	v_div_scale_f32 v13, vcc_lo, v2, v1, v2
	v_rcp_f32_e32 v11, v3
	s_waitcnt_depctr 0xfff
	v_fma_f32 v12, -v3, v11, 1.0
	s_delay_alu instid0(VALU_DEP_1) | instskip(NEXT) | instid1(VALU_DEP_1)
	v_fmac_f32_e32 v11, v12, v11
	v_mul_f32_e32 v12, v13, v11
	s_delay_alu instid0(VALU_DEP_1) | instskip(NEXT) | instid1(VALU_DEP_1)
	v_fma_f32 v14, -v3, v12, v13
	v_fmac_f32_e32 v12, v14, v11
	s_delay_alu instid0(VALU_DEP_1) | instskip(NEXT) | instid1(VALU_DEP_1)
	v_fma_f32 v3, -v3, v12, v13
	v_div_fmas_f32 v3, v3, v11, v12
	s_delay_alu instid0(VALU_DEP_1)
	v_div_fixup_f32 v1, v3, v1, v2
	v_lshlrev_b32_e32 v2, 5, v5
	ds_store_b32 v4, v1 offset:464
	s_waitcnt lgkmcnt(0)
	s_waitcnt_vscnt null, 0x0
	buffer_gl0_inv
	ds_load_b32 v2, v2 offset:464
	ds_load_b32 v3, v9
	s_waitcnt lgkmcnt(0)
	v_fmac_f32_e32 v3, v1, v2
	ds_store_b32 v9, v3
.LBB8_100:
	s_or_b32 exec_lo, exec_lo, s1
	s_delay_alu instid0(SALU_CYCLE_1)
	s_mov_b32 s4, exec_lo
	s_waitcnt lgkmcnt(0)
	s_waitcnt_vscnt null, 0x0
	buffer_gl0_inv
	v_cmpx_eq_u32_e32 5, v6
	s_cbranch_execz .LBB8_102
; %bb.101:
	v_mov_b32_e32 v3, 0
	ds_load_2addr_b32 v[1:2], v3 offset0:157 offset1:213
	s_waitcnt lgkmcnt(0)
	v_sub_f32_e32 v1, v1, v2
	s_delay_alu instid0(VALU_DEP_1) | instskip(SKIP_1) | instid1(VALU_DEP_1)
	v_cmp_gt_f32_e32 vcc_lo, 0, v1
	v_cndmask_b32_e64 v1, v1, -v1, vcc_lo
	v_mul_f32_e32 v2, 0x4f800000, v1
	v_cmp_gt_f32_e32 vcc_lo, 0xf800000, v1
	s_delay_alu instid0(VALU_DEP_2) | instskip(NEXT) | instid1(VALU_DEP_1)
	v_cndmask_b32_e32 v1, v1, v2, vcc_lo
	v_sqrt_f32_e32 v2, v1
	s_waitcnt_depctr 0xfff
	v_add_nc_u32_e32 v4, -1, v2
	v_add_nc_u32_e32 v11, 1, v2
	s_delay_alu instid0(VALU_DEP_2) | instskip(NEXT) | instid1(VALU_DEP_2)
	v_fma_f32 v12, -v4, v2, v1
	v_fma_f32 v13, -v11, v2, v1
	s_delay_alu instid0(VALU_DEP_2) | instskip(NEXT) | instid1(VALU_DEP_1)
	v_cmp_ge_f32_e64 s1, 0, v12
	v_cndmask_b32_e64 v2, v2, v4, s1
	s_delay_alu instid0(VALU_DEP_3) | instskip(NEXT) | instid1(VALU_DEP_1)
	v_cmp_lt_f32_e64 s1, 0, v13
	v_cndmask_b32_e64 v2, v2, v11, s1
	s_delay_alu instid0(VALU_DEP_1) | instskip(NEXT) | instid1(VALU_DEP_1)
	v_mul_f32_e32 v4, 0x37800000, v2
	v_cndmask_b32_e32 v2, v2, v4, vcc_lo
	v_cmp_class_f32_e64 vcc_lo, v1, 0x260
	s_delay_alu instid0(VALU_DEP_2)
	v_cndmask_b32_e32 v1, v2, v1, vcc_lo
	ds_store_b32 v3, v1 offset:628
.LBB8_102:
	s_or_b32 exec_lo, exec_lo, s4
	v_mov_b32_e32 v1, 0
	s_waitcnt lgkmcnt(0)
	buffer_gl0_inv
	ds_load_b32 v1, v1 offset:628
	s_waitcnt lgkmcnt(0)
	v_cmp_neq_f32_e32 vcc_lo, 0, v1
	v_cndmask_b32_e32 v1, 1.0, v1, vcc_lo
	s_or_b32 s1, vcc_lo, s0
	s_delay_alu instid0(SALU_CYCLE_1) | instskip(NEXT) | instid1(SALU_CYCLE_1)
	s_xor_b32 s4, s1, -1
	s_and_saveexec_b32 s1, s4
	s_cbranch_execz .LBB8_106
; %bb.103:
	v_mbcnt_lo_u32_b32 v1, exec_lo, 0
	s_mov_b32 s4, exec_lo
	s_delay_alu instid0(VALU_DEP_1)
	v_cmpx_eq_u32_e32 0, v1
	s_cbranch_execz .LBB8_105
; %bb.104:
	v_dual_mov_b32 v1, 0 :: v_dual_mov_b32 v2, s3
	global_atomic_min_i32 v1, v2, s[10:11]
.LBB8_105:
	s_or_b32 exec_lo, exec_lo, s4
	v_mov_b32_e32 v1, 1.0
.LBB8_106:
	s_or_b32 exec_lo, exec_lo, s1
	s_delay_alu instid0(SALU_CYCLE_1)
	s_mov_b32 s1, exec_lo
	v_cmpx_lt_u32_e32 5, v6
	s_cbranch_execz .LBB8_108
; %bb.107:
	v_lshlrev_b32_e32 v4, 5, v6
	ds_load_2addr_b32 v[2:3], v4 offset0:117 offset1:173
	s_waitcnt lgkmcnt(0)
	v_sub_f32_e32 v2, v2, v3
	s_delay_alu instid0(VALU_DEP_1) | instskip(SKIP_1) | instid1(VALU_DEP_2)
	v_div_scale_f32 v3, null, v1, v1, v2
	v_div_scale_f32 v13, vcc_lo, v2, v1, v2
	v_rcp_f32_e32 v11, v3
	s_waitcnt_depctr 0xfff
	v_fma_f32 v12, -v3, v11, 1.0
	s_delay_alu instid0(VALU_DEP_1) | instskip(NEXT) | instid1(VALU_DEP_1)
	v_fmac_f32_e32 v11, v12, v11
	v_mul_f32_e32 v12, v13, v11
	s_delay_alu instid0(VALU_DEP_1) | instskip(NEXT) | instid1(VALU_DEP_1)
	v_fma_f32 v14, -v3, v12, v13
	v_fmac_f32_e32 v12, v14, v11
	s_delay_alu instid0(VALU_DEP_1) | instskip(NEXT) | instid1(VALU_DEP_1)
	v_fma_f32 v3, -v3, v12, v13
	v_div_fmas_f32 v3, v3, v11, v12
	s_delay_alu instid0(VALU_DEP_1)
	v_div_fixup_f32 v1, v3, v1, v2
	v_lshlrev_b32_e32 v2, 5, v5
	ds_store_b32 v4, v1 offset:468
	s_waitcnt lgkmcnt(0)
	s_waitcnt_vscnt null, 0x0
	buffer_gl0_inv
	ds_load_b32 v2, v2 offset:468
	ds_load_b32 v3, v9
	s_waitcnt lgkmcnt(0)
	v_fmac_f32_e32 v3, v1, v2
	ds_store_b32 v9, v3
.LBB8_108:
	s_or_b32 exec_lo, exec_lo, s1
	s_delay_alu instid0(SALU_CYCLE_1)
	s_mov_b32 s4, exec_lo
	s_waitcnt lgkmcnt(0)
	s_waitcnt_vscnt null, 0x0
	buffer_gl0_inv
	v_cmpx_eq_u32_e32 6, v6
	s_cbranch_execz .LBB8_110
; %bb.109:
	v_mov_b32_e32 v3, 0
	ds_load_2addr_b32 v[1:2], v3 offset0:166 offset1:222
	s_waitcnt lgkmcnt(0)
	v_sub_f32_e32 v1, v1, v2
	s_delay_alu instid0(VALU_DEP_1) | instskip(SKIP_1) | instid1(VALU_DEP_1)
	v_cmp_gt_f32_e32 vcc_lo, 0, v1
	v_cndmask_b32_e64 v1, v1, -v1, vcc_lo
	v_mul_f32_e32 v2, 0x4f800000, v1
	v_cmp_gt_f32_e32 vcc_lo, 0xf800000, v1
	s_delay_alu instid0(VALU_DEP_2) | instskip(NEXT) | instid1(VALU_DEP_1)
	v_cndmask_b32_e32 v1, v1, v2, vcc_lo
	v_sqrt_f32_e32 v2, v1
	s_waitcnt_depctr 0xfff
	v_add_nc_u32_e32 v4, -1, v2
	v_add_nc_u32_e32 v11, 1, v2
	s_delay_alu instid0(VALU_DEP_2) | instskip(NEXT) | instid1(VALU_DEP_2)
	v_fma_f32 v12, -v4, v2, v1
	v_fma_f32 v13, -v11, v2, v1
	s_delay_alu instid0(VALU_DEP_2) | instskip(NEXT) | instid1(VALU_DEP_1)
	v_cmp_ge_f32_e64 s1, 0, v12
	v_cndmask_b32_e64 v2, v2, v4, s1
	s_delay_alu instid0(VALU_DEP_3) | instskip(NEXT) | instid1(VALU_DEP_1)
	v_cmp_lt_f32_e64 s1, 0, v13
	v_cndmask_b32_e64 v2, v2, v11, s1
	s_delay_alu instid0(VALU_DEP_1) | instskip(NEXT) | instid1(VALU_DEP_1)
	v_mul_f32_e32 v4, 0x37800000, v2
	v_cndmask_b32_e32 v2, v2, v4, vcc_lo
	v_cmp_class_f32_e64 vcc_lo, v1, 0x260
	s_delay_alu instid0(VALU_DEP_2)
	v_cndmask_b32_e32 v1, v2, v1, vcc_lo
	ds_store_b32 v3, v1 offset:664
.LBB8_110:
	s_or_b32 exec_lo, exec_lo, s4
	v_mov_b32_e32 v1, 0
	s_waitcnt lgkmcnt(0)
	buffer_gl0_inv
	ds_load_b32 v1, v1 offset:664
	s_waitcnt lgkmcnt(0)
	v_cmp_neq_f32_e32 vcc_lo, 0, v1
	v_cndmask_b32_e32 v2, 1.0, v1, vcc_lo
	s_or_b32 s0, vcc_lo, s0
	s_delay_alu instid0(SALU_CYCLE_1) | instskip(NEXT) | instid1(SALU_CYCLE_1)
	s_xor_b32 s1, s0, -1
	s_and_saveexec_b32 s0, s1
	s_cbranch_execz .LBB8_114
; %bb.111:
	v_mbcnt_lo_u32_b32 v1, exec_lo, 0
	s_mov_b32 s1, exec_lo
	s_delay_alu instid0(VALU_DEP_1)
	v_cmpx_eq_u32_e32 0, v1
	s_cbranch_execz .LBB8_113
; %bb.112:
	v_dual_mov_b32 v1, 0 :: v_dual_mov_b32 v2, s3
	global_atomic_min_i32 v1, v2, s[10:11]
.LBB8_113:
	s_or_b32 exec_lo, exec_lo, s1
	v_mov_b32_e32 v2, 1.0
.LBB8_114:
	s_or_b32 exec_lo, exec_lo, s0
	v_add_nc_u32_e32 v1, 0x1c0, v10
	s_mov_b32 s0, exec_lo
	v_cmpx_lt_u32_e32 6, v6
	s_cbranch_execz .LBB8_116
; %bb.115:
	v_lshlrev_b32_e32 v10, 5, v6
	ds_load_2addr_b32 v[3:4], v10 offset0:118 offset1:174
	s_waitcnt lgkmcnt(0)
	v_sub_f32_e32 v3, v3, v4
	s_delay_alu instid0(VALU_DEP_1) | instskip(SKIP_1) | instid1(VALU_DEP_2)
	v_div_scale_f32 v4, null, v2, v2, v3
	v_div_scale_f32 v13, vcc_lo, v3, v2, v3
	v_rcp_f32_e32 v11, v4
	s_waitcnt_depctr 0xfff
	v_fma_f32 v12, -v4, v11, 1.0
	s_delay_alu instid0(VALU_DEP_1) | instskip(NEXT) | instid1(VALU_DEP_1)
	v_fmac_f32_e32 v11, v12, v11
	v_mul_f32_e32 v12, v13, v11
	s_delay_alu instid0(VALU_DEP_1) | instskip(NEXT) | instid1(VALU_DEP_1)
	v_fma_f32 v14, -v4, v12, v13
	v_fmac_f32_e32 v12, v14, v11
	s_delay_alu instid0(VALU_DEP_1) | instskip(NEXT) | instid1(VALU_DEP_1)
	v_fma_f32 v4, -v4, v12, v13
	v_div_fmas_f32 v4, v4, v11, v12
	s_delay_alu instid0(VALU_DEP_1)
	v_div_fixup_f32 v2, v4, v2, v3
	v_lshlrev_b32_e32 v3, 5, v5
	ds_store_b32 v10, v2 offset:472
	s_waitcnt lgkmcnt(0)
	s_waitcnt_vscnt null, 0x0
	buffer_gl0_inv
	ds_load_b32 v3, v3 offset:472
	ds_load_b32 v4, v9
	s_waitcnt lgkmcnt(0)
	v_fmac_f32_e32 v4, v2, v3
	ds_store_b32 v9, v4
.LBB8_116:
	s_or_b32 exec_lo, exec_lo, s0
	s_waitcnt lgkmcnt(0)
	s_waitcnt_vscnt null, 0x0
	buffer_gl0_inv
	ds_load_b32 v1, v1
	s_and_not1_b32 vcc_lo, exec_lo, s2
	s_cbranch_vccnz .LBB8_118
; %bb.117:
	v_mov_b32_e32 v7, v8
.LBB8_118:
	s_delay_alu instid0(VALU_DEP_1) | instskip(SKIP_1) | instid1(VALU_DEP_2)
	v_add_nc_u32_e32 v2, s26, v7
	v_cmp_eq_u32_e64 s3, 0, v0
	v_ashrrev_i32_e32 v3, 31, v2
	s_delay_alu instid0(VALU_DEP_1) | instskip(NEXT) | instid1(VALU_DEP_1)
	v_lshlrev_b64 v[2:3], 2, v[2:3]
	v_add_co_u32 v2, vcc_lo, s18, v2
	s_delay_alu instid0(VALU_DEP_2)
	v_add_co_ci_u32_e32 v3, vcc_lo, s19, v3, vcc_lo
	s_waitcnt lgkmcnt(0)
	global_store_b32 v[2:3], v1, off
.LBB8_119:
	s_and_saveexec_b32 s0, s3
	s_cbranch_execnz .LBB8_127
.LBB8_120:
	s_nop 0
	s_sendmsg sendmsg(MSG_DEALLOC_VGPRS)
	s_endpgm
.LBB8_121:
	s_cbranch_execz .LBB8_119
; %bb.122:
	v_or_b32_e32 v0, v5, v6
	s_mov_b32 s0, exec_lo
	s_delay_alu instid0(VALU_DEP_1)
	v_cmpx_eq_u32_e32 0, v0
	s_cbranch_execz .LBB8_126
; %bb.123:
	v_mbcnt_lo_u32_b32 v0, exec_lo, 0
	s_mov_b32 s1, exec_lo
	s_delay_alu instid0(VALU_DEP_1)
	v_cmpx_eq_u32_e32 0, v0
	s_cbranch_execz .LBB8_125
; %bb.124:
	s_add_i32 s2, s16, s17
	s_delay_alu instid0(SALU_CYCLE_1)
	v_dual_mov_b32 v0, 0 :: v_dual_mov_b32 v1, s2
	global_atomic_min_i32 v0, v1, s[10:11]
.LBB8_125:
	s_or_b32 exec_lo, exec_lo, s1
	s_delay_alu instid0(SALU_CYCLE_1)
	s_or_b32 s3, s3, exec_lo
.LBB8_126:
	s_or_b32 exec_lo, exec_lo, s0
	s_and_saveexec_b32 s0, s3
	s_cbranch_execz .LBB8_120
.LBB8_127:
	v_dual_mov_b32 v0, 0 :: v_dual_mov_b32 v1, 1
	s_add_u32 s0, s6, s8
	s_addc_u32 s1, s7, s9
	s_waitcnt_vscnt null, 0x0
	global_store_b32 v0, v1, s[0:1]
	s_nop 0
	s_sendmsg sendmsg(MSG_DEALLOC_VGPRS)
	s_endpgm
	.section	.rodata,"a",@progbits
	.p2align	6, 0x0
	.amdhsa_kernel _ZN9rocsparseL26bsric0_2_8_unrolled_kernelILi49ELi32ELi7EfEEv20rocsparse_direction_iiPKiS3_PT2_S3_PiS3_S6_21rocsparse_index_base_
		.amdhsa_group_segment_fixed_size 1280
		.amdhsa_private_segment_fixed_size 0
		.amdhsa_kernarg_size 76
		.amdhsa_user_sgpr_count 15
		.amdhsa_user_sgpr_dispatch_ptr 0
		.amdhsa_user_sgpr_queue_ptr 0
		.amdhsa_user_sgpr_kernarg_segment_ptr 1
		.amdhsa_user_sgpr_dispatch_id 0
		.amdhsa_user_sgpr_private_segment_size 0
		.amdhsa_wavefront_size32 1
		.amdhsa_uses_dynamic_stack 0
		.amdhsa_enable_private_segment 0
		.amdhsa_system_sgpr_workgroup_id_x 1
		.amdhsa_system_sgpr_workgroup_id_y 0
		.amdhsa_system_sgpr_workgroup_id_z 0
		.amdhsa_system_sgpr_workgroup_info 0
		.amdhsa_system_vgpr_workitem_id 1
		.amdhsa_next_free_vgpr 47
		.amdhsa_next_free_sgpr 37
		.amdhsa_reserve_vcc 1
		.amdhsa_float_round_mode_32 0
		.amdhsa_float_round_mode_16_64 0
		.amdhsa_float_denorm_mode_32 3
		.amdhsa_float_denorm_mode_16_64 3
		.amdhsa_dx10_clamp 1
		.amdhsa_ieee_mode 1
		.amdhsa_fp16_overflow 0
		.amdhsa_workgroup_processor_mode 1
		.amdhsa_memory_ordered 1
		.amdhsa_forward_progress 0
		.amdhsa_shared_vgpr_count 0
		.amdhsa_exception_fp_ieee_invalid_op 0
		.amdhsa_exception_fp_denorm_src 0
		.amdhsa_exception_fp_ieee_div_zero 0
		.amdhsa_exception_fp_ieee_overflow 0
		.amdhsa_exception_fp_ieee_underflow 0
		.amdhsa_exception_fp_ieee_inexact 0
		.amdhsa_exception_int_div_zero 0
	.end_amdhsa_kernel
	.section	.text._ZN9rocsparseL26bsric0_2_8_unrolled_kernelILi49ELi32ELi7EfEEv20rocsparse_direction_iiPKiS3_PT2_S3_PiS3_S6_21rocsparse_index_base_,"axG",@progbits,_ZN9rocsparseL26bsric0_2_8_unrolled_kernelILi49ELi32ELi7EfEEv20rocsparse_direction_iiPKiS3_PT2_S3_PiS3_S6_21rocsparse_index_base_,comdat
.Lfunc_end8:
	.size	_ZN9rocsparseL26bsric0_2_8_unrolled_kernelILi49ELi32ELi7EfEEv20rocsparse_direction_iiPKiS3_PT2_S3_PiS3_S6_21rocsparse_index_base_, .Lfunc_end8-_ZN9rocsparseL26bsric0_2_8_unrolled_kernelILi49ELi32ELi7EfEEv20rocsparse_direction_iiPKiS3_PT2_S3_PiS3_S6_21rocsparse_index_base_
                                        ; -- End function
	.section	.AMDGPU.csdata,"",@progbits
; Kernel info:
; codeLenInByte = 8260
; NumSgprs: 39
; NumVgprs: 47
; ScratchSize: 0
; MemoryBound: 0
; FloatMode: 240
; IeeeMode: 1
; LDSByteSize: 1280 bytes/workgroup (compile time only)
; SGPRBlocks: 4
; VGPRBlocks: 5
; NumSGPRsForWavesPerEU: 39
; NumVGPRsForWavesPerEU: 47
; Occupancy: 16
; WaveLimiterHint : 1
; COMPUTE_PGM_RSRC2:SCRATCH_EN: 0
; COMPUTE_PGM_RSRC2:USER_SGPR: 15
; COMPUTE_PGM_RSRC2:TRAP_HANDLER: 0
; COMPUTE_PGM_RSRC2:TGID_X_EN: 1
; COMPUTE_PGM_RSRC2:TGID_Y_EN: 0
; COMPUTE_PGM_RSRC2:TGID_Z_EN: 0
; COMPUTE_PGM_RSRC2:TIDIG_COMP_CNT: 1
	.section	.text._ZN9rocsparseL26bsric0_2_8_unrolled_kernelILi64ELi32ELi8EfEEv20rocsparse_direction_iiPKiS3_PT2_S3_PiS3_S6_21rocsparse_index_base_,"axG",@progbits,_ZN9rocsparseL26bsric0_2_8_unrolled_kernelILi64ELi32ELi8EfEEv20rocsparse_direction_iiPKiS3_PT2_S3_PiS3_S6_21rocsparse_index_base_,comdat
	.globl	_ZN9rocsparseL26bsric0_2_8_unrolled_kernelILi64ELi32ELi8EfEEv20rocsparse_direction_iiPKiS3_PT2_S3_PiS3_S6_21rocsparse_index_base_ ; -- Begin function _ZN9rocsparseL26bsric0_2_8_unrolled_kernelILi64ELi32ELi8EfEEv20rocsparse_direction_iiPKiS3_PT2_S3_PiS3_S6_21rocsparse_index_base_
	.p2align	8
	.type	_ZN9rocsparseL26bsric0_2_8_unrolled_kernelILi64ELi32ELi8EfEEv20rocsparse_direction_iiPKiS3_PT2_S3_PiS3_S6_21rocsparse_index_base_,@function
_ZN9rocsparseL26bsric0_2_8_unrolled_kernelILi64ELi32ELi8EfEEv20rocsparse_direction_iiPKiS3_PT2_S3_PiS3_S6_21rocsparse_index_base_: ; @_ZN9rocsparseL26bsric0_2_8_unrolled_kernelILi64ELi32ELi8EfEEv20rocsparse_direction_iiPKiS3_PT2_S3_PiS3_S6_21rocsparse_index_base_
; %bb.0:
	s_load_b256 s[4:11], s[0:1], 0x28
	s_mov_b32 s2, s15
	s_mov_b32 s3, 0
	v_and_b32_e32 v4, 0x3ff, v0
	s_lshl_b64 s[12:13], s[2:3], 2
	v_bfe_u32 v5, v0, 10, 10
	s_waitcnt lgkmcnt(0)
	s_add_u32 s8, s8, s12
	s_addc_u32 s9, s9, s13
	s_load_b32 s16, s[8:9], 0x0
	s_waitcnt lgkmcnt(0)
	s_ashr_i32 s17, s16, 31
	s_delay_alu instid0(SALU_CYCLE_1) | instskip(NEXT) | instid1(SALU_CYCLE_1)
	s_lshl_b64 s[8:9], s[16:17], 2
	s_add_u32 s12, s4, s8
	s_addc_u32 s13, s5, s9
	s_load_b32 s26, s[12:13], 0x0
	s_load_b32 s17, s[0:1], 0x48
	s_waitcnt lgkmcnt(0)
	s_cmp_lg_u32 s26, -1
	s_cbranch_scc0 .LBB9_6
; %bb.1:
	s_clause 0x1
	s_load_b128 s[12:15], s[0:1], 0x10
	s_load_b64 s[18:19], s[0:1], 0x20
	v_lshlrev_b32_e32 v10, 3, v5
	v_lshlrev_b32_e32 v3, 2, v4
	s_delay_alu instid0(VALU_DEP_2)
	v_add_nc_u32_e32 v9, v10, v4
	s_waitcnt lgkmcnt(0)
	s_add_u32 s2, s12, s8
	s_addc_u32 s3, s13, s9
	s_load_b32 s2, s[2:3], 0x0
	s_mov_b32 s3, exec_lo
	s_waitcnt lgkmcnt(0)
	s_sub_i32 s27, s2, s17
	s_delay_alu instid0(SALU_CYCLE_1) | instskip(NEXT) | instid1(VALU_DEP_1)
	v_add_nc_u32_e32 v0, s27, v9
	v_cmpx_ge_i32_e64 s26, v0
	s_cbranch_execz .LBB9_4
; %bb.2:
	v_ashrrev_i32_e32 v1, 31, v0
	v_lshlrev_b32_e32 v6, 5, v5
	s_mov_b32 s20, 0
	s_delay_alu instid0(VALU_DEP_2) | instskip(NEXT) | instid1(VALU_DEP_2)
	v_lshlrev_b64 v[1:2], 2, v[0:1]
	v_add3_u32 v6, v6, v3, 0x580
	s_delay_alu instid0(VALU_DEP_2) | instskip(NEXT) | instid1(VALU_DEP_3)
	v_add_co_u32 v1, vcc_lo, s14, v1
	v_add_co_ci_u32_e32 v2, vcc_lo, s15, v2, vcc_lo
	.p2align	6
.LBB9_3:                                ; =>This Inner Loop Header: Depth=1
	global_load_b32 v7, v[1:2], off
	v_add_nc_u32_e32 v0, 64, v0
	v_add_co_u32 v1, vcc_lo, 0x100, v1
	v_add_co_ci_u32_e32 v2, vcc_lo, 0, v2, vcc_lo
	s_delay_alu instid0(VALU_DEP_3) | instskip(NEXT) | instid1(VALU_DEP_1)
	v_cmp_lt_i32_e64 s2, s26, v0
	s_or_b32 s20, s2, s20
	s_waitcnt vmcnt(0)
	v_subrev_nc_u32_e32 v7, s17, v7
	ds_store_b32 v6, v7
	v_add_nc_u32_e32 v6, 0x100, v6
	s_and_not1_b32 exec_lo, exec_lo, s20
	s_cbranch_execnz .LBB9_3
.LBB9_4:
	s_or_b32 exec_lo, exec_lo, s3
	v_mad_u32_u24 v8, v5, 36, v3
	v_mov_b32_e32 v0, 0
	s_cmp_lt_i32 s27, s26
	ds_store_b32 v8, v0 offset:864
	s_waitcnt lgkmcnt(0)
	buffer_gl0_inv
	s_cbranch_scc1 .LBB9_7
; %bb.5:
	v_lshl_add_u32 v11, v4, 3, v5
	v_or_b32_e32 v6, v4, v5
	s_load_b32 s1, s[0:1], 0x0
	v_add_nc_u32_e32 v7, 0x360, v8
	s_cbranch_execz .LBB9_8
	s_branch .LBB9_65
.LBB9_6:
	s_cbranch_execnz .LBB9_130
	s_branch .LBB9_135
.LBB9_7:
                                        ; implicit-def: $vgpr11
                                        ; implicit-def: $vgpr6
	s_load_b32 s1, s[0:1], 0x0
	v_add_nc_u32_e32 v7, 0x360, v8
.LBB9_8:
	v_dual_mov_b32 v19, 0 :: v_dual_lshlrev_b32 v12, 3, v4
	v_mad_u32_u24 v13, v5, 36, 0x240
	v_mad_u32_u24 v14, v5, 36, 0x120
	v_or_b32_e32 v6, v4, v5
	s_delay_alu instid0(VALU_DEP_4)
	v_add_nc_u32_e32 v11, v12, v5
	s_waitcnt lgkmcnt(0)
	s_cmp_eq_u32 s1, 0
	v_mad_u32_u24 v17, v4, 36, 0x240
	s_cselect_b32 vcc_lo, -1, 0
	v_dual_cndmask_b32 v18, v11, v9 :: v_dual_add_nc_u32 v15, v13, v3
	v_add_nc_u32_e32 v16, v14, v3
	v_cmp_ne_u32_e64 s0, 0, v6
	s_cmp_lg_u32 s1, 0
	s_mov_b32 s2, s27
	s_cselect_b32 s28, -1, 0
	s_branch .LBB9_12
.LBB9_9:                                ;   in Loop: Header=BB9_12 Depth=1
	s_or_b32 exec_lo, exec_lo, s21
	v_mov_b32_e32 v3, 1.0
.LBB9_10:                               ;   in Loop: Header=BB9_12 Depth=1
	s_or_b32 exec_lo, exec_lo, s20
	ds_load_2addr_b32 v[20:21], v13 offset1:1
	ds_load_2addr_b32 v[22:23], v19 offset0:63 offset1:64
	ds_load_b32 v32, v14 offset:28
	ds_load_2addr_b32 v[24:25], v19 offset0:65 offset1:66
	ds_load_2addr_b32 v[26:27], v13 offset0:2 offset1:3
	;; [unrolled: 1-line block ×4, first 2 shown]
	s_add_i32 s2, s2, 1
	s_delay_alu instid0(SALU_CYCLE_1) | instskip(SKIP_3) | instid1(VALU_DEP_1)
	s_cmp_ge_i32 s2, s26
	s_cselect_b32 s24, -1, 0
	s_waitcnt lgkmcnt(4)
	v_fmac_f32_e32 v32, v22, v20
	v_fmac_f32_e32 v32, v23, v21
	ds_load_b32 v20, v13 offset:24
	ds_load_b32 v21, v19 offset:276
	s_waitcnt lgkmcnt(4)
	v_fmac_f32_e32 v32, v24, v26
	s_delay_alu instid0(VALU_DEP_1) | instskip(SKIP_1) | instid1(VALU_DEP_1)
	v_fmac_f32_e32 v32, v25, v27
	s_waitcnt lgkmcnt(2)
	v_fmac_f32_e32 v32, v28, v30
	s_delay_alu instid0(VALU_DEP_1) | instskip(SKIP_1) | instid1(VALU_DEP_1)
	v_fmac_f32_e32 v32, v29, v31
	s_waitcnt lgkmcnt(0)
	v_fmac_f32_e32 v32, v21, v20
	s_delay_alu instid0(VALU_DEP_1) | instskip(NEXT) | instid1(VALU_DEP_1)
	v_sub_f32_e32 v2, v2, v32
	v_div_scale_f32 v20, null, v3, v3, v2
	v_div_scale_f32 v23, vcc_lo, v2, v3, v2
	s_delay_alu instid0(VALU_DEP_2) | instskip(SKIP_2) | instid1(VALU_DEP_1)
	v_rcp_f32_e32 v21, v20
	s_waitcnt_depctr 0xfff
	v_fma_f32 v22, -v20, v21, 1.0
	v_fmac_f32_e32 v21, v22, v21
	s_delay_alu instid0(VALU_DEP_1) | instskip(NEXT) | instid1(VALU_DEP_1)
	v_mul_f32_e32 v22, v23, v21
	v_fma_f32 v24, -v20, v22, v23
	s_delay_alu instid0(VALU_DEP_1) | instskip(NEXT) | instid1(VALU_DEP_1)
	v_fmac_f32_e32 v22, v24, v21
	v_fma_f32 v20, -v20, v22, v23
	s_delay_alu instid0(VALU_DEP_1) | instskip(NEXT) | instid1(VALU_DEP_1)
	v_div_fmas_f32 v20, v20, v21, v22
	v_div_fixup_f32 v2, v20, v3, v2
	ds_store_b32 v13, v2 offset:28
	s_waitcnt lgkmcnt(0)
	s_waitcnt_vscnt null, 0x0
	buffer_gl0_inv
	ds_load_b32 v3, v17 offset:28
	ds_load_b32 v20, v7
	s_waitcnt lgkmcnt(0)
	v_fmac_f32_e32 v20, v2, v3
	ds_store_b32 v7, v20
	s_waitcnt lgkmcnt(0)
	buffer_gl0_inv
	ds_load_b32 v2, v15
	s_waitcnt lgkmcnt(0)
	global_store_b32 v[0:1], v2, off
	s_waitcnt_vscnt null, 0x0
	buffer_gl1_inv
	buffer_gl0_inv
.LBB9_11:                               ;   in Loop: Header=BB9_12 Depth=1
	s_and_b32 vcc_lo, exec_lo, s24
	s_cbranch_vccnz .LBB9_65
.LBB9_12:                               ; =>This Loop Header: Depth=1
                                        ;     Child Loop BB9_15 Depth 2
                                        ;     Child Loop BB9_26 Depth 2
	s_ashr_i32 s3, s2, 31
	s_delay_alu instid0(SALU_CYCLE_1) | instskip(NEXT) | instid1(SALU_CYCLE_1)
	s_lshl_b64 s[20:21], s[2:3], 2
	s_add_u32 s20, s14, s20
	s_addc_u32 s21, s15, s21
	s_load_b32 s3, s[20:21], 0x0
	s_waitcnt lgkmcnt(0)
	s_sub_i32 s22, s3, s17
	s_delay_alu instid0(SALU_CYCLE_1) | instskip(NEXT) | instid1(SALU_CYCLE_1)
	s_ashr_i32 s23, s22, 31
	s_lshl_b64 s[20:21], s[22:23], 2
	s_delay_alu instid0(SALU_CYCLE_1)
	s_add_u32 s24, s4, s20
	s_addc_u32 s25, s5, s21
	s_load_b32 s23, s[24:25], 0x0
	s_mov_b32 s24, -1
	s_waitcnt lgkmcnt(0)
	s_cmp_eq_u32 s23, -1
	s_cbranch_scc1 .LBB9_11
; %bb.13:                               ;   in Loop: Header=BB9_12 Depth=1
	v_lshl_add_u32 v0, s2, 6, v18
	s_add_u32 s24, s12, s20
	s_addc_u32 s25, s13, s21
	ds_load_b32 v3, v19 offset:1408
	s_load_b32 s24, s[24:25], 0x0
	v_ashrrev_i32_e32 v1, 31, v0
	s_delay_alu instid0(VALU_DEP_1) | instskip(NEXT) | instid1(VALU_DEP_1)
	v_lshlrev_b64 v[0:1], 2, v[0:1]
	v_add_co_u32 v0, vcc_lo, s18, v0
	s_delay_alu instid0(VALU_DEP_2) | instskip(SKIP_4) | instid1(SALU_CYCLE_1)
	v_add_co_ci_u32_e32 v1, vcc_lo, s19, v1, vcc_lo
	s_waitcnt lgkmcnt(0)
	v_cmp_ge_i32_e32 vcc_lo, s22, v3
	global_load_b32 v2, v[0:1], off
	s_sub_i32 s24, s24, s17
	s_cmp_le_i32 s24, s23
	s_cselect_b32 s25, -1, 0
	s_delay_alu instid0(SALU_CYCLE_1) | instskip(NEXT) | instid1(SALU_CYCLE_1)
	s_and_b32 s25, s25, vcc_lo
	s_and_not1_b32 vcc_lo, exec_lo, s25
	s_mov_b32 s25, 0
	s_waitcnt vmcnt(0)
	ds_store_b32 v15, v2
	s_cbranch_vccnz .LBB9_25
; %bb.14:                               ;   in Loop: Header=BB9_12 Depth=1
	s_mov_b32 s29, 0
	s_mov_b32 s30, 0
.LBB9_15:                               ;   Parent Loop BB9_12 Depth=1
                                        ; =>  This Inner Loop Header: Depth=2
	s_ashr_i32 s25, s24, 31
                                        ; implicit-def: $sgpr33
	s_delay_alu instid0(SALU_CYCLE_1) | instskip(NEXT) | instid1(SALU_CYCLE_1)
	s_lshl_b64 s[34:35], s[24:25], 2
	s_add_u32 s34, s14, s34
	s_addc_u32 s35, s15, s35
	s_lshl_b32 s25, s30, 2
	s_delay_alu instid0(SALU_CYCLE_1)
	v_mov_b32_e32 v2, s25
	s_load_b32 s25, s[34:35], 0x0
	s_mov_b32 s35, -1
                                        ; implicit-def: $sgpr34
	ds_load_b32 v2, v2 offset:1408
	s_waitcnt lgkmcnt(0)
	s_sub_i32 s36, s25, s17
                                        ; implicit-def: $sgpr25
	s_delay_alu instid0(SALU_CYCLE_1)
	v_cmp_ge_i32_e32 vcc_lo, s36, v2
	v_readfirstlane_b32 s31, v2
	s_cbranch_vccz .LBB9_21
; %bb.16:                               ;   in Loop: Header=BB9_15 Depth=2
	s_delay_alu instid0(VALU_DEP_1)
	s_cmp_le_i32 s36, s31
                                        ; implicit-def: $sgpr25
                                        ; implicit-def: $sgpr34
                                        ; implicit-def: $sgpr33
	s_cbranch_scc0 .LBB9_18
; %bb.17:                               ;   in Loop: Header=BB9_15 Depth=2
	s_add_i32 s25, s30, s27
	s_lshl_b32 s33, s29, 2
	s_lshl_b32 s25, s25, 6
	;; [unrolled: 1-line block ×3, first 2 shown]
	s_delay_alu instid0(SALU_CYCLE_1)
	v_dual_mov_b32 v2, s25 :: v_dual_mov_b32 v3, s34
	v_add_nc_u32_e64 v20, 0x400, s33
	s_add_i32 s33, s30, 1
	s_add_i32 s34, s24, 1
	s_add_i32 s25, s29, 1
	s_mov_b32 s35, 0
	ds_store_2addr_b32 v20, v3, v2 offset0:32 offset1:64
.LBB9_18:                               ;   in Loop: Header=BB9_15 Depth=2
	s_and_not1_b32 vcc_lo, exec_lo, s35
	s_cbranch_vccnz .LBB9_20
; %bb.19:                               ;   in Loop: Header=BB9_15 Depth=2
	s_add_i32 s33, s30, 1
	s_mov_b32 s25, s29
	s_mov_b32 s34, s24
.LBB9_20:                               ;   in Loop: Header=BB9_15 Depth=2
	s_mov_b32 s35, 0
.LBB9_21:                               ;   in Loop: Header=BB9_15 Depth=2
	s_delay_alu instid0(SALU_CYCLE_1)
	s_and_not1_b32 vcc_lo, exec_lo, s35
	s_cbranch_vccnz .LBB9_23
; %bb.22:                               ;   in Loop: Header=BB9_15 Depth=2
	s_add_i32 s34, s24, 1
	s_mov_b32 s33, s30
	s_mov_b32 s25, s29
.LBB9_23:                               ;   in Loop: Header=BB9_15 Depth=2
	s_cmp_le_i32 s34, s23
	s_cselect_b32 s24, -1, 0
	s_cmp_le_i32 s31, s22
	s_cselect_b32 s29, -1, 0
	s_delay_alu instid0(SALU_CYCLE_1) | instskip(NEXT) | instid1(SALU_CYCLE_1)
	s_and_b32 s24, s24, s29
	s_and_b32 vcc_lo, exec_lo, s24
	s_cbranch_vccz .LBB9_25
; %bb.24:                               ;   in Loop: Header=BB9_15 Depth=2
	s_mov_b32 s29, s25
	s_mov_b32 s24, s34
	;; [unrolled: 1-line block ×3, first 2 shown]
	s_branch .LBB9_15
.LBB9_25:                               ;   in Loop: Header=BB9_12 Depth=1
	s_add_u32 s20, s6, s20
	s_addc_u32 s21, s7, s21
	s_waitcnt lgkmcnt(0)
	buffer_gl0_inv
.LBB9_26:                               ;   Parent Loop BB9_12 Depth=1
                                        ; =>  This Inner Loop Header: Depth=2
	global_load_b32 v2, v19, s[20:21] glc
	s_waitcnt vmcnt(0)
	v_cmp_eq_u32_e32 vcc_lo, 0, v2
	s_cbranch_vccnz .LBB9_26
; %bb.27:                               ;   in Loop: Header=BB9_12 Depth=1
	v_lshl_add_u32 v2, s23, 6, v18
	buffer_gl1_inv
	buffer_gl0_inv
	v_mov_b32_e32 v21, 0
	s_cmp_lt_i32 s25, 2
	v_ashrrev_i32_e32 v3, 31, v2
	s_delay_alu instid0(VALU_DEP_1) | instskip(NEXT) | instid1(VALU_DEP_1)
	v_lshlrev_b64 v[2:3], 2, v[2:3]
	v_add_co_u32 v2, vcc_lo, s18, v2
	s_delay_alu instid0(VALU_DEP_2)
	v_add_co_ci_u32_e32 v3, vcc_lo, s19, v3, vcc_lo
	global_load_b32 v2, v[2:3], off
	s_waitcnt vmcnt(0)
	ds_store_b32 v8, v2
	s_waitcnt lgkmcnt(0)
	buffer_gl0_inv
	s_cbranch_scc1 .LBB9_34
; %bb.28:                               ;   in Loop: Header=BB9_12 Depth=1
	v_mov_b32_e32 v20, 0
	s_add_i32 s20, s25, -1
	s_movk_i32 s21, 0x480
	s_delay_alu instid0(SALU_CYCLE_1)
	v_mov_b32_e32 v2, s21
	s_and_b32 vcc_lo, exec_lo, s28
	ds_load_2addr_b32 v[2:3], v2 offset1:32
	s_cbranch_vccz .LBB9_30
.LBB9_29:                               ;   in Loop: Header=BB9_12 Depth=1
	s_waitcnt lgkmcnt(0)
	v_add_nc_u32_e32 v21, v2, v4
	v_add_nc_u32_e32 v23, v3, v5
	s_delay_alu instid0(VALU_DEP_2) | instskip(SKIP_1) | instid1(VALU_DEP_3)
	v_ashrrev_i32_e32 v22, 31, v21
	v_add_nc_u32_e32 v25, 8, v21
	v_ashrrev_i32_e32 v24, 31, v23
	v_add_nc_u32_e32 v27, 8, v23
	v_add_nc_u32_e32 v31, 16, v21
	v_lshlrev_b64 v[29:30], 2, v[21:22]
	v_ashrrev_i32_e32 v26, 31, v25
	v_lshlrev_b64 v[32:33], 2, v[23:24]
	v_ashrrev_i32_e32 v28, 31, v27
	v_add_nc_u32_e32 v36, 16, v23
	v_add_nc_u32_e32 v38, 24, v21
	v_add_co_u32 v29, vcc_lo, s18, v29
	v_lshlrev_b64 v[24:25], 2, v[25:26]
	v_add_co_ci_u32_e32 v30, vcc_lo, s19, v30, vcc_lo
	v_add_co_u32 v34, vcc_lo, s18, v32
	v_ashrrev_i32_e32 v32, 31, v31
	v_lshlrev_b64 v[26:27], 2, v[27:28]
	v_ashrrev_i32_e32 v37, 31, v36
	v_add_co_ci_u32_e32 v35, vcc_lo, s19, v33, vcc_lo
	v_add_nc_u32_e32 v40, 24, v23
	v_add_co_u32 v24, vcc_lo, s18, v24
	v_lshlrev_b64 v[31:32], 2, v[31:32]
	v_ashrrev_i32_e32 v39, 31, v38
	v_add_co_ci_u32_e32 v25, vcc_lo, s19, v25, vcc_lo
	v_add_co_u32 v26, vcc_lo, s18, v26
	v_lshlrev_b64 v[36:37], 2, v[36:37]
	v_ashrrev_i32_e32 v41, 31, v40
	v_add_co_ci_u32_e32 v27, vcc_lo, s19, v27, vcc_lo
	v_add_co_u32 v31, vcc_lo, s18, v31
	v_lshlrev_b64 v[38:39], 2, v[38:39]
	v_add_co_ci_u32_e32 v32, vcc_lo, s19, v32, vcc_lo
	v_add_nc_u32_e32 v42, 32, v21
	v_add_co_u32 v36, vcc_lo, s18, v36
	v_lshlrev_b64 v[40:41], 2, v[40:41]
	v_add_co_ci_u32_e32 v37, vcc_lo, s19, v37, vcc_lo
	v_add_nc_u32_e32 v44, 32, v23
	v_add_co_u32 v38, vcc_lo, s18, v38
	v_ashrrev_i32_e32 v43, 31, v42
	v_add_co_ci_u32_e32 v39, vcc_lo, s19, v39, vcc_lo
	v_add_nc_u32_e32 v28, 40, v21
	v_add_co_u32 v40, vcc_lo, s18, v40
	v_ashrrev_i32_e32 v45, 31, v44
	v_add_co_ci_u32_e32 v41, vcc_lo, s19, v41, vcc_lo
	s_clause 0x7
	global_load_b32 v46, v[29:30], off
	global_load_b32 v47, v[34:35], off
	;; [unrolled: 1-line block ×8, first 2 shown]
	v_add_nc_u32_e32 v26, 40, v23
	v_lshlrev_b64 v[42:43], 2, v[42:43]
	v_ashrrev_i32_e32 v29, 31, v28
	v_lshlrev_b64 v[24:25], 2, v[44:45]
	v_add_nc_u32_e32 v32, 48, v21
	v_ashrrev_i32_e32 v27, 31, v26
	v_add_nc_u32_e32 v34, 48, v23
	v_add_co_u32 v30, vcc_lo, s18, v42
	v_lshlrev_b64 v[28:29], 2, v[28:29]
	v_add_co_ci_u32_e32 v31, vcc_lo, s19, v43, vcc_lo
	v_add_co_u32 v24, vcc_lo, s18, v24
	v_lshlrev_b64 v[26:27], 2, v[26:27]
	v_add_co_ci_u32_e32 v25, vcc_lo, s19, v25, vcc_lo
	v_add_co_u32 v28, vcc_lo, s18, v28
	v_ashrrev_i32_e32 v33, 31, v32
	v_add_co_ci_u32_e32 v29, vcc_lo, s19, v29, vcc_lo
	v_add_co_u32 v26, vcc_lo, s18, v26
	v_ashrrev_i32_e32 v35, 31, v34
	v_add_nc_u32_e32 v21, 56, v21
	v_add_co_ci_u32_e32 v27, vcc_lo, s19, v27, vcc_lo
	v_lshlrev_b64 v[32:33], 2, v[32:33]
	s_clause 0x3
	global_load_b32 v30, v[30:31], off
	global_load_b32 v31, v[24:25], off
	;; [unrolled: 1-line block ×4, first 2 shown]
	v_add_nc_u32_e32 v26, 56, v23
	v_lshlrev_b64 v[24:25], 2, v[34:35]
	v_ashrrev_i32_e32 v22, 31, v21
	v_add_co_u32 v28, vcc_lo, s18, v32
	s_delay_alu instid0(VALU_DEP_4) | instskip(SKIP_1) | instid1(VALU_DEP_4)
	v_ashrrev_i32_e32 v27, 31, v26
	v_add_co_ci_u32_e32 v29, vcc_lo, s19, v33, vcc_lo
	v_lshlrev_b64 v[21:22], 2, v[21:22]
	v_add_co_u32 v23, vcc_lo, s18, v24
	v_add_co_ci_u32_e32 v24, vcc_lo, s19, v25, vcc_lo
	v_lshlrev_b64 v[25:26], 2, v[26:27]
	s_delay_alu instid0(VALU_DEP_4) | instskip(SKIP_1) | instid1(VALU_DEP_3)
	v_add_co_u32 v21, vcc_lo, s18, v21
	v_add_co_ci_u32_e32 v22, vcc_lo, s19, v22, vcc_lo
	v_add_co_u32 v25, vcc_lo, s18, v25
	s_delay_alu instid0(VALU_DEP_4)
	v_add_co_ci_u32_e32 v26, vcc_lo, s19, v26, vcc_lo
	s_clause 0x3
	global_load_b32 v27, v[28:29], off
	global_load_b32 v23, v[23:24], off
	;; [unrolled: 1-line block ×4, first 2 shown]
	s_waitcnt vmcnt(14)
	v_fma_f32 v21, v46, v47, v20
	s_waitcnt vmcnt(12)
	s_delay_alu instid0(VALU_DEP_1) | instskip(SKIP_1) | instid1(VALU_DEP_1)
	v_fmac_f32_e32 v21, v48, v49
	s_waitcnt vmcnt(10)
	v_fmac_f32_e32 v21, v50, v36
	s_waitcnt vmcnt(8)
	s_delay_alu instid0(VALU_DEP_1) | instskip(SKIP_1) | instid1(VALU_DEP_1)
	v_fmac_f32_e32 v21, v37, v38
	s_waitcnt vmcnt(6)
	v_fmac_f32_e32 v21, v30, v31
	;; [unrolled: 5-line block ×3, first 2 shown]
	s_waitcnt vmcnt(0)
	s_delay_alu instid0(VALU_DEP_1)
	v_fmac_f32_e32 v21, v22, v24
	s_cbranch_execz .LBB9_31
	s_branch .LBB9_32
.LBB9_30:                               ;   in Loop: Header=BB9_12 Depth=1
                                        ; implicit-def: $vgpr21
.LBB9_31:                               ;   in Loop: Header=BB9_12 Depth=1
	s_waitcnt lgkmcnt(0)
	v_add_nc_u32_e32 v2, v2, v12
	v_add_nc_u32_e32 v21, v3, v10
	s_delay_alu instid0(VALU_DEP_2) | instskip(NEXT) | instid1(VALU_DEP_2)
	v_ashrrev_i32_e32 v3, 31, v2
	v_ashrrev_i32_e32 v22, 31, v21
	s_delay_alu instid0(VALU_DEP_2) | instskip(NEXT) | instid1(VALU_DEP_2)
	v_lshlrev_b64 v[2:3], 2, v[2:3]
	v_lshlrev_b64 v[21:22], 2, v[21:22]
	s_delay_alu instid0(VALU_DEP_2) | instskip(NEXT) | instid1(VALU_DEP_3)
	v_add_co_u32 v2, vcc_lo, s18, v2
	v_add_co_ci_u32_e32 v3, vcc_lo, s19, v3, vcc_lo
	s_delay_alu instid0(VALU_DEP_3) | instskip(NEXT) | instid1(VALU_DEP_4)
	v_add_co_u32 v33, vcc_lo, s18, v21
	v_add_co_ci_u32_e32 v34, vcc_lo, s19, v22, vcc_lo
	s_clause 0x3
	global_load_b128 v[21:24], v[2:3], off
	global_load_b128 v[25:28], v[33:34], off
	global_load_b128 v[29:32], v[2:3], off offset:16
	global_load_b128 v[33:36], v[33:34], off offset:16
	s_waitcnt vmcnt(2)
	v_fmac_f32_e32 v20, v21, v25
	s_delay_alu instid0(VALU_DEP_1) | instskip(NEXT) | instid1(VALU_DEP_1)
	v_fmac_f32_e32 v20, v22, v26
	v_fmac_f32_e32 v20, v23, v27
	s_delay_alu instid0(VALU_DEP_1) | instskip(SKIP_1) | instid1(VALU_DEP_1)
	v_fmac_f32_e32 v20, v24, v28
	s_waitcnt vmcnt(0)
	v_fmac_f32_e32 v20, v29, v33
	s_delay_alu instid0(VALU_DEP_1) | instskip(NEXT) | instid1(VALU_DEP_1)
	v_fmac_f32_e32 v20, v30, v34
	v_fmac_f32_e32 v20, v31, v35
	s_delay_alu instid0(VALU_DEP_1) | instskip(NEXT) | instid1(VALU_DEP_1)
	v_fmac_f32_e32 v20, v32, v36
	v_mov_b32_e32 v21, v20
.LBB9_32:                               ;   in Loop: Header=BB9_12 Depth=1
	s_add_i32 s20, s20, -1
	s_add_i32 s21, s21, 4
	s_cmp_eq_u32 s20, 0
	s_cbranch_scc1 .LBB9_34
; %bb.33:                               ;   in Loop: Header=BB9_12 Depth=1
	v_mov_b32_e32 v20, v21
	s_waitcnt lgkmcnt(0)
	v_mov_b32_e32 v2, s21
	s_and_b32 vcc_lo, exec_lo, s28
	ds_load_2addr_b32 v[2:3], v2 offset1:32
	s_cbranch_vccz .LBB9_30
	s_branch .LBB9_29
.LBB9_34:                               ;   in Loop: Header=BB9_12 Depth=1
	ds_store_b32 v16, v21
	s_waitcnt lgkmcnt(0)
	buffer_gl0_inv
	ds_load_b32 v3, v19
	ds_load_b32 v2, v13
	s_waitcnt lgkmcnt(1)
	v_cmp_neq_f32_e32 vcc_lo, 0, v3
	v_cndmask_b32_e32 v3, 1.0, v3, vcc_lo
	s_or_b32 s20, vcc_lo, s0
	s_delay_alu instid0(SALU_CYCLE_1) | instskip(NEXT) | instid1(SALU_CYCLE_1)
	s_xor_b32 s21, s20, -1
	s_and_saveexec_b32 s20, s21
	s_cbranch_execz .LBB9_38
; %bb.35:                               ;   in Loop: Header=BB9_12 Depth=1
	v_mbcnt_lo_u32_b32 v3, exec_lo, 0
	s_mov_b32 s21, exec_lo
	s_delay_alu instid0(VALU_DEP_1)
	v_cmpx_eq_u32_e32 0, v3
	s_cbranch_execz .LBB9_37
; %bb.36:                               ;   in Loop: Header=BB9_12 Depth=1
	v_mov_b32_e32 v3, s3
	global_atomic_min_i32 v19, v3, s[10:11]
.LBB9_37:                               ;   in Loop: Header=BB9_12 Depth=1
	s_or_b32 exec_lo, exec_lo, s21
	v_mov_b32_e32 v3, 1.0
.LBB9_38:                               ;   in Loop: Header=BB9_12 Depth=1
	s_or_b32 exec_lo, exec_lo, s20
	ds_load_b32 v20, v14
	s_waitcnt lgkmcnt(0)
	v_sub_f32_e32 v2, v2, v20
	s_delay_alu instid0(VALU_DEP_1) | instskip(SKIP_1) | instid1(VALU_DEP_2)
	v_div_scale_f32 v20, null, v3, v3, v2
	v_div_scale_f32 v23, vcc_lo, v2, v3, v2
	v_rcp_f32_e32 v21, v20
	s_waitcnt_depctr 0xfff
	v_fma_f32 v22, -v20, v21, 1.0
	s_delay_alu instid0(VALU_DEP_1) | instskip(NEXT) | instid1(VALU_DEP_1)
	v_fmac_f32_e32 v21, v22, v21
	v_mul_f32_e32 v22, v23, v21
	s_delay_alu instid0(VALU_DEP_1) | instskip(NEXT) | instid1(VALU_DEP_1)
	v_fma_f32 v24, -v20, v22, v23
	v_fmac_f32_e32 v22, v24, v21
	s_delay_alu instid0(VALU_DEP_1) | instskip(NEXT) | instid1(VALU_DEP_1)
	v_fma_f32 v20, -v20, v22, v23
	v_div_fmas_f32 v20, v20, v21, v22
	s_delay_alu instid0(VALU_DEP_1)
	v_div_fixup_f32 v2, v20, v3, v2
	ds_store_b32 v13, v2
	s_waitcnt lgkmcnt(0)
	s_waitcnt_vscnt null, 0x0
	buffer_gl0_inv
	ds_load_b32 v3, v17
	ds_load_b32 v20, v7
	s_waitcnt lgkmcnt(0)
	v_fmac_f32_e32 v20, v2, v3
	ds_store_b32 v7, v20
	s_waitcnt lgkmcnt(0)
	buffer_gl0_inv
	ds_load_b32 v3, v19 offset:40
	ds_load_b32 v2, v13 offset:4
	s_waitcnt lgkmcnt(1)
	v_cmp_neq_f32_e32 vcc_lo, 0, v3
	v_cndmask_b32_e32 v3, 1.0, v3, vcc_lo
	s_or_b32 s20, vcc_lo, s0
	s_delay_alu instid0(SALU_CYCLE_1) | instskip(NEXT) | instid1(SALU_CYCLE_1)
	s_xor_b32 s21, s20, -1
	s_and_saveexec_b32 s20, s21
	s_cbranch_execz .LBB9_42
; %bb.39:                               ;   in Loop: Header=BB9_12 Depth=1
	v_mbcnt_lo_u32_b32 v3, exec_lo, 0
	s_mov_b32 s21, exec_lo
	s_delay_alu instid0(VALU_DEP_1)
	v_cmpx_eq_u32_e32 0, v3
	s_cbranch_execz .LBB9_41
; %bb.40:                               ;   in Loop: Header=BB9_12 Depth=1
	v_mov_b32_e32 v3, s3
	global_atomic_min_i32 v19, v3, s[10:11]
.LBB9_41:                               ;   in Loop: Header=BB9_12 Depth=1
	s_or_b32 exec_lo, exec_lo, s21
	v_mov_b32_e32 v3, 1.0
.LBB9_42:                               ;   in Loop: Header=BB9_12 Depth=1
	s_or_b32 exec_lo, exec_lo, s20
	ds_load_b32 v20, v13
	ds_load_b32 v21, v19 offset:36
	ds_load_b32 v22, v14 offset:4
	s_waitcnt lgkmcnt(0)
	v_fmac_f32_e32 v22, v21, v20
	s_delay_alu instid0(VALU_DEP_1) | instskip(NEXT) | instid1(VALU_DEP_1)
	v_sub_f32_e32 v2, v2, v22
	v_div_scale_f32 v20, null, v3, v3, v2
	v_div_scale_f32 v23, vcc_lo, v2, v3, v2
	s_delay_alu instid0(VALU_DEP_2) | instskip(SKIP_2) | instid1(VALU_DEP_1)
	v_rcp_f32_e32 v21, v20
	s_waitcnt_depctr 0xfff
	v_fma_f32 v22, -v20, v21, 1.0
	v_fmac_f32_e32 v21, v22, v21
	s_delay_alu instid0(VALU_DEP_1) | instskip(NEXT) | instid1(VALU_DEP_1)
	v_mul_f32_e32 v22, v23, v21
	v_fma_f32 v24, -v20, v22, v23
	s_delay_alu instid0(VALU_DEP_1) | instskip(NEXT) | instid1(VALU_DEP_1)
	v_fmac_f32_e32 v22, v24, v21
	v_fma_f32 v20, -v20, v22, v23
	s_delay_alu instid0(VALU_DEP_1) | instskip(NEXT) | instid1(VALU_DEP_1)
	v_div_fmas_f32 v20, v20, v21, v22
	v_div_fixup_f32 v2, v20, v3, v2
	ds_store_b32 v13, v2 offset:4
	s_waitcnt lgkmcnt(0)
	s_waitcnt_vscnt null, 0x0
	buffer_gl0_inv
	ds_load_b32 v3, v17 offset:4
	ds_load_b32 v20, v7
	s_waitcnt lgkmcnt(0)
	v_fmac_f32_e32 v20, v2, v3
	ds_store_b32 v7, v20
	s_waitcnt lgkmcnt(0)
	buffer_gl0_inv
	ds_load_b32 v3, v19 offset:80
	ds_load_b32 v2, v13 offset:8
	s_waitcnt lgkmcnt(1)
	v_cmp_neq_f32_e32 vcc_lo, 0, v3
	v_cndmask_b32_e32 v3, 1.0, v3, vcc_lo
	s_or_b32 s20, vcc_lo, s0
	s_delay_alu instid0(SALU_CYCLE_1) | instskip(NEXT) | instid1(SALU_CYCLE_1)
	s_xor_b32 s21, s20, -1
	s_and_saveexec_b32 s20, s21
	s_cbranch_execz .LBB9_46
; %bb.43:                               ;   in Loop: Header=BB9_12 Depth=1
	v_mbcnt_lo_u32_b32 v3, exec_lo, 0
	s_mov_b32 s21, exec_lo
	s_delay_alu instid0(VALU_DEP_1)
	v_cmpx_eq_u32_e32 0, v3
	s_cbranch_execz .LBB9_45
; %bb.44:                               ;   in Loop: Header=BB9_12 Depth=1
	v_mov_b32_e32 v3, s3
	global_atomic_min_i32 v19, v3, s[10:11]
.LBB9_45:                               ;   in Loop: Header=BB9_12 Depth=1
	s_or_b32 exec_lo, exec_lo, s21
	v_mov_b32_e32 v3, 1.0
.LBB9_46:                               ;   in Loop: Header=BB9_12 Depth=1
	s_or_b32 exec_lo, exec_lo, s20
	ds_load_2addr_b32 v[20:21], v13 offset1:1
	ds_load_b64 v[22:23], v19 offset:72
	ds_load_b32 v24, v14 offset:8
	s_waitcnt lgkmcnt(0)
	v_fmac_f32_e32 v24, v22, v20
	s_delay_alu instid0(VALU_DEP_1) | instskip(NEXT) | instid1(VALU_DEP_1)
	v_fmac_f32_e32 v24, v23, v21
	v_sub_f32_e32 v2, v2, v24
	s_delay_alu instid0(VALU_DEP_1) | instskip(SKIP_1) | instid1(VALU_DEP_2)
	v_div_scale_f32 v20, null, v3, v3, v2
	v_div_scale_f32 v23, vcc_lo, v2, v3, v2
	v_rcp_f32_e32 v21, v20
	s_waitcnt_depctr 0xfff
	v_fma_f32 v22, -v20, v21, 1.0
	s_delay_alu instid0(VALU_DEP_1) | instskip(NEXT) | instid1(VALU_DEP_1)
	v_fmac_f32_e32 v21, v22, v21
	v_mul_f32_e32 v22, v23, v21
	s_delay_alu instid0(VALU_DEP_1) | instskip(NEXT) | instid1(VALU_DEP_1)
	v_fma_f32 v24, -v20, v22, v23
	v_fmac_f32_e32 v22, v24, v21
	s_delay_alu instid0(VALU_DEP_1) | instskip(NEXT) | instid1(VALU_DEP_1)
	v_fma_f32 v20, -v20, v22, v23
	v_div_fmas_f32 v20, v20, v21, v22
	s_delay_alu instid0(VALU_DEP_1)
	v_div_fixup_f32 v2, v20, v3, v2
	ds_store_b32 v13, v2 offset:8
	s_waitcnt lgkmcnt(0)
	s_waitcnt_vscnt null, 0x0
	buffer_gl0_inv
	ds_load_b32 v3, v17 offset:8
	ds_load_b32 v20, v7
	s_waitcnt lgkmcnt(0)
	v_fmac_f32_e32 v20, v2, v3
	ds_store_b32 v7, v20
	s_waitcnt lgkmcnt(0)
	buffer_gl0_inv
	ds_load_b32 v3, v19 offset:120
	ds_load_b32 v2, v13 offset:12
	s_waitcnt lgkmcnt(1)
	v_cmp_neq_f32_e32 vcc_lo, 0, v3
	v_cndmask_b32_e32 v3, 1.0, v3, vcc_lo
	s_or_b32 s20, vcc_lo, s0
	s_delay_alu instid0(SALU_CYCLE_1) | instskip(NEXT) | instid1(SALU_CYCLE_1)
	s_xor_b32 s21, s20, -1
	s_and_saveexec_b32 s20, s21
	s_cbranch_execz .LBB9_50
; %bb.47:                               ;   in Loop: Header=BB9_12 Depth=1
	v_mbcnt_lo_u32_b32 v3, exec_lo, 0
	s_mov_b32 s21, exec_lo
	s_delay_alu instid0(VALU_DEP_1)
	v_cmpx_eq_u32_e32 0, v3
	s_cbranch_execz .LBB9_49
; %bb.48:                               ;   in Loop: Header=BB9_12 Depth=1
	v_mov_b32_e32 v3, s3
	global_atomic_min_i32 v19, v3, s[10:11]
.LBB9_49:                               ;   in Loop: Header=BB9_12 Depth=1
	s_or_b32 exec_lo, exec_lo, s21
	v_mov_b32_e32 v3, 1.0
.LBB9_50:                               ;   in Loop: Header=BB9_12 Depth=1
	s_or_b32 exec_lo, exec_lo, s20
	ds_load_2addr_b32 v[20:21], v19 offset0:27 offset1:28
	ds_load_b32 v24, v14 offset:12
	ds_load_2addr_b32 v[22:23], v13 offset1:1
	ds_load_b32 v25, v13 offset:8
	ds_load_b32 v26, v19 offset:116
	s_waitcnt lgkmcnt(2)
	v_fmac_f32_e32 v24, v20, v22
	s_delay_alu instid0(VALU_DEP_1) | instskip(SKIP_1) | instid1(VALU_DEP_1)
	v_fmac_f32_e32 v24, v21, v23
	s_waitcnt lgkmcnt(0)
	v_fmac_f32_e32 v24, v26, v25
	s_delay_alu instid0(VALU_DEP_1) | instskip(NEXT) | instid1(VALU_DEP_1)
	v_sub_f32_e32 v2, v2, v24
	v_div_scale_f32 v20, null, v3, v3, v2
	v_div_scale_f32 v23, vcc_lo, v2, v3, v2
	s_delay_alu instid0(VALU_DEP_2) | instskip(SKIP_2) | instid1(VALU_DEP_1)
	v_rcp_f32_e32 v21, v20
	s_waitcnt_depctr 0xfff
	v_fma_f32 v22, -v20, v21, 1.0
	v_fmac_f32_e32 v21, v22, v21
	s_delay_alu instid0(VALU_DEP_1) | instskip(NEXT) | instid1(VALU_DEP_1)
	v_mul_f32_e32 v22, v23, v21
	v_fma_f32 v24, -v20, v22, v23
	s_delay_alu instid0(VALU_DEP_1) | instskip(NEXT) | instid1(VALU_DEP_1)
	v_fmac_f32_e32 v22, v24, v21
	v_fma_f32 v20, -v20, v22, v23
	s_delay_alu instid0(VALU_DEP_1) | instskip(NEXT) | instid1(VALU_DEP_1)
	v_div_fmas_f32 v20, v20, v21, v22
	v_div_fixup_f32 v2, v20, v3, v2
	ds_store_b32 v13, v2 offset:12
	s_waitcnt lgkmcnt(0)
	s_waitcnt_vscnt null, 0x0
	buffer_gl0_inv
	ds_load_b32 v3, v17 offset:12
	ds_load_b32 v20, v7
	s_waitcnt lgkmcnt(0)
	v_fmac_f32_e32 v20, v2, v3
	ds_store_b32 v7, v20
	s_waitcnt lgkmcnt(0)
	buffer_gl0_inv
	ds_load_b32 v3, v19 offset:160
	ds_load_b32 v2, v13 offset:16
	s_waitcnt lgkmcnt(1)
	v_cmp_neq_f32_e32 vcc_lo, 0, v3
	v_cndmask_b32_e32 v3, 1.0, v3, vcc_lo
	s_or_b32 s20, vcc_lo, s0
	s_delay_alu instid0(SALU_CYCLE_1) | instskip(NEXT) | instid1(SALU_CYCLE_1)
	s_xor_b32 s21, s20, -1
	s_and_saveexec_b32 s20, s21
	s_cbranch_execz .LBB9_54
; %bb.51:                               ;   in Loop: Header=BB9_12 Depth=1
	v_mbcnt_lo_u32_b32 v3, exec_lo, 0
	s_mov_b32 s21, exec_lo
	s_delay_alu instid0(VALU_DEP_1)
	v_cmpx_eq_u32_e32 0, v3
	s_cbranch_execz .LBB9_53
; %bb.52:                               ;   in Loop: Header=BB9_12 Depth=1
	v_mov_b32_e32 v3, s3
	global_atomic_min_i32 v19, v3, s[10:11]
.LBB9_53:                               ;   in Loop: Header=BB9_12 Depth=1
	s_or_b32 exec_lo, exec_lo, s21
	v_mov_b32_e32 v3, 1.0
.LBB9_54:                               ;   in Loop: Header=BB9_12 Depth=1
	s_or_b32 exec_lo, exec_lo, s20
	ds_load_b128 v[20:23], v19 offset:144
	ds_load_b32 v28, v14 offset:16
	ds_load_2addr_b32 v[24:25], v13 offset1:1
	ds_load_2addr_b32 v[26:27], v13 offset0:2 offset1:3
	s_waitcnt lgkmcnt(1)
	v_fmac_f32_e32 v28, v20, v24
	s_delay_alu instid0(VALU_DEP_1) | instskip(SKIP_1) | instid1(VALU_DEP_1)
	v_fmac_f32_e32 v28, v21, v25
	s_waitcnt lgkmcnt(0)
	v_fmac_f32_e32 v28, v22, v26
	s_delay_alu instid0(VALU_DEP_1) | instskip(NEXT) | instid1(VALU_DEP_1)
	v_fmac_f32_e32 v28, v23, v27
	v_sub_f32_e32 v2, v2, v28
	s_delay_alu instid0(VALU_DEP_1) | instskip(SKIP_1) | instid1(VALU_DEP_2)
	v_div_scale_f32 v20, null, v3, v3, v2
	v_div_scale_f32 v23, vcc_lo, v2, v3, v2
	v_rcp_f32_e32 v21, v20
	s_waitcnt_depctr 0xfff
	v_fma_f32 v22, -v20, v21, 1.0
	s_delay_alu instid0(VALU_DEP_1) | instskip(NEXT) | instid1(VALU_DEP_1)
	v_fmac_f32_e32 v21, v22, v21
	v_mul_f32_e32 v22, v23, v21
	s_delay_alu instid0(VALU_DEP_1) | instskip(NEXT) | instid1(VALU_DEP_1)
	v_fma_f32 v24, -v20, v22, v23
	v_fmac_f32_e32 v22, v24, v21
	s_delay_alu instid0(VALU_DEP_1) | instskip(NEXT) | instid1(VALU_DEP_1)
	v_fma_f32 v20, -v20, v22, v23
	v_div_fmas_f32 v20, v20, v21, v22
	s_delay_alu instid0(VALU_DEP_1)
	v_div_fixup_f32 v2, v20, v3, v2
	ds_store_b32 v13, v2 offset:16
	s_waitcnt lgkmcnt(0)
	s_waitcnt_vscnt null, 0x0
	buffer_gl0_inv
	ds_load_b32 v3, v17 offset:16
	ds_load_b32 v20, v7
	s_waitcnt lgkmcnt(0)
	v_fmac_f32_e32 v20, v2, v3
	ds_store_b32 v7, v20
	s_waitcnt lgkmcnt(0)
	buffer_gl0_inv
	ds_load_b32 v3, v19 offset:200
	ds_load_b32 v2, v13 offset:20
	s_waitcnt lgkmcnt(1)
	v_cmp_neq_f32_e32 vcc_lo, 0, v3
	v_cndmask_b32_e32 v3, 1.0, v3, vcc_lo
	s_or_b32 s20, vcc_lo, s0
	s_delay_alu instid0(SALU_CYCLE_1) | instskip(NEXT) | instid1(SALU_CYCLE_1)
	s_xor_b32 s21, s20, -1
	s_and_saveexec_b32 s20, s21
	s_cbranch_execz .LBB9_58
; %bb.55:                               ;   in Loop: Header=BB9_12 Depth=1
	v_mbcnt_lo_u32_b32 v3, exec_lo, 0
	s_mov_b32 s21, exec_lo
	s_delay_alu instid0(VALU_DEP_1)
	v_cmpx_eq_u32_e32 0, v3
	s_cbranch_execz .LBB9_57
; %bb.56:                               ;   in Loop: Header=BB9_12 Depth=1
	v_mov_b32_e32 v3, s3
	global_atomic_min_i32 v19, v3, s[10:11]
.LBB9_57:                               ;   in Loop: Header=BB9_12 Depth=1
	s_or_b32 exec_lo, exec_lo, s21
	v_mov_b32_e32 v3, 1.0
.LBB9_58:                               ;   in Loop: Header=BB9_12 Depth=1
	s_or_b32 exec_lo, exec_lo, s20
	ds_load_2addr_b32 v[20:21], v19 offset0:45 offset1:46
	ds_load_2addr_b32 v[22:23], v13 offset1:1
	ds_load_b32 v28, v14 offset:20
	ds_load_2addr_b32 v[24:25], v19 offset0:47 offset1:48
	ds_load_2addr_b32 v[26:27], v13 offset0:2 offset1:3
	ds_load_b32 v29, v13 offset:16
	ds_load_b32 v30, v19 offset:196
	s_waitcnt lgkmcnt(4)
	v_fmac_f32_e32 v28, v20, v22
	s_delay_alu instid0(VALU_DEP_1) | instskip(SKIP_1) | instid1(VALU_DEP_1)
	v_fmac_f32_e32 v28, v21, v23
	s_waitcnt lgkmcnt(2)
	v_fmac_f32_e32 v28, v24, v26
	s_delay_alu instid0(VALU_DEP_1) | instskip(SKIP_1) | instid1(VALU_DEP_1)
	v_fmac_f32_e32 v28, v25, v27
	s_waitcnt lgkmcnt(0)
	v_fmac_f32_e32 v28, v30, v29
	s_delay_alu instid0(VALU_DEP_1) | instskip(NEXT) | instid1(VALU_DEP_1)
	v_sub_f32_e32 v2, v2, v28
	v_div_scale_f32 v20, null, v3, v3, v2
	v_div_scale_f32 v23, vcc_lo, v2, v3, v2
	s_delay_alu instid0(VALU_DEP_2) | instskip(SKIP_2) | instid1(VALU_DEP_1)
	v_rcp_f32_e32 v21, v20
	s_waitcnt_depctr 0xfff
	v_fma_f32 v22, -v20, v21, 1.0
	v_fmac_f32_e32 v21, v22, v21
	s_delay_alu instid0(VALU_DEP_1) | instskip(NEXT) | instid1(VALU_DEP_1)
	v_mul_f32_e32 v22, v23, v21
	v_fma_f32 v24, -v20, v22, v23
	s_delay_alu instid0(VALU_DEP_1) | instskip(NEXT) | instid1(VALU_DEP_1)
	v_fmac_f32_e32 v22, v24, v21
	v_fma_f32 v20, -v20, v22, v23
	s_delay_alu instid0(VALU_DEP_1) | instskip(NEXT) | instid1(VALU_DEP_1)
	v_div_fmas_f32 v20, v20, v21, v22
	v_div_fixup_f32 v2, v20, v3, v2
	ds_store_b32 v13, v2 offset:20
	s_waitcnt lgkmcnt(0)
	s_waitcnt_vscnt null, 0x0
	buffer_gl0_inv
	ds_load_b32 v3, v17 offset:20
	ds_load_b32 v20, v7
	s_waitcnt lgkmcnt(0)
	v_fmac_f32_e32 v20, v2, v3
	ds_store_b32 v7, v20
	s_waitcnt lgkmcnt(0)
	buffer_gl0_inv
	ds_load_b32 v3, v19 offset:240
	ds_load_b32 v2, v13 offset:24
	s_waitcnt lgkmcnt(1)
	v_cmp_neq_f32_e32 vcc_lo, 0, v3
	v_cndmask_b32_e32 v3, 1.0, v3, vcc_lo
	s_or_b32 s20, vcc_lo, s0
	s_delay_alu instid0(SALU_CYCLE_1) | instskip(NEXT) | instid1(SALU_CYCLE_1)
	s_xor_b32 s21, s20, -1
	s_and_saveexec_b32 s20, s21
	s_cbranch_execz .LBB9_62
; %bb.59:                               ;   in Loop: Header=BB9_12 Depth=1
	v_mbcnt_lo_u32_b32 v3, exec_lo, 0
	s_mov_b32 s21, exec_lo
	s_delay_alu instid0(VALU_DEP_1)
	v_cmpx_eq_u32_e32 0, v3
	s_cbranch_execz .LBB9_61
; %bb.60:                               ;   in Loop: Header=BB9_12 Depth=1
	v_mov_b32_e32 v3, s3
	global_atomic_min_i32 v19, v3, s[10:11]
.LBB9_61:                               ;   in Loop: Header=BB9_12 Depth=1
	s_or_b32 exec_lo, exec_lo, s21
	v_mov_b32_e32 v3, 1.0
.LBB9_62:                               ;   in Loop: Header=BB9_12 Depth=1
	s_or_b32 exec_lo, exec_lo, s20
	ds_load_2addr_b64 v[20:23], v19 offset0:27 offset1:28
	ds_load_2addr_b32 v[24:25], v13 offset1:1
	ds_load_b32 v32, v14 offset:24
	ds_load_2addr_b32 v[26:27], v13 offset0:2 offset1:3
	ds_load_2addr_b32 v[28:29], v13 offset0:4 offset1:5
	ds_load_b64 v[30:31], v19 offset:232
	s_waitcnt lgkmcnt(3)
	v_fmac_f32_e32 v32, v20, v24
	s_delay_alu instid0(VALU_DEP_1) | instskip(SKIP_1) | instid1(VALU_DEP_1)
	v_fmac_f32_e32 v32, v21, v25
	s_waitcnt lgkmcnt(2)
	v_fmac_f32_e32 v32, v22, v26
	s_delay_alu instid0(VALU_DEP_1) | instskip(SKIP_1) | instid1(VALU_DEP_1)
	v_fmac_f32_e32 v32, v23, v27
	s_waitcnt lgkmcnt(0)
	v_fmac_f32_e32 v32, v30, v28
	s_delay_alu instid0(VALU_DEP_1) | instskip(NEXT) | instid1(VALU_DEP_1)
	v_fmac_f32_e32 v32, v31, v29
	v_sub_f32_e32 v2, v2, v32
	s_delay_alu instid0(VALU_DEP_1) | instskip(SKIP_1) | instid1(VALU_DEP_2)
	v_div_scale_f32 v20, null, v3, v3, v2
	v_div_scale_f32 v23, vcc_lo, v2, v3, v2
	v_rcp_f32_e32 v21, v20
	s_waitcnt_depctr 0xfff
	v_fma_f32 v22, -v20, v21, 1.0
	s_delay_alu instid0(VALU_DEP_1) | instskip(NEXT) | instid1(VALU_DEP_1)
	v_fmac_f32_e32 v21, v22, v21
	v_mul_f32_e32 v22, v23, v21
	s_delay_alu instid0(VALU_DEP_1) | instskip(NEXT) | instid1(VALU_DEP_1)
	v_fma_f32 v24, -v20, v22, v23
	v_fmac_f32_e32 v22, v24, v21
	s_delay_alu instid0(VALU_DEP_1) | instskip(NEXT) | instid1(VALU_DEP_1)
	v_fma_f32 v20, -v20, v22, v23
	v_div_fmas_f32 v20, v20, v21, v22
	s_delay_alu instid0(VALU_DEP_1)
	v_div_fixup_f32 v2, v20, v3, v2
	ds_store_b32 v13, v2 offset:24
	s_waitcnt lgkmcnt(0)
	s_waitcnt_vscnt null, 0x0
	buffer_gl0_inv
	ds_load_b32 v3, v17 offset:24
	ds_load_b32 v20, v7
	s_waitcnt lgkmcnt(0)
	v_fmac_f32_e32 v20, v2, v3
	ds_store_b32 v7, v20
	s_waitcnt lgkmcnt(0)
	buffer_gl0_inv
	ds_load_b32 v3, v19 offset:280
	ds_load_b32 v2, v13 offset:28
	s_waitcnt lgkmcnt(1)
	v_cmp_neq_f32_e32 vcc_lo, 0, v3
	v_cndmask_b32_e32 v3, 1.0, v3, vcc_lo
	s_or_b32 s20, vcc_lo, s0
	s_delay_alu instid0(SALU_CYCLE_1) | instskip(NEXT) | instid1(SALU_CYCLE_1)
	s_xor_b32 s21, s20, -1
	s_and_saveexec_b32 s20, s21
	s_cbranch_execz .LBB9_10
; %bb.63:                               ;   in Loop: Header=BB9_12 Depth=1
	v_mbcnt_lo_u32_b32 v3, exec_lo, 0
	s_mov_b32 s21, exec_lo
	s_delay_alu instid0(VALU_DEP_1)
	v_cmpx_eq_u32_e32 0, v3
	s_cbranch_execz .LBB9_9
; %bb.64:                               ;   in Loop: Header=BB9_12 Depth=1
	v_mov_b32_e32 v3, s3
	global_atomic_min_i32 v19, v3, s[10:11]
	s_branch .LBB9_9
.LBB9_65:
	s_waitcnt lgkmcnt(0)
	s_cmp_eq_u32 s1, 0
	s_mov_b32 s2, exec_lo
	s_cselect_b32 vcc_lo, -1, 0
	v_cndmask_b32_e32 v0, v11, v9, vcc_lo
	s_delay_alu instid0(VALU_DEP_1) | instskip(NEXT) | instid1(VALU_DEP_1)
	v_lshl_add_u32 v0, s26, 6, v0
	v_ashrrev_i32_e32 v1, 31, v0
	s_delay_alu instid0(VALU_DEP_1) | instskip(NEXT) | instid1(VALU_DEP_1)
	v_lshlrev_b64 v[0:1], 2, v[0:1]
	v_add_co_u32 v0, vcc_lo, s18, v0
	s_delay_alu instid0(VALU_DEP_2)
	v_add_co_ci_u32_e32 v1, vcc_lo, s19, v1, vcc_lo
	v_cmp_ne_u32_e32 vcc_lo, 0, v5
	global_load_b32 v2, v[0:1], off
	s_waitcnt vmcnt(0)
	ds_store_b32 v8, v2 offset:576
	s_waitcnt lgkmcnt(0)
	buffer_gl0_inv
	v_cmpx_eq_u32_e32 0, v5
	s_cbranch_execz .LBB9_67
; %bb.66:
	v_mov_b32_e32 v9, 0
	ds_load_2addr_b32 v[2:3], v9 offset0:144 offset1:216
	s_waitcnt lgkmcnt(0)
	v_sub_f32_e32 v2, v2, v3
	s_delay_alu instid0(VALU_DEP_1) | instskip(NEXT) | instid1(VALU_DEP_1)
	v_cmp_gt_f32_e64 s0, 0, v2
	v_cndmask_b32_e64 v2, v2, -v2, s0
	s_delay_alu instid0(VALU_DEP_1) | instskip(SKIP_1) | instid1(VALU_DEP_1)
	v_mul_f32_e32 v3, 0x4f800000, v2
	v_cmp_gt_f32_e64 s0, 0xf800000, v2
	v_cndmask_b32_e64 v2, v2, v3, s0
	s_delay_alu instid0(VALU_DEP_1) | instskip(SKIP_3) | instid1(VALU_DEP_2)
	v_sqrt_f32_e32 v3, v2
	s_waitcnt_depctr 0xfff
	v_add_nc_u32_e32 v10, -1, v3
	v_add_nc_u32_e32 v11, 1, v3
	v_fma_f32 v12, -v10, v3, v2
	s_delay_alu instid0(VALU_DEP_2) | instskip(NEXT) | instid1(VALU_DEP_2)
	v_fma_f32 v13, -v11, v3, v2
	v_cmp_ge_f32_e64 s1, 0, v12
	s_delay_alu instid0(VALU_DEP_1) | instskip(NEXT) | instid1(VALU_DEP_3)
	v_cndmask_b32_e64 v3, v3, v10, s1
	v_cmp_lt_f32_e64 s1, 0, v13
	s_delay_alu instid0(VALU_DEP_1) | instskip(NEXT) | instid1(VALU_DEP_1)
	v_cndmask_b32_e64 v3, v3, v11, s1
	v_mul_f32_e32 v10, 0x37800000, v3
	s_delay_alu instid0(VALU_DEP_1) | instskip(SKIP_1) | instid1(VALU_DEP_1)
	v_cndmask_b32_e64 v3, v3, v10, s0
	v_cmp_class_f32_e64 s0, v2, 0x260
	v_cndmask_b32_e64 v2, v3, v2, s0
	ds_store_b32 v9, v2 offset:576
.LBB9_67:
	s_or_b32 exec_lo, exec_lo, s2
	v_mov_b32_e32 v2, 0
	s_waitcnt lgkmcnt(0)
	buffer_gl0_inv
	v_cmp_ne_u32_e64 s0, 0, v6
	s_add_i32 s2, s16, s17
	ds_load_b32 v2, v2 offset:576
	s_waitcnt lgkmcnt(0)
	v_cmp_neq_f32_e64 s1, 0, v2
	s_delay_alu instid0(VALU_DEP_1) | instskip(SKIP_1) | instid1(SALU_CYCLE_1)
	v_cndmask_b32_e64 v2, 1.0, v2, s1
	s_or_b32 s1, s1, s0
	s_xor_b32 s1, s1, -1
	s_delay_alu instid0(SALU_CYCLE_1)
	s_and_saveexec_b32 s3, s1
	s_cbranch_execz .LBB9_71
; %bb.68:
	v_mbcnt_lo_u32_b32 v2, exec_lo, 0
	s_mov_b32 s4, exec_lo
	s_delay_alu instid0(VALU_DEP_1)
	v_cmpx_eq_u32_e32 0, v2
	s_cbranch_execz .LBB9_70
; %bb.69:
	v_dual_mov_b32 v2, 0 :: v_dual_mov_b32 v3, s2
	global_atomic_min_i32 v2, v3, s[10:11]
.LBB9_70:
	s_or_b32 exec_lo, exec_lo, s4
	v_mov_b32_e32 v2, 1.0
.LBB9_71:
	s_or_b32 exec_lo, exec_lo, s3
	s_and_saveexec_b32 s1, vcc_lo
	s_cbranch_execz .LBB9_73
; %bb.72:
	v_mul_u32_u24_e32 v3, 36, v5
	ds_load_2addr_b32 v[9:10], v3 offset0:144 offset1:216
	s_waitcnt lgkmcnt(0)
	v_sub_f32_e32 v9, v9, v10
	s_delay_alu instid0(VALU_DEP_1) | instskip(SKIP_1) | instid1(VALU_DEP_2)
	v_div_scale_f32 v10, null, v2, v2, v9
	v_div_scale_f32 v13, vcc_lo, v9, v2, v9
	v_rcp_f32_e32 v11, v10
	s_waitcnt_depctr 0xfff
	v_fma_f32 v12, -v10, v11, 1.0
	s_delay_alu instid0(VALU_DEP_1) | instskip(NEXT) | instid1(VALU_DEP_1)
	v_fmac_f32_e32 v11, v12, v11
	v_mul_f32_e32 v12, v13, v11
	s_delay_alu instid0(VALU_DEP_1) | instskip(NEXT) | instid1(VALU_DEP_1)
	v_fma_f32 v14, -v10, v12, v13
	v_fmac_f32_e32 v12, v14, v11
	s_delay_alu instid0(VALU_DEP_1) | instskip(NEXT) | instid1(VALU_DEP_1)
	v_fma_f32 v10, -v10, v12, v13
	v_div_fmas_f32 v10, v10, v11, v12
	s_delay_alu instid0(VALU_DEP_1)
	v_div_fixup_f32 v2, v10, v2, v9
	v_mul_u32_u24_e32 v9, 36, v4
	ds_store_b32 v3, v2 offset:576
	s_waitcnt lgkmcnt(0)
	s_waitcnt_vscnt null, 0x0
	buffer_gl0_inv
	ds_load_b32 v3, v9 offset:576
	ds_load_b32 v9, v7
	s_waitcnt lgkmcnt(0)
	v_fmac_f32_e32 v9, v2, v3
	ds_store_b32 v7, v9
.LBB9_73:
	s_or_b32 exec_lo, exec_lo, s1
	s_delay_alu instid0(SALU_CYCLE_1)
	s_mov_b32 s3, exec_lo
	s_waitcnt lgkmcnt(0)
	s_waitcnt_vscnt null, 0x0
	buffer_gl0_inv
	v_cmpx_eq_u32_e32 1, v5
	s_cbranch_execz .LBB9_75
; %bb.74:
	v_mov_b32_e32 v9, 0
	ds_load_2addr_b32 v[2:3], v9 offset0:154 offset1:226
	s_waitcnt lgkmcnt(0)
	v_sub_f32_e32 v2, v2, v3
	s_delay_alu instid0(VALU_DEP_1) | instskip(SKIP_1) | instid1(VALU_DEP_1)
	v_cmp_gt_f32_e32 vcc_lo, 0, v2
	v_cndmask_b32_e64 v2, v2, -v2, vcc_lo
	v_mul_f32_e32 v3, 0x4f800000, v2
	v_cmp_gt_f32_e32 vcc_lo, 0xf800000, v2
	s_delay_alu instid0(VALU_DEP_2) | instskip(NEXT) | instid1(VALU_DEP_1)
	v_cndmask_b32_e32 v2, v2, v3, vcc_lo
	v_sqrt_f32_e32 v3, v2
	s_waitcnt_depctr 0xfff
	v_add_nc_u32_e32 v10, -1, v3
	v_add_nc_u32_e32 v11, 1, v3
	s_delay_alu instid0(VALU_DEP_2) | instskip(NEXT) | instid1(VALU_DEP_2)
	v_fma_f32 v12, -v10, v3, v2
	v_fma_f32 v13, -v11, v3, v2
	s_delay_alu instid0(VALU_DEP_2) | instskip(NEXT) | instid1(VALU_DEP_1)
	v_cmp_ge_f32_e64 s1, 0, v12
	v_cndmask_b32_e64 v3, v3, v10, s1
	s_delay_alu instid0(VALU_DEP_3) | instskip(NEXT) | instid1(VALU_DEP_1)
	v_cmp_lt_f32_e64 s1, 0, v13
	v_cndmask_b32_e64 v3, v3, v11, s1
	s_delay_alu instid0(VALU_DEP_1) | instskip(NEXT) | instid1(VALU_DEP_1)
	v_mul_f32_e32 v10, 0x37800000, v3
	v_cndmask_b32_e32 v3, v3, v10, vcc_lo
	v_cmp_class_f32_e64 vcc_lo, v2, 0x260
	s_delay_alu instid0(VALU_DEP_2)
	v_cndmask_b32_e32 v2, v3, v2, vcc_lo
	ds_store_b32 v9, v2 offset:616
.LBB9_75:
	s_or_b32 exec_lo, exec_lo, s3
	v_mov_b32_e32 v2, 0
	s_waitcnt lgkmcnt(0)
	buffer_gl0_inv
	ds_load_b32 v2, v2 offset:616
	s_waitcnt lgkmcnt(0)
	v_cmp_neq_f32_e32 vcc_lo, 0, v2
	v_cndmask_b32_e32 v2, 1.0, v2, vcc_lo
	s_or_b32 s1, vcc_lo, s0
	s_delay_alu instid0(SALU_CYCLE_1) | instskip(NEXT) | instid1(SALU_CYCLE_1)
	s_xor_b32 s3, s1, -1
	s_and_saveexec_b32 s1, s3
	s_cbranch_execz .LBB9_79
; %bb.76:
	v_mbcnt_lo_u32_b32 v2, exec_lo, 0
	s_mov_b32 s3, exec_lo
	s_delay_alu instid0(VALU_DEP_1)
	v_cmpx_eq_u32_e32 0, v2
	s_cbranch_execz .LBB9_78
; %bb.77:
	v_dual_mov_b32 v2, 0 :: v_dual_mov_b32 v3, s2
	global_atomic_min_i32 v2, v3, s[10:11]
.LBB9_78:
	s_or_b32 exec_lo, exec_lo, s3
	v_mov_b32_e32 v2, 1.0
.LBB9_79:
	s_or_b32 exec_lo, exec_lo, s1
	s_delay_alu instid0(SALU_CYCLE_1)
	s_mov_b32 s1, exec_lo
	v_cmpx_lt_u32_e32 1, v5
	s_cbranch_execz .LBB9_81
; %bb.80:
	v_mul_u32_u24_e32 v3, 36, v5
	ds_load_2addr_b32 v[9:10], v3 offset0:145 offset1:217
	s_waitcnt lgkmcnt(0)
	v_sub_f32_e32 v9, v9, v10
	s_delay_alu instid0(VALU_DEP_1) | instskip(SKIP_1) | instid1(VALU_DEP_2)
	v_div_scale_f32 v10, null, v2, v2, v9
	v_div_scale_f32 v13, vcc_lo, v9, v2, v9
	v_rcp_f32_e32 v11, v10
	s_waitcnt_depctr 0xfff
	v_fma_f32 v12, -v10, v11, 1.0
	s_delay_alu instid0(VALU_DEP_1) | instskip(NEXT) | instid1(VALU_DEP_1)
	v_fmac_f32_e32 v11, v12, v11
	v_mul_f32_e32 v12, v13, v11
	s_delay_alu instid0(VALU_DEP_1) | instskip(NEXT) | instid1(VALU_DEP_1)
	v_fma_f32 v14, -v10, v12, v13
	v_fmac_f32_e32 v12, v14, v11
	s_delay_alu instid0(VALU_DEP_1) | instskip(NEXT) | instid1(VALU_DEP_1)
	v_fma_f32 v10, -v10, v12, v13
	v_div_fmas_f32 v10, v10, v11, v12
	s_delay_alu instid0(VALU_DEP_1)
	v_div_fixup_f32 v2, v10, v2, v9
	v_mul_u32_u24_e32 v9, 36, v4
	ds_store_b32 v3, v2 offset:580
	s_waitcnt lgkmcnt(0)
	s_waitcnt_vscnt null, 0x0
	buffer_gl0_inv
	ds_load_b32 v3, v9 offset:580
	ds_load_b32 v9, v7
	s_waitcnt lgkmcnt(0)
	v_fmac_f32_e32 v9, v2, v3
	ds_store_b32 v7, v9
.LBB9_81:
	s_or_b32 exec_lo, exec_lo, s1
	s_delay_alu instid0(SALU_CYCLE_1)
	s_mov_b32 s3, exec_lo
	s_waitcnt lgkmcnt(0)
	s_waitcnt_vscnt null, 0x0
	buffer_gl0_inv
	v_cmpx_eq_u32_e32 2, v5
	s_cbranch_execz .LBB9_83
; %bb.82:
	v_mov_b32_e32 v9, 0
	ds_load_2addr_b32 v[2:3], v9 offset0:164 offset1:236
	s_waitcnt lgkmcnt(0)
	v_sub_f32_e32 v2, v2, v3
	s_delay_alu instid0(VALU_DEP_1) | instskip(SKIP_1) | instid1(VALU_DEP_1)
	v_cmp_gt_f32_e32 vcc_lo, 0, v2
	v_cndmask_b32_e64 v2, v2, -v2, vcc_lo
	v_mul_f32_e32 v3, 0x4f800000, v2
	v_cmp_gt_f32_e32 vcc_lo, 0xf800000, v2
	s_delay_alu instid0(VALU_DEP_2) | instskip(NEXT) | instid1(VALU_DEP_1)
	v_cndmask_b32_e32 v2, v2, v3, vcc_lo
	v_sqrt_f32_e32 v3, v2
	s_waitcnt_depctr 0xfff
	v_add_nc_u32_e32 v10, -1, v3
	v_add_nc_u32_e32 v11, 1, v3
	s_delay_alu instid0(VALU_DEP_2) | instskip(NEXT) | instid1(VALU_DEP_2)
	v_fma_f32 v12, -v10, v3, v2
	v_fma_f32 v13, -v11, v3, v2
	s_delay_alu instid0(VALU_DEP_2) | instskip(NEXT) | instid1(VALU_DEP_1)
	v_cmp_ge_f32_e64 s1, 0, v12
	v_cndmask_b32_e64 v3, v3, v10, s1
	s_delay_alu instid0(VALU_DEP_3) | instskip(NEXT) | instid1(VALU_DEP_1)
	v_cmp_lt_f32_e64 s1, 0, v13
	v_cndmask_b32_e64 v3, v3, v11, s1
	s_delay_alu instid0(VALU_DEP_1) | instskip(NEXT) | instid1(VALU_DEP_1)
	v_mul_f32_e32 v10, 0x37800000, v3
	v_cndmask_b32_e32 v3, v3, v10, vcc_lo
	v_cmp_class_f32_e64 vcc_lo, v2, 0x260
	s_delay_alu instid0(VALU_DEP_2)
	v_cndmask_b32_e32 v2, v3, v2, vcc_lo
	ds_store_b32 v9, v2 offset:656
.LBB9_83:
	s_or_b32 exec_lo, exec_lo, s3
	v_mov_b32_e32 v2, 0
	s_waitcnt lgkmcnt(0)
	buffer_gl0_inv
	ds_load_b32 v2, v2 offset:656
	s_waitcnt lgkmcnt(0)
	v_cmp_neq_f32_e32 vcc_lo, 0, v2
	v_cndmask_b32_e32 v2, 1.0, v2, vcc_lo
	s_or_b32 s1, vcc_lo, s0
	s_delay_alu instid0(SALU_CYCLE_1) | instskip(NEXT) | instid1(SALU_CYCLE_1)
	s_xor_b32 s3, s1, -1
	s_and_saveexec_b32 s1, s3
	s_cbranch_execz .LBB9_87
; %bb.84:
	v_mbcnt_lo_u32_b32 v2, exec_lo, 0
	s_mov_b32 s3, exec_lo
	s_delay_alu instid0(VALU_DEP_1)
	v_cmpx_eq_u32_e32 0, v2
	s_cbranch_execz .LBB9_86
; %bb.85:
	v_dual_mov_b32 v2, 0 :: v_dual_mov_b32 v3, s2
	global_atomic_min_i32 v2, v3, s[10:11]
.LBB9_86:
	s_or_b32 exec_lo, exec_lo, s3
	v_mov_b32_e32 v2, 1.0
.LBB9_87:
	s_or_b32 exec_lo, exec_lo, s1
	s_delay_alu instid0(SALU_CYCLE_1)
	s_mov_b32 s1, exec_lo
	v_cmpx_lt_u32_e32 2, v5
	s_cbranch_execz .LBB9_89
; %bb.88:
	v_mul_u32_u24_e32 v3, 36, v5
	ds_load_2addr_b32 v[9:10], v3 offset0:146 offset1:218
	s_waitcnt lgkmcnt(0)
	v_sub_f32_e32 v9, v9, v10
	s_delay_alu instid0(VALU_DEP_1) | instskip(SKIP_1) | instid1(VALU_DEP_2)
	v_div_scale_f32 v10, null, v2, v2, v9
	v_div_scale_f32 v13, vcc_lo, v9, v2, v9
	v_rcp_f32_e32 v11, v10
	s_waitcnt_depctr 0xfff
	v_fma_f32 v12, -v10, v11, 1.0
	s_delay_alu instid0(VALU_DEP_1) | instskip(NEXT) | instid1(VALU_DEP_1)
	v_fmac_f32_e32 v11, v12, v11
	v_mul_f32_e32 v12, v13, v11
	s_delay_alu instid0(VALU_DEP_1) | instskip(NEXT) | instid1(VALU_DEP_1)
	v_fma_f32 v14, -v10, v12, v13
	v_fmac_f32_e32 v12, v14, v11
	s_delay_alu instid0(VALU_DEP_1) | instskip(NEXT) | instid1(VALU_DEP_1)
	v_fma_f32 v10, -v10, v12, v13
	v_div_fmas_f32 v10, v10, v11, v12
	s_delay_alu instid0(VALU_DEP_1)
	v_div_fixup_f32 v2, v10, v2, v9
	v_mul_u32_u24_e32 v9, 36, v4
	ds_store_b32 v3, v2 offset:584
	s_waitcnt lgkmcnt(0)
	s_waitcnt_vscnt null, 0x0
	buffer_gl0_inv
	ds_load_b32 v3, v9 offset:584
	ds_load_b32 v9, v7
	s_waitcnt lgkmcnt(0)
	v_fmac_f32_e32 v9, v2, v3
	ds_store_b32 v7, v9
.LBB9_89:
	s_or_b32 exec_lo, exec_lo, s1
	s_delay_alu instid0(SALU_CYCLE_1)
	s_mov_b32 s3, exec_lo
	s_waitcnt lgkmcnt(0)
	s_waitcnt_vscnt null, 0x0
	buffer_gl0_inv
	v_cmpx_eq_u32_e32 3, v5
	s_cbranch_execz .LBB9_91
; %bb.90:
	v_mov_b32_e32 v9, 0
	ds_load_2addr_b32 v[2:3], v9 offset0:174 offset1:246
	s_waitcnt lgkmcnt(0)
	v_sub_f32_e32 v2, v2, v3
	s_delay_alu instid0(VALU_DEP_1) | instskip(SKIP_1) | instid1(VALU_DEP_1)
	v_cmp_gt_f32_e32 vcc_lo, 0, v2
	v_cndmask_b32_e64 v2, v2, -v2, vcc_lo
	v_mul_f32_e32 v3, 0x4f800000, v2
	v_cmp_gt_f32_e32 vcc_lo, 0xf800000, v2
	s_delay_alu instid0(VALU_DEP_2) | instskip(NEXT) | instid1(VALU_DEP_1)
	v_cndmask_b32_e32 v2, v2, v3, vcc_lo
	v_sqrt_f32_e32 v3, v2
	s_waitcnt_depctr 0xfff
	v_add_nc_u32_e32 v10, -1, v3
	v_add_nc_u32_e32 v11, 1, v3
	s_delay_alu instid0(VALU_DEP_2) | instskip(NEXT) | instid1(VALU_DEP_2)
	v_fma_f32 v12, -v10, v3, v2
	v_fma_f32 v13, -v11, v3, v2
	s_delay_alu instid0(VALU_DEP_2) | instskip(NEXT) | instid1(VALU_DEP_1)
	v_cmp_ge_f32_e64 s1, 0, v12
	v_cndmask_b32_e64 v3, v3, v10, s1
	s_delay_alu instid0(VALU_DEP_3) | instskip(NEXT) | instid1(VALU_DEP_1)
	v_cmp_lt_f32_e64 s1, 0, v13
	v_cndmask_b32_e64 v3, v3, v11, s1
	s_delay_alu instid0(VALU_DEP_1) | instskip(NEXT) | instid1(VALU_DEP_1)
	v_mul_f32_e32 v10, 0x37800000, v3
	v_cndmask_b32_e32 v3, v3, v10, vcc_lo
	v_cmp_class_f32_e64 vcc_lo, v2, 0x260
	s_delay_alu instid0(VALU_DEP_2)
	v_cndmask_b32_e32 v2, v3, v2, vcc_lo
	ds_store_b32 v9, v2 offset:696
.LBB9_91:
	s_or_b32 exec_lo, exec_lo, s3
	v_mov_b32_e32 v2, 0
	s_waitcnt lgkmcnt(0)
	buffer_gl0_inv
	ds_load_b32 v2, v2 offset:696
	s_waitcnt lgkmcnt(0)
	v_cmp_neq_f32_e32 vcc_lo, 0, v2
	v_cndmask_b32_e32 v2, 1.0, v2, vcc_lo
	s_or_b32 s1, vcc_lo, s0
	s_delay_alu instid0(SALU_CYCLE_1) | instskip(NEXT) | instid1(SALU_CYCLE_1)
	s_xor_b32 s3, s1, -1
	s_and_saveexec_b32 s1, s3
	s_cbranch_execz .LBB9_95
; %bb.92:
	v_mbcnt_lo_u32_b32 v2, exec_lo, 0
	s_mov_b32 s3, exec_lo
	s_delay_alu instid0(VALU_DEP_1)
	v_cmpx_eq_u32_e32 0, v2
	s_cbranch_execz .LBB9_94
; %bb.93:
	v_dual_mov_b32 v2, 0 :: v_dual_mov_b32 v3, s2
	global_atomic_min_i32 v2, v3, s[10:11]
.LBB9_94:
	s_or_b32 exec_lo, exec_lo, s3
	v_mov_b32_e32 v2, 1.0
.LBB9_95:
	s_or_b32 exec_lo, exec_lo, s1
	s_delay_alu instid0(SALU_CYCLE_1)
	s_mov_b32 s1, exec_lo
	v_cmpx_lt_u32_e32 3, v5
	s_cbranch_execz .LBB9_97
; %bb.96:
	v_mul_u32_u24_e32 v3, 36, v5
	ds_load_2addr_b32 v[9:10], v3 offset0:147 offset1:219
	s_waitcnt lgkmcnt(0)
	v_sub_f32_e32 v9, v9, v10
	s_delay_alu instid0(VALU_DEP_1) | instskip(SKIP_1) | instid1(VALU_DEP_2)
	v_div_scale_f32 v10, null, v2, v2, v9
	v_div_scale_f32 v13, vcc_lo, v9, v2, v9
	v_rcp_f32_e32 v11, v10
	s_waitcnt_depctr 0xfff
	v_fma_f32 v12, -v10, v11, 1.0
	s_delay_alu instid0(VALU_DEP_1) | instskip(NEXT) | instid1(VALU_DEP_1)
	v_fmac_f32_e32 v11, v12, v11
	v_mul_f32_e32 v12, v13, v11
	s_delay_alu instid0(VALU_DEP_1) | instskip(NEXT) | instid1(VALU_DEP_1)
	v_fma_f32 v14, -v10, v12, v13
	v_fmac_f32_e32 v12, v14, v11
	s_delay_alu instid0(VALU_DEP_1) | instskip(NEXT) | instid1(VALU_DEP_1)
	v_fma_f32 v10, -v10, v12, v13
	v_div_fmas_f32 v10, v10, v11, v12
	s_delay_alu instid0(VALU_DEP_1)
	v_div_fixup_f32 v2, v10, v2, v9
	v_mul_u32_u24_e32 v9, 36, v4
	ds_store_b32 v3, v2 offset:588
	s_waitcnt lgkmcnt(0)
	s_waitcnt_vscnt null, 0x0
	buffer_gl0_inv
	ds_load_b32 v3, v9 offset:588
	ds_load_b32 v9, v7
	s_waitcnt lgkmcnt(0)
	v_fmac_f32_e32 v9, v2, v3
	ds_store_b32 v7, v9
.LBB9_97:
	s_or_b32 exec_lo, exec_lo, s1
	s_delay_alu instid0(SALU_CYCLE_1)
	s_mov_b32 s3, exec_lo
	s_waitcnt lgkmcnt(0)
	s_waitcnt_vscnt null, 0x0
	buffer_gl0_inv
	v_cmpx_eq_u32_e32 4, v5
	s_cbranch_execz .LBB9_99
; %bb.98:
	v_add_nc_u32_e64 v2, 0x200, 0
	ds_load_2addr_b32 v[2:3], v2 offset0:56 offset1:128
	s_waitcnt lgkmcnt(0)
	v_sub_f32_e32 v2, v2, v3
	s_delay_alu instid0(VALU_DEP_1) | instskip(SKIP_1) | instid1(VALU_DEP_1)
	v_cmp_gt_f32_e32 vcc_lo, 0, v2
	v_cndmask_b32_e64 v2, v2, -v2, vcc_lo
	v_mul_f32_e32 v3, 0x4f800000, v2
	v_cmp_gt_f32_e32 vcc_lo, 0xf800000, v2
	s_delay_alu instid0(VALU_DEP_2) | instskip(NEXT) | instid1(VALU_DEP_1)
	v_cndmask_b32_e32 v2, v2, v3, vcc_lo
	v_sqrt_f32_e32 v3, v2
	s_waitcnt_depctr 0xfff
	v_add_nc_u32_e32 v9, -1, v3
	v_add_nc_u32_e32 v10, 1, v3
	s_delay_alu instid0(VALU_DEP_2) | instskip(NEXT) | instid1(VALU_DEP_2)
	v_fma_f32 v11, -v9, v3, v2
	v_fma_f32 v12, -v10, v3, v2
	s_delay_alu instid0(VALU_DEP_2) | instskip(NEXT) | instid1(VALU_DEP_1)
	v_cmp_ge_f32_e64 s1, 0, v11
	v_cndmask_b32_e64 v3, v3, v9, s1
	s_delay_alu instid0(VALU_DEP_3) | instskip(NEXT) | instid1(VALU_DEP_1)
	v_cmp_lt_f32_e64 s1, 0, v12
	v_cndmask_b32_e64 v3, v3, v10, s1
	s_delay_alu instid0(VALU_DEP_1) | instskip(NEXT) | instid1(VALU_DEP_1)
	v_mul_f32_e32 v9, 0x37800000, v3
	v_cndmask_b32_e32 v3, v3, v9, vcc_lo
	v_mov_b32_e32 v9, 0
	v_cmp_class_f32_e64 vcc_lo, v2, 0x260
	s_delay_alu instid0(VALU_DEP_3)
	v_cndmask_b32_e32 v2, v3, v2, vcc_lo
	ds_store_b32 v9, v2 offset:736
.LBB9_99:
	s_or_b32 exec_lo, exec_lo, s3
	v_mov_b32_e32 v2, 0
	s_waitcnt lgkmcnt(0)
	buffer_gl0_inv
	ds_load_b32 v2, v2 offset:736
	s_waitcnt lgkmcnt(0)
	v_cmp_neq_f32_e32 vcc_lo, 0, v2
	v_cndmask_b32_e32 v2, 1.0, v2, vcc_lo
	s_or_b32 s1, vcc_lo, s0
	s_delay_alu instid0(SALU_CYCLE_1) | instskip(NEXT) | instid1(SALU_CYCLE_1)
	s_xor_b32 s3, s1, -1
	s_and_saveexec_b32 s1, s3
	s_cbranch_execz .LBB9_103
; %bb.100:
	v_mbcnt_lo_u32_b32 v2, exec_lo, 0
	s_mov_b32 s3, exec_lo
	s_delay_alu instid0(VALU_DEP_1)
	v_cmpx_eq_u32_e32 0, v2
	s_cbranch_execz .LBB9_102
; %bb.101:
	v_dual_mov_b32 v2, 0 :: v_dual_mov_b32 v3, s2
	global_atomic_min_i32 v2, v3, s[10:11]
.LBB9_102:
	s_or_b32 exec_lo, exec_lo, s3
	v_mov_b32_e32 v2, 1.0
.LBB9_103:
	s_or_b32 exec_lo, exec_lo, s1
	s_delay_alu instid0(SALU_CYCLE_1)
	s_mov_b32 s1, exec_lo
	v_cmpx_lt_u32_e32 4, v5
	s_cbranch_execz .LBB9_105
; %bb.104:
	v_mul_u32_u24_e32 v3, 36, v5
	ds_load_2addr_b32 v[9:10], v3 offset0:148 offset1:220
	s_waitcnt lgkmcnt(0)
	v_sub_f32_e32 v9, v9, v10
	s_delay_alu instid0(VALU_DEP_1) | instskip(SKIP_1) | instid1(VALU_DEP_2)
	v_div_scale_f32 v10, null, v2, v2, v9
	v_div_scale_f32 v13, vcc_lo, v9, v2, v9
	v_rcp_f32_e32 v11, v10
	s_waitcnt_depctr 0xfff
	v_fma_f32 v12, -v10, v11, 1.0
	s_delay_alu instid0(VALU_DEP_1) | instskip(NEXT) | instid1(VALU_DEP_1)
	v_fmac_f32_e32 v11, v12, v11
	v_mul_f32_e32 v12, v13, v11
	s_delay_alu instid0(VALU_DEP_1) | instskip(NEXT) | instid1(VALU_DEP_1)
	v_fma_f32 v14, -v10, v12, v13
	v_fmac_f32_e32 v12, v14, v11
	s_delay_alu instid0(VALU_DEP_1) | instskip(NEXT) | instid1(VALU_DEP_1)
	v_fma_f32 v10, -v10, v12, v13
	v_div_fmas_f32 v10, v10, v11, v12
	s_delay_alu instid0(VALU_DEP_1)
	v_div_fixup_f32 v2, v10, v2, v9
	v_mul_u32_u24_e32 v9, 36, v4
	ds_store_b32 v3, v2 offset:592
	s_waitcnt lgkmcnt(0)
	s_waitcnt_vscnt null, 0x0
	buffer_gl0_inv
	ds_load_b32 v3, v9 offset:592
	ds_load_b32 v9, v7
	s_waitcnt lgkmcnt(0)
	v_fmac_f32_e32 v9, v2, v3
	ds_store_b32 v7, v9
.LBB9_105:
	s_or_b32 exec_lo, exec_lo, s1
	s_delay_alu instid0(SALU_CYCLE_1)
	s_mov_b32 s3, exec_lo
	s_waitcnt lgkmcnt(0)
	s_waitcnt_vscnt null, 0x0
	buffer_gl0_inv
	v_cmpx_eq_u32_e32 5, v5
	s_cbranch_execz .LBB9_107
; %bb.106:
	v_add_nc_u32_e64 v2, 0x200, 0
	ds_load_2addr_b32 v[2:3], v2 offset0:66 offset1:138
	s_waitcnt lgkmcnt(0)
	v_sub_f32_e32 v2, v2, v3
	s_delay_alu instid0(VALU_DEP_1) | instskip(SKIP_1) | instid1(VALU_DEP_1)
	v_cmp_gt_f32_e32 vcc_lo, 0, v2
	v_cndmask_b32_e64 v2, v2, -v2, vcc_lo
	v_mul_f32_e32 v3, 0x4f800000, v2
	v_cmp_gt_f32_e32 vcc_lo, 0xf800000, v2
	s_delay_alu instid0(VALU_DEP_2) | instskip(NEXT) | instid1(VALU_DEP_1)
	v_cndmask_b32_e32 v2, v2, v3, vcc_lo
	v_sqrt_f32_e32 v3, v2
	s_waitcnt_depctr 0xfff
	v_add_nc_u32_e32 v9, -1, v3
	v_add_nc_u32_e32 v10, 1, v3
	s_delay_alu instid0(VALU_DEP_2) | instskip(NEXT) | instid1(VALU_DEP_2)
	v_fma_f32 v11, -v9, v3, v2
	v_fma_f32 v12, -v10, v3, v2
	s_delay_alu instid0(VALU_DEP_2) | instskip(NEXT) | instid1(VALU_DEP_1)
	v_cmp_ge_f32_e64 s1, 0, v11
	v_cndmask_b32_e64 v3, v3, v9, s1
	s_delay_alu instid0(VALU_DEP_3) | instskip(NEXT) | instid1(VALU_DEP_1)
	v_cmp_lt_f32_e64 s1, 0, v12
	v_cndmask_b32_e64 v3, v3, v10, s1
	s_delay_alu instid0(VALU_DEP_1) | instskip(NEXT) | instid1(VALU_DEP_1)
	v_mul_f32_e32 v9, 0x37800000, v3
	v_cndmask_b32_e32 v3, v3, v9, vcc_lo
	v_mov_b32_e32 v9, 0
	v_cmp_class_f32_e64 vcc_lo, v2, 0x260
	s_delay_alu instid0(VALU_DEP_3)
	v_cndmask_b32_e32 v2, v3, v2, vcc_lo
	ds_store_b32 v9, v2 offset:776
.LBB9_107:
	s_or_b32 exec_lo, exec_lo, s3
	v_mov_b32_e32 v2, 0
	s_waitcnt lgkmcnt(0)
	buffer_gl0_inv
	ds_load_b32 v2, v2 offset:776
	s_waitcnt lgkmcnt(0)
	v_cmp_neq_f32_e32 vcc_lo, 0, v2
	v_cndmask_b32_e32 v2, 1.0, v2, vcc_lo
	s_or_b32 s1, vcc_lo, s0
	s_delay_alu instid0(SALU_CYCLE_1) | instskip(NEXT) | instid1(SALU_CYCLE_1)
	s_xor_b32 s3, s1, -1
	s_and_saveexec_b32 s1, s3
	s_cbranch_execz .LBB9_111
; %bb.108:
	v_mbcnt_lo_u32_b32 v2, exec_lo, 0
	s_mov_b32 s3, exec_lo
	s_delay_alu instid0(VALU_DEP_1)
	v_cmpx_eq_u32_e32 0, v2
	s_cbranch_execz .LBB9_110
; %bb.109:
	v_dual_mov_b32 v2, 0 :: v_dual_mov_b32 v3, s2
	global_atomic_min_i32 v2, v3, s[10:11]
.LBB9_110:
	s_or_b32 exec_lo, exec_lo, s3
	v_mov_b32_e32 v2, 1.0
.LBB9_111:
	s_or_b32 exec_lo, exec_lo, s1
	s_delay_alu instid0(SALU_CYCLE_1)
	s_mov_b32 s1, exec_lo
	v_cmpx_lt_u32_e32 5, v5
	s_cbranch_execz .LBB9_113
; %bb.112:
	v_mul_u32_u24_e32 v3, 36, v5
	ds_load_2addr_b32 v[9:10], v3 offset0:149 offset1:221
	s_waitcnt lgkmcnt(0)
	v_sub_f32_e32 v9, v9, v10
	s_delay_alu instid0(VALU_DEP_1) | instskip(SKIP_1) | instid1(VALU_DEP_2)
	v_div_scale_f32 v10, null, v2, v2, v9
	v_div_scale_f32 v13, vcc_lo, v9, v2, v9
	v_rcp_f32_e32 v11, v10
	s_waitcnt_depctr 0xfff
	v_fma_f32 v12, -v10, v11, 1.0
	s_delay_alu instid0(VALU_DEP_1) | instskip(NEXT) | instid1(VALU_DEP_1)
	v_fmac_f32_e32 v11, v12, v11
	v_mul_f32_e32 v12, v13, v11
	s_delay_alu instid0(VALU_DEP_1) | instskip(NEXT) | instid1(VALU_DEP_1)
	v_fma_f32 v14, -v10, v12, v13
	v_fmac_f32_e32 v12, v14, v11
	s_delay_alu instid0(VALU_DEP_1) | instskip(NEXT) | instid1(VALU_DEP_1)
	v_fma_f32 v10, -v10, v12, v13
	v_div_fmas_f32 v10, v10, v11, v12
	s_delay_alu instid0(VALU_DEP_1)
	v_div_fixup_f32 v2, v10, v2, v9
	v_mul_u32_u24_e32 v9, 36, v4
	ds_store_b32 v3, v2 offset:596
	s_waitcnt lgkmcnt(0)
	s_waitcnt_vscnt null, 0x0
	buffer_gl0_inv
	ds_load_b32 v3, v9 offset:596
	ds_load_b32 v9, v7
	s_waitcnt lgkmcnt(0)
	v_fmac_f32_e32 v9, v2, v3
	ds_store_b32 v7, v9
.LBB9_113:
	s_or_b32 exec_lo, exec_lo, s1
	s_delay_alu instid0(SALU_CYCLE_1)
	s_mov_b32 s3, exec_lo
	s_waitcnt lgkmcnt(0)
	s_waitcnt_vscnt null, 0x0
	buffer_gl0_inv
	v_cmpx_eq_u32_e32 6, v5
	s_cbranch_execz .LBB9_115
; %bb.114:
	v_add_nc_u32_e64 v2, 0x200, 0
	ds_load_2addr_b32 v[2:3], v2 offset0:76 offset1:148
	s_waitcnt lgkmcnt(0)
	v_sub_f32_e32 v2, v2, v3
	s_delay_alu instid0(VALU_DEP_1) | instskip(SKIP_1) | instid1(VALU_DEP_1)
	v_cmp_gt_f32_e32 vcc_lo, 0, v2
	v_cndmask_b32_e64 v2, v2, -v2, vcc_lo
	v_mul_f32_e32 v3, 0x4f800000, v2
	v_cmp_gt_f32_e32 vcc_lo, 0xf800000, v2
	s_delay_alu instid0(VALU_DEP_2) | instskip(NEXT) | instid1(VALU_DEP_1)
	v_cndmask_b32_e32 v2, v2, v3, vcc_lo
	v_sqrt_f32_e32 v3, v2
	s_waitcnt_depctr 0xfff
	v_add_nc_u32_e32 v9, -1, v3
	v_add_nc_u32_e32 v10, 1, v3
	s_delay_alu instid0(VALU_DEP_2) | instskip(NEXT) | instid1(VALU_DEP_2)
	v_fma_f32 v11, -v9, v3, v2
	v_fma_f32 v12, -v10, v3, v2
	s_delay_alu instid0(VALU_DEP_2) | instskip(NEXT) | instid1(VALU_DEP_1)
	v_cmp_ge_f32_e64 s1, 0, v11
	v_cndmask_b32_e64 v3, v3, v9, s1
	s_delay_alu instid0(VALU_DEP_3) | instskip(NEXT) | instid1(VALU_DEP_1)
	v_cmp_lt_f32_e64 s1, 0, v12
	v_cndmask_b32_e64 v3, v3, v10, s1
	s_delay_alu instid0(VALU_DEP_1) | instskip(NEXT) | instid1(VALU_DEP_1)
	v_mul_f32_e32 v9, 0x37800000, v3
	v_cndmask_b32_e32 v3, v3, v9, vcc_lo
	v_mov_b32_e32 v9, 0
	v_cmp_class_f32_e64 vcc_lo, v2, 0x260
	s_delay_alu instid0(VALU_DEP_3)
	v_cndmask_b32_e32 v2, v3, v2, vcc_lo
	ds_store_b32 v9, v2 offset:816
.LBB9_115:
	s_or_b32 exec_lo, exec_lo, s3
	v_mov_b32_e32 v2, 0
	s_waitcnt lgkmcnt(0)
	buffer_gl0_inv
	ds_load_b32 v2, v2 offset:816
	s_waitcnt lgkmcnt(0)
	v_cmp_neq_f32_e32 vcc_lo, 0, v2
	v_cndmask_b32_e32 v2, 1.0, v2, vcc_lo
	s_or_b32 s1, vcc_lo, s0
	s_delay_alu instid0(SALU_CYCLE_1) | instskip(NEXT) | instid1(SALU_CYCLE_1)
	s_xor_b32 s3, s1, -1
	s_and_saveexec_b32 s1, s3
	s_cbranch_execz .LBB9_119
; %bb.116:
	v_mbcnt_lo_u32_b32 v2, exec_lo, 0
	s_mov_b32 s3, exec_lo
	s_delay_alu instid0(VALU_DEP_1)
	v_cmpx_eq_u32_e32 0, v2
	s_cbranch_execz .LBB9_118
; %bb.117:
	v_dual_mov_b32 v2, 0 :: v_dual_mov_b32 v3, s2
	global_atomic_min_i32 v2, v3, s[10:11]
.LBB9_118:
	s_or_b32 exec_lo, exec_lo, s3
	v_mov_b32_e32 v2, 1.0
.LBB9_119:
	s_or_b32 exec_lo, exec_lo, s1
	s_delay_alu instid0(SALU_CYCLE_1)
	s_mov_b32 s1, exec_lo
	v_cmpx_lt_u32_e32 6, v5
	s_cbranch_execz .LBB9_121
; %bb.120:
	v_mul_u32_u24_e32 v3, 36, v5
	ds_load_2addr_b32 v[9:10], v3 offset0:150 offset1:222
	s_waitcnt lgkmcnt(0)
	v_sub_f32_e32 v9, v9, v10
	s_delay_alu instid0(VALU_DEP_1) | instskip(SKIP_1) | instid1(VALU_DEP_2)
	v_div_scale_f32 v10, null, v2, v2, v9
	v_div_scale_f32 v13, vcc_lo, v9, v2, v9
	v_rcp_f32_e32 v11, v10
	s_waitcnt_depctr 0xfff
	v_fma_f32 v12, -v10, v11, 1.0
	s_delay_alu instid0(VALU_DEP_1) | instskip(NEXT) | instid1(VALU_DEP_1)
	v_fmac_f32_e32 v11, v12, v11
	v_mul_f32_e32 v12, v13, v11
	s_delay_alu instid0(VALU_DEP_1) | instskip(NEXT) | instid1(VALU_DEP_1)
	v_fma_f32 v14, -v10, v12, v13
	v_fmac_f32_e32 v12, v14, v11
	s_delay_alu instid0(VALU_DEP_1) | instskip(NEXT) | instid1(VALU_DEP_1)
	v_fma_f32 v10, -v10, v12, v13
	v_div_fmas_f32 v10, v10, v11, v12
	s_delay_alu instid0(VALU_DEP_1)
	v_div_fixup_f32 v2, v10, v2, v9
	v_mul_u32_u24_e32 v9, 36, v4
	ds_store_b32 v3, v2 offset:600
	s_waitcnt lgkmcnt(0)
	s_waitcnt_vscnt null, 0x0
	buffer_gl0_inv
	ds_load_b32 v3, v9 offset:600
	ds_load_b32 v9, v7
	s_waitcnt lgkmcnt(0)
	v_fmac_f32_e32 v9, v2, v3
	ds_store_b32 v7, v9
.LBB9_121:
	s_or_b32 exec_lo, exec_lo, s1
	s_delay_alu instid0(SALU_CYCLE_1)
	s_mov_b32 s3, exec_lo
	s_waitcnt lgkmcnt(0)
	s_waitcnt_vscnt null, 0x0
	buffer_gl0_inv
	v_cmpx_eq_u32_e32 7, v5
	s_cbranch_execz .LBB9_123
; %bb.122:
	v_add_nc_u32_e64 v2, 0x200, 0
	ds_load_2addr_b32 v[2:3], v2 offset0:86 offset1:158
	s_waitcnt lgkmcnt(0)
	v_sub_f32_e32 v2, v2, v3
	s_delay_alu instid0(VALU_DEP_1) | instskip(SKIP_1) | instid1(VALU_DEP_1)
	v_cmp_gt_f32_e32 vcc_lo, 0, v2
	v_cndmask_b32_e64 v2, v2, -v2, vcc_lo
	v_mul_f32_e32 v3, 0x4f800000, v2
	v_cmp_gt_f32_e32 vcc_lo, 0xf800000, v2
	s_delay_alu instid0(VALU_DEP_2) | instskip(NEXT) | instid1(VALU_DEP_1)
	v_cndmask_b32_e32 v2, v2, v3, vcc_lo
	v_sqrt_f32_e32 v3, v2
	s_waitcnt_depctr 0xfff
	v_add_nc_u32_e32 v9, -1, v3
	v_add_nc_u32_e32 v10, 1, v3
	s_delay_alu instid0(VALU_DEP_2) | instskip(NEXT) | instid1(VALU_DEP_2)
	v_fma_f32 v11, -v9, v3, v2
	v_fma_f32 v12, -v10, v3, v2
	s_delay_alu instid0(VALU_DEP_2) | instskip(NEXT) | instid1(VALU_DEP_1)
	v_cmp_ge_f32_e64 s1, 0, v11
	v_cndmask_b32_e64 v3, v3, v9, s1
	s_delay_alu instid0(VALU_DEP_3) | instskip(NEXT) | instid1(VALU_DEP_1)
	v_cmp_lt_f32_e64 s1, 0, v12
	v_cndmask_b32_e64 v3, v3, v10, s1
	s_delay_alu instid0(VALU_DEP_1) | instskip(NEXT) | instid1(VALU_DEP_1)
	v_mul_f32_e32 v9, 0x37800000, v3
	v_cndmask_b32_e32 v3, v3, v9, vcc_lo
	v_mov_b32_e32 v9, 0
	v_cmp_class_f32_e64 vcc_lo, v2, 0x260
	s_delay_alu instid0(VALU_DEP_3)
	v_cndmask_b32_e32 v2, v3, v2, vcc_lo
	ds_store_b32 v9, v2 offset:856
.LBB9_123:
	s_or_b32 exec_lo, exec_lo, s3
	v_mov_b32_e32 v2, 0
	s_waitcnt lgkmcnt(0)
	buffer_gl0_inv
	ds_load_b32 v2, v2 offset:856
	s_waitcnt lgkmcnt(0)
	v_cmp_neq_f32_e32 vcc_lo, 0, v2
	v_cndmask_b32_e32 v3, 1.0, v2, vcc_lo
	s_or_b32 s0, vcc_lo, s0
	s_delay_alu instid0(SALU_CYCLE_1) | instskip(NEXT) | instid1(SALU_CYCLE_1)
	s_xor_b32 s1, s0, -1
	s_and_saveexec_b32 s0, s1
	s_cbranch_execz .LBB9_127
; %bb.124:
	v_mbcnt_lo_u32_b32 v2, exec_lo, 0
	s_mov_b32 s1, exec_lo
	s_delay_alu instid0(VALU_DEP_1)
	v_cmpx_eq_u32_e32 0, v2
	s_cbranch_execz .LBB9_126
; %bb.125:
	v_dual_mov_b32 v2, 0 :: v_dual_mov_b32 v3, s2
	global_atomic_min_i32 v2, v3, s[10:11]
.LBB9_126:
	s_or_b32 exec_lo, exec_lo, s1
	v_mov_b32_e32 v3, 1.0
.LBB9_127:
	s_or_b32 exec_lo, exec_lo, s0
	v_add_nc_u32_e32 v2, 0x240, v8
	s_mov_b32 s0, exec_lo
	v_cmpx_lt_u32_e32 7, v5
	s_cbranch_execz .LBB9_129
; %bb.128:
	v_mul_u32_u24_e32 v10, 36, v5
	ds_load_2addr_b32 v[8:9], v10 offset0:151 offset1:223
	s_waitcnt lgkmcnt(0)
	v_sub_f32_e32 v8, v8, v9
	s_delay_alu instid0(VALU_DEP_1) | instskip(SKIP_1) | instid1(VALU_DEP_2)
	v_div_scale_f32 v9, null, v3, v3, v8
	v_div_scale_f32 v13, vcc_lo, v8, v3, v8
	v_rcp_f32_e32 v11, v9
	s_waitcnt_depctr 0xfff
	v_fma_f32 v12, -v9, v11, 1.0
	s_delay_alu instid0(VALU_DEP_1) | instskip(NEXT) | instid1(VALU_DEP_1)
	v_fmac_f32_e32 v11, v12, v11
	v_mul_f32_e32 v12, v13, v11
	s_delay_alu instid0(VALU_DEP_1) | instskip(NEXT) | instid1(VALU_DEP_1)
	v_fma_f32 v14, -v9, v12, v13
	v_fmac_f32_e32 v12, v14, v11
	s_delay_alu instid0(VALU_DEP_1) | instskip(NEXT) | instid1(VALU_DEP_1)
	v_fma_f32 v9, -v9, v12, v13
	v_div_fmas_f32 v9, v9, v11, v12
	s_delay_alu instid0(VALU_DEP_1)
	v_div_fixup_f32 v3, v9, v3, v8
	v_mul_u32_u24_e32 v8, 36, v4
	ds_store_b32 v10, v3 offset:604
	s_waitcnt lgkmcnt(0)
	s_waitcnt_vscnt null, 0x0
	buffer_gl0_inv
	ds_load_b32 v8, v8 offset:604
	ds_load_b32 v9, v7
	s_waitcnt lgkmcnt(0)
	v_fmac_f32_e32 v9, v3, v8
	ds_store_b32 v7, v9
.LBB9_129:
	s_or_b32 exec_lo, exec_lo, s0
	s_waitcnt lgkmcnt(0)
	s_waitcnt_vscnt null, 0x0
	buffer_gl0_inv
	ds_load_b32 v2, v2
	v_cmp_eq_u32_e64 s3, 0, v6
	s_waitcnt lgkmcnt(0)
	global_store_b32 v[0:1], v2, off
	s_branch .LBB9_135
.LBB9_130:
	v_or_b32_e32 v0, v4, v5
	s_mov_b32 s0, exec_lo
	s_delay_alu instid0(VALU_DEP_1)
	v_cmpx_eq_u32_e32 0, v0
	s_cbranch_execz .LBB9_134
; %bb.131:
	v_mbcnt_lo_u32_b32 v0, exec_lo, 0
	s_mov_b32 s1, exec_lo
	s_delay_alu instid0(VALU_DEP_1)
	v_cmpx_eq_u32_e32 0, v0
	s_cbranch_execz .LBB9_133
; %bb.132:
	s_add_i32 s2, s16, s17
	s_delay_alu instid0(SALU_CYCLE_1)
	v_dual_mov_b32 v0, 0 :: v_dual_mov_b32 v1, s2
	global_atomic_min_i32 v0, v1, s[10:11]
.LBB9_133:
	s_or_b32 exec_lo, exec_lo, s1
	s_delay_alu instid0(SALU_CYCLE_1)
	s_or_b32 s3, s3, exec_lo
.LBB9_134:
	s_or_b32 exec_lo, exec_lo, s0
.LBB9_135:
	s_and_saveexec_b32 s0, s3
	s_cbranch_execnz .LBB9_137
; %bb.136:
	s_nop 0
	s_sendmsg sendmsg(MSG_DEALLOC_VGPRS)
	s_endpgm
.LBB9_137:
	v_dual_mov_b32 v0, 0 :: v_dual_mov_b32 v1, 1
	s_add_u32 s0, s6, s8
	s_addc_u32 s1, s7, s9
	s_waitcnt_vscnt null, 0x0
	global_store_b32 v0, v1, s[0:1]
	s_nop 0
	s_sendmsg sendmsg(MSG_DEALLOC_VGPRS)
	s_endpgm
	.section	.rodata,"a",@progbits
	.p2align	6, 0x0
	.amdhsa_kernel _ZN9rocsparseL26bsric0_2_8_unrolled_kernelILi64ELi32ELi8EfEEv20rocsparse_direction_iiPKiS3_PT2_S3_PiS3_S6_21rocsparse_index_base_
		.amdhsa_group_segment_fixed_size 1536
		.amdhsa_private_segment_fixed_size 0
		.amdhsa_kernarg_size 76
		.amdhsa_user_sgpr_count 15
		.amdhsa_user_sgpr_dispatch_ptr 0
		.amdhsa_user_sgpr_queue_ptr 0
		.amdhsa_user_sgpr_kernarg_segment_ptr 1
		.amdhsa_user_sgpr_dispatch_id 0
		.amdhsa_user_sgpr_private_segment_size 0
		.amdhsa_wavefront_size32 1
		.amdhsa_uses_dynamic_stack 0
		.amdhsa_enable_private_segment 0
		.amdhsa_system_sgpr_workgroup_id_x 1
		.amdhsa_system_sgpr_workgroup_id_y 0
		.amdhsa_system_sgpr_workgroup_id_z 0
		.amdhsa_system_sgpr_workgroup_info 0
		.amdhsa_system_vgpr_workitem_id 1
		.amdhsa_next_free_vgpr 51
		.amdhsa_next_free_sgpr 37
		.amdhsa_reserve_vcc 1
		.amdhsa_float_round_mode_32 0
		.amdhsa_float_round_mode_16_64 0
		.amdhsa_float_denorm_mode_32 3
		.amdhsa_float_denorm_mode_16_64 3
		.amdhsa_dx10_clamp 1
		.amdhsa_ieee_mode 1
		.amdhsa_fp16_overflow 0
		.amdhsa_workgroup_processor_mode 1
		.amdhsa_memory_ordered 1
		.amdhsa_forward_progress 0
		.amdhsa_shared_vgpr_count 0
		.amdhsa_exception_fp_ieee_invalid_op 0
		.amdhsa_exception_fp_denorm_src 0
		.amdhsa_exception_fp_ieee_div_zero 0
		.amdhsa_exception_fp_ieee_overflow 0
		.amdhsa_exception_fp_ieee_underflow 0
		.amdhsa_exception_fp_ieee_inexact 0
		.amdhsa_exception_int_div_zero 0
	.end_amdhsa_kernel
	.section	.text._ZN9rocsparseL26bsric0_2_8_unrolled_kernelILi64ELi32ELi8EfEEv20rocsparse_direction_iiPKiS3_PT2_S3_PiS3_S6_21rocsparse_index_base_,"axG",@progbits,_ZN9rocsparseL26bsric0_2_8_unrolled_kernelILi64ELi32ELi8EfEEv20rocsparse_direction_iiPKiS3_PT2_S3_PiS3_S6_21rocsparse_index_base_,comdat
.Lfunc_end9:
	.size	_ZN9rocsparseL26bsric0_2_8_unrolled_kernelILi64ELi32ELi8EfEEv20rocsparse_direction_iiPKiS3_PT2_S3_PiS3_S6_21rocsparse_index_base_, .Lfunc_end9-_ZN9rocsparseL26bsric0_2_8_unrolled_kernelILi64ELi32ELi8EfEEv20rocsparse_direction_iiPKiS3_PT2_S3_PiS3_S6_21rocsparse_index_base_
                                        ; -- End function
	.section	.AMDGPU.csdata,"",@progbits
; Kernel info:
; codeLenInByte = 9336
; NumSgprs: 39
; NumVgprs: 51
; ScratchSize: 0
; MemoryBound: 0
; FloatMode: 240
; IeeeMode: 1
; LDSByteSize: 1536 bytes/workgroup (compile time only)
; SGPRBlocks: 4
; VGPRBlocks: 6
; NumSGPRsForWavesPerEU: 39
; NumVGPRsForWavesPerEU: 51
; Occupancy: 16
; WaveLimiterHint : 1
; COMPUTE_PGM_RSRC2:SCRATCH_EN: 0
; COMPUTE_PGM_RSRC2:USER_SGPR: 15
; COMPUTE_PGM_RSRC2:TRAP_HANDLER: 0
; COMPUTE_PGM_RSRC2:TGID_X_EN: 1
; COMPUTE_PGM_RSRC2:TGID_Y_EN: 0
; COMPUTE_PGM_RSRC2:TGID_Z_EN: 0
; COMPUTE_PGM_RSRC2:TIDIG_COMP_CNT: 1
	.section	.text._ZN9rocsparseL18bsric0_9_16_kernelILi64ELi32ELi16EfEEv20rocsparse_direction_iiPKiS3_PT2_S3_PiS3_S6_21rocsparse_index_base_,"axG",@progbits,_ZN9rocsparseL18bsric0_9_16_kernelILi64ELi32ELi16EfEEv20rocsparse_direction_iiPKiS3_PT2_S3_PiS3_S6_21rocsparse_index_base_,comdat
	.globl	_ZN9rocsparseL18bsric0_9_16_kernelILi64ELi32ELi16EfEEv20rocsparse_direction_iiPKiS3_PT2_S3_PiS3_S6_21rocsparse_index_base_ ; -- Begin function _ZN9rocsparseL18bsric0_9_16_kernelILi64ELi32ELi16EfEEv20rocsparse_direction_iiPKiS3_PT2_S3_PiS3_S6_21rocsparse_index_base_
	.p2align	8
	.type	_ZN9rocsparseL18bsric0_9_16_kernelILi64ELi32ELi16EfEEv20rocsparse_direction_iiPKiS3_PT2_S3_PiS3_S6_21rocsparse_index_base_,@function
_ZN9rocsparseL18bsric0_9_16_kernelILi64ELi32ELi16EfEEv20rocsparse_direction_iiPKiS3_PT2_S3_PiS3_S6_21rocsparse_index_base_: ; @_ZN9rocsparseL18bsric0_9_16_kernelILi64ELi32ELi16EfEEv20rocsparse_direction_iiPKiS3_PT2_S3_PiS3_S6_21rocsparse_index_base_
; %bb.0:
	s_load_b256 s[4:11], s[0:1], 0x28
	s_mov_b32 s2, s15
	s_mov_b32 s3, 0
	v_and_b32_e32 v5, 0x3ff, v0
	s_lshl_b64 s[12:13], s[2:3], 2
	v_bfe_u32 v0, v0, 10, 10
	s_waitcnt lgkmcnt(0)
	s_add_u32 s8, s8, s12
	s_addc_u32 s9, s9, s13
	s_load_b32 s16, s[8:9], 0x0
	s_waitcnt lgkmcnt(0)
	s_ashr_i32 s17, s16, 31
	s_delay_alu instid0(SALU_CYCLE_1) | instskip(NEXT) | instid1(SALU_CYCLE_1)
	s_lshl_b64 s[8:9], s[16:17], 2
	s_add_u32 s12, s4, s8
	s_addc_u32 s13, s5, s9
	s_load_b32 s28, s[12:13], 0x0
	s_load_b32 s17, s[0:1], 0x48
	s_waitcnt lgkmcnt(0)
	s_cmp_lg_u32 s28, -1
	s_cbranch_scc0 .LBB10_131
; %bb.1:
	s_clause 0x1
	s_load_b128 s[12:15], s[0:1], 0x10
	s_load_b64 s[18:19], s[0:1], 0x20
	v_lshlrev_b32_e32 v8, 2, v0
	v_lshlrev_b32_e32 v6, 2, v5
	s_waitcnt lgkmcnt(0)
	s_add_u32 s2, s12, s8
	s_addc_u32 s3, s13, s9
	s_load_b32 s2, s[2:3], 0x0
	s_waitcnt lgkmcnt(0)
	s_sub_i32 s30, s2, s17
	s_mov_b32 s2, exec_lo
	v_add3_u32 v1, v8, v5, s30
	s_delay_alu instid0(VALU_DEP_1)
	v_cmpx_ge_i32_e64 s28, v1
	s_cbranch_execz .LBB10_4
; %bb.2:
	v_lshlrev_b32_e32 v2, 4, v0
	s_mov_b32 s3, 0
	s_delay_alu instid0(VALU_DEP_1)
	v_add3_u32 v3, v2, v6, 0x1200
	.p2align	6
.LBB10_3:                               ; =>This Inner Loop Header: Depth=1
	v_ashrrev_i32_e32 v2, 31, v1
	s_delay_alu instid0(VALU_DEP_1) | instskip(SKIP_1) | instid1(VALU_DEP_2)
	v_lshlrev_b64 v[9:10], 2, v[1:2]
	v_add_nc_u32_e32 v1, 64, v1
	v_add_co_u32 v9, vcc_lo, s14, v9
	s_delay_alu instid0(VALU_DEP_3) | instskip(NEXT) | instid1(VALU_DEP_3)
	v_add_co_ci_u32_e32 v10, vcc_lo, s15, v10, vcc_lo
	v_cmp_lt_i32_e32 vcc_lo, s28, v1
	global_load_b32 v2, v[9:10], off
	s_or_b32 s3, vcc_lo, s3
	s_waitcnt vmcnt(0)
	v_subrev_nc_u32_e32 v2, s17, v2
	ds_store_b32 v3, v2
	v_add_nc_u32_e32 v3, 0x100, v3
	s_and_not1_b32 exec_lo, exec_lo, s3
	s_cbranch_execnz .LBB10_3
.LBB10_4:
	s_or_b32 exec_lo, exec_lo, s2
	v_mul_u32_u24_e32 v7, 0x44, v0
	s_mov_b32 s2, exec_lo
	v_cmpx_gt_u32_e32 16, v5
	s_cbranch_execz .LBB10_7
; %bb.5:
	v_add_nc_u32_e32 v1, -4, v5
	v_add3_u32 v2, v7, v6, 0xcc0
	v_mov_b32_e32 v3, 0
	s_mov_b32 s3, 0
.LBB10_6:                               ; =>This Inner Loop Header: Depth=1
	s_delay_alu instid0(VALU_DEP_3) | instskip(SKIP_4) | instid1(SALU_CYCLE_1)
	v_add_nc_u32_e32 v1, 4, v1
	ds_store_b32 v2, v3
	v_add_nc_u32_e32 v2, 16, v2
	v_cmp_lt_u32_e32 vcc_lo, 11, v1
	s_or_b32 s3, vcc_lo, s3
	s_and_not1_b32 exec_lo, exec_lo, s3
	s_cbranch_execnz .LBB10_6
.LBB10_7:
	s_or_b32 exec_lo, exec_lo, s2
	s_clause 0x1
	s_load_b32 s3, s[0:1], 0x8
	s_load_b32 s29, s[0:1], 0x0
	s_cmp_ge_i32 s30, s28
	s_waitcnt lgkmcnt(0)
	buffer_gl0_inv
	v_cmp_gt_i32_e64 s0, s3, v5
	s_cbranch_scc1 .LBB10_92
; %bb.8:
	v_mad_u64_u32 v[1:2], null, s3, s30, v[0:1]
	v_or_b32_e32 v2, v5, v0
	v_mad_u32_u24 v9, 0x44, v0, v6
	v_mul_lo_u32 v10, v0, s3
	v_mul_lo_u32 v12, v5, s3
	s_movk_i32 s20, 0x880
	s_cmp_lg_u32 s29, 0
	v_mul_lo_u32 v14, s3, v1
	v_cmp_gt_i32_e64 s1, s3, v0
	v_cmp_ne_u32_e64 s2, 0, v2
	v_dual_mov_b32 v18, 0 :: v_dual_add_nc_u32 v11, 0x440, v9
	v_mad_u32_u24 v13, 0x44, v0, s20
	v_mad_u32_u24 v15, 0x44, v5, s20
	v_add_nc_u32_e32 v16, 0xcc0, v9
	v_add_nc_u32_e32 v17, 0x880, v9
	s_cselect_b32 s31, -1, 0
	s_cmp_gt_i32 s3, 0
	s_mul_i32 s33, s3, s3
	s_cselect_b32 s34, -1, 0
	s_lshl_b32 s35, s3, 2
	s_mov_b32 s20, s30
	s_branch .LBB10_10
.LBB10_9:                               ;   in Loop: Header=BB10_10 Depth=1
	s_set_inst_prefetch_distance 0x2
	s_or_b32 exec_lo, exec_lo, s22
	s_add_i32 s20, s20, 1
	v_add_nc_u32_e32 v14, s33, v14
	s_cmp_ge_i32 s20, s28
	s_waitcnt_vscnt null, 0x0
	buffer_gl1_inv
	buffer_gl0_inv
	s_cselect_b32 s21, -1, 0
	s_delay_alu instid0(SALU_CYCLE_1)
	s_and_b32 vcc_lo, exec_lo, s21
	s_cbranch_vccnz .LBB10_92
.LBB10_10:                              ; =>This Loop Header: Depth=1
                                        ;     Child Loop BB10_14 Depth 2
                                        ;     Child Loop BB10_27 Depth 2
	;; [unrolled: 1-line block ×5, first 2 shown]
                                        ;       Child Loop BB10_59 Depth 3
                                        ;     Child Loop BB10_72 Depth 2
                                        ;       Child Loop BB10_78 Depth 3
                                        ;       Child Loop BB10_81 Depth 3
                                        ;     Child Loop BB10_86 Depth 2
	s_ashr_i32 s21, s20, 31
	s_delay_alu instid0(SALU_CYCLE_1) | instskip(NEXT) | instid1(SALU_CYCLE_1)
	s_lshl_b64 s[22:23], s[20:21], 2
	s_add_u32 s22, s14, s22
	s_addc_u32 s23, s15, s23
	s_load_b32 s36, s[22:23], 0x0
	s_waitcnt lgkmcnt(0)
	s_sub_i32 s24, s36, s17
	s_delay_alu instid0(SALU_CYCLE_1) | instskip(NEXT) | instid1(SALU_CYCLE_1)
	s_ashr_i32 s25, s24, 31
	s_lshl_b64 s[22:23], s[24:25], 2
	s_delay_alu instid0(SALU_CYCLE_1)
	s_add_u32 s26, s4, s22
	s_addc_u32 s27, s5, s23
	s_load_b32 s25, s[26:27], 0x0
	s_waitcnt lgkmcnt(0)
	s_cmp_eq_u32 s25, -1
	s_cbranch_scc1 .LBB10_91
; %bb.11:                               ;   in Loop: Header=BB10_10 Depth=1
	s_add_u32 s26, s12, s22
	s_addc_u32 s27, s13, s23
	s_mul_i32 s21, s20, s3
	s_load_b32 s26, s[26:27], 0x0
	s_and_saveexec_b32 s27, s0
	s_cbranch_execz .LBB10_24
; %bb.12:                               ;   in Loop: Header=BB10_10 Depth=1
	v_dual_mov_b32 v3, v11 :: v_dual_mov_b32 v4, v5
	s_mov_b32 s37, 0
	s_branch .LBB10_14
.LBB10_13:                              ;   in Loop: Header=BB10_14 Depth=2
	s_or_b32 exec_lo, exec_lo, s39
	v_add_nc_u32_e32 v4, 4, v4
	s_waitcnt vmcnt(0)
	ds_store_b32 v3, v2 offset:1088
	ds_store_b32 v3, v18
	v_add_nc_u32_e32 v3, 16, v3
	v_cmp_le_i32_e32 vcc_lo, s3, v4
	s_or_b32 s37, vcc_lo, s37
	s_delay_alu instid0(SALU_CYCLE_1)
	s_and_not1_b32 exec_lo, exec_lo, s37
	s_cbranch_execz .LBB10_24
.LBB10_14:                              ;   Parent Loop BB10_10 Depth=1
                                        ; =>  This Inner Loop Header: Depth=2
	s_and_b32 vcc_lo, exec_lo, s31
	s_cbranch_vccz .LBB10_19
; %bb.15:                               ;   in Loop: Header=BB10_14 Depth=2
	s_mov_b32 s39, 0
	s_mov_b32 s38, 0
                                        ; implicit-def: $vgpr1
	s_and_saveexec_b32 s40, s1
	s_delay_alu instid0(SALU_CYCLE_1)
	s_xor_b32 s40, exec_lo, s40
; %bb.16:                               ;   in Loop: Header=BB10_14 Depth=2
	v_add_nc_u32_e32 v19, s21, v4
	s_mov_b32 s38, exec_lo
	s_delay_alu instid0(VALU_DEP_1)
	v_mad_u64_u32 v[1:2], null, v19, s3, v[0:1]
; %bb.17:                               ;   in Loop: Header=BB10_14 Depth=2
	s_or_b32 exec_lo, exec_lo, s40
	s_delay_alu instid0(SALU_CYCLE_1)
	s_and_b32 vcc_lo, exec_lo, s39
	s_cbranch_vccnz .LBB10_20
.LBB10_18:                              ;   in Loop: Header=BB10_14 Depth=2
	v_mov_b32_e32 v2, s39
	s_and_saveexec_b32 s39, s38
	s_cbranch_execz .LBB10_13
	s_branch .LBB10_23
.LBB10_19:                              ;   in Loop: Header=BB10_14 Depth=2
	s_mov_b32 s39, -1
	s_mov_b32 s38, 0
                                        ; implicit-def: $vgpr1
	s_cbranch_execz .LBB10_18
.LBB10_20:                              ;   in Loop: Header=BB10_14 Depth=2
                                        ; implicit-def: $vgpr1
	s_and_saveexec_b32 s39, s1
; %bb.21:                               ;   in Loop: Header=BB10_14 Depth=2
	v_add_nc_u32_e32 v1, v14, v4
	s_or_b32 s38, s38, exec_lo
; %bb.22:                               ;   in Loop: Header=BB10_14 Depth=2
	s_or_b32 exec_lo, exec_lo, s39
	s_mov_b32 s39, 0
	s_delay_alu instid0(SALU_CYCLE_1)
	v_mov_b32_e32 v2, s39
	s_and_saveexec_b32 s39, s38
	s_cbranch_execz .LBB10_13
.LBB10_23:                              ;   in Loop: Header=BB10_14 Depth=2
	v_ashrrev_i32_e32 v2, 31, v1
	s_delay_alu instid0(VALU_DEP_1) | instskip(NEXT) | instid1(VALU_DEP_1)
	v_lshlrev_b64 v[1:2], 2, v[1:2]
	v_add_co_u32 v1, vcc_lo, s18, v1
	s_delay_alu instid0(VALU_DEP_2)
	v_add_co_ci_u32_e32 v2, vcc_lo, s19, v2, vcc_lo
	global_load_b32 v2, v[1:2], off
	s_branch .LBB10_13
.LBB10_24:                              ;   in Loop: Header=BB10_10 Depth=1
	s_or_b32 exec_lo, exec_lo, s27
; %bb.25:                               ;   in Loop: Header=BB10_10 Depth=1
	ds_load_b32 v1, v18 offset:4608
	s_waitcnt lgkmcnt(0)
	s_sub_i32 s26, s26, s17
	s_delay_alu instid0(SALU_CYCLE_1) | instskip(SKIP_3) | instid1(SALU_CYCLE_1)
	s_cmp_le_i32 s26, s25
	s_cselect_b32 s27, -1, 0
	v_cmp_ge_i32_e32 vcc_lo, s24, v1
	s_and_b32 s27, s27, vcc_lo
	s_and_not1_b32 vcc_lo, exec_lo, s27
	s_mov_b32 s27, 0
	s_cbranch_vccnz .LBB10_37
; %bb.26:                               ;   in Loop: Header=BB10_10 Depth=1
	s_mov_b32 s37, 0
	s_mov_b32 s38, 0
.LBB10_27:                              ;   Parent Loop BB10_10 Depth=1
                                        ; =>  This Inner Loop Header: Depth=2
	s_ashr_i32 s27, s26, 31
	s_mov_b32 s42, -1
	s_lshl_b64 s[40:41], s[26:27], 2
	s_delay_alu instid0(SALU_CYCLE_1) | instskip(SKIP_2) | instid1(SALU_CYCLE_1)
	s_add_u32 s40, s14, s40
	s_addc_u32 s41, s15, s41
	s_lshl_b32 s27, s38, 2
	v_mov_b32_e32 v1, s27
	s_load_b32 s27, s[40:41], 0x0
                                        ; implicit-def: $sgpr41
                                        ; implicit-def: $sgpr40
	ds_load_b32 v1, v1 offset:4608
	s_waitcnt lgkmcnt(0)
	s_sub_i32 s43, s27, s17
                                        ; implicit-def: $sgpr27
	s_delay_alu instid0(SALU_CYCLE_1)
	v_cmp_ge_i32_e32 vcc_lo, s43, v1
	v_readfirstlane_b32 s39, v1
	s_cbranch_vccz .LBB10_33
; %bb.28:                               ;   in Loop: Header=BB10_27 Depth=2
	s_delay_alu instid0(VALU_DEP_1)
	s_cmp_le_i32 s43, s39
                                        ; implicit-def: $sgpr27
                                        ; implicit-def: $sgpr41
                                        ; implicit-def: $sgpr40
	s_cbranch_scc0 .LBB10_30
; %bb.29:                               ;   in Loop: Header=BB10_27 Depth=2
	s_add_i32 s27, s38, s30
	s_lshl_b32 s40, s37, 2
	s_mul_i32 s27, s27, s33
	s_mul_i32 s41, s26, s33
	s_delay_alu instid0(SALU_CYCLE_1)
	v_dual_mov_b32 v1, s27 :: v_dual_mov_b32 v2, s41
	v_add_nc_u32_e64 v3, 0x1000, s40
	s_add_i32 s40, s38, 1
	s_add_i32 s41, s26, 1
	;; [unrolled: 1-line block ×3, first 2 shown]
	s_mov_b32 s42, 0
	ds_store_2addr_b32 v3, v2, v1 offset0:64 offset1:96
.LBB10_30:                              ;   in Loop: Header=BB10_27 Depth=2
	s_and_not1_b32 vcc_lo, exec_lo, s42
	s_cbranch_vccnz .LBB10_32
; %bb.31:                               ;   in Loop: Header=BB10_27 Depth=2
	s_add_i32 s40, s38, 1
	s_mov_b32 s27, s37
	s_mov_b32 s41, s26
.LBB10_32:                              ;   in Loop: Header=BB10_27 Depth=2
	s_mov_b32 s42, 0
.LBB10_33:                              ;   in Loop: Header=BB10_27 Depth=2
	s_delay_alu instid0(SALU_CYCLE_1)
	s_and_not1_b32 vcc_lo, exec_lo, s42
	s_cbranch_vccnz .LBB10_35
; %bb.34:                               ;   in Loop: Header=BB10_27 Depth=2
	s_add_i32 s41, s26, 1
	s_mov_b32 s40, s38
	s_mov_b32 s27, s37
.LBB10_35:                              ;   in Loop: Header=BB10_27 Depth=2
	s_cmp_le_i32 s41, s25
	s_cselect_b32 s26, -1, 0
	s_cmp_le_i32 s39, s24
	s_cselect_b32 s37, -1, 0
	s_delay_alu instid0(SALU_CYCLE_1) | instskip(NEXT) | instid1(SALU_CYCLE_1)
	s_and_b32 s26, s26, s37
	s_and_b32 vcc_lo, exec_lo, s26
	s_cbranch_vccz .LBB10_37
; %bb.36:                               ;   in Loop: Header=BB10_27 Depth=2
	s_mov_b32 s37, s27
	s_mov_b32 s26, s41
	;; [unrolled: 1-line block ×3, first 2 shown]
	s_branch .LBB10_27
.LBB10_37:                              ;   in Loop: Header=BB10_10 Depth=1
	s_add_u32 s22, s6, s22
	s_addc_u32 s23, s7, s23
	s_waitcnt lgkmcnt(0)
	buffer_gl0_inv
.LBB10_38:                              ;   Parent Loop BB10_10 Depth=1
                                        ; =>  This Inner Loop Header: Depth=2
	global_load_b32 v1, v18, s[22:23] glc
	s_waitcnt vmcnt(0)
	v_cmp_eq_u32_e32 vcc_lo, 0, v1
	s_cbranch_vccnz .LBB10_38
; %bb.39:                               ;   in Loop: Header=BB10_10 Depth=1
	buffer_gl1_inv
	buffer_gl0_inv
	s_and_saveexec_b32 s22, s0
	s_cbranch_execz .LBB10_52
; %bb.40:                               ;   in Loop: Header=BB10_10 Depth=1
	s_mul_i32 s25, s25, s3
	v_mov_b32_e32 v19, v5
	v_dual_mov_b32 v4, v9 :: v_dual_add_nc_u32 v1, s25, v0
	s_mov_b32 s23, 0
	s_delay_alu instid0(VALU_DEP_1)
	v_mul_lo_u32 v3, v1, s3
	s_branch .LBB10_42
.LBB10_41:                              ;   in Loop: Header=BB10_42 Depth=2
	s_or_b32 exec_lo, exec_lo, s26
	v_add_nc_u32_e32 v19, 4, v19
	s_waitcnt vmcnt(0)
	ds_store_b32 v4, v2
	v_add_nc_u32_e32 v4, 16, v4
	v_cmp_le_i32_e32 vcc_lo, s3, v19
	s_or_b32 s23, vcc_lo, s23
	s_delay_alu instid0(SALU_CYCLE_1)
	s_and_not1_b32 exec_lo, exec_lo, s23
	s_cbranch_execz .LBB10_52
.LBB10_42:                              ;   Parent Loop BB10_10 Depth=1
                                        ; =>  This Inner Loop Header: Depth=2
	s_and_b32 vcc_lo, exec_lo, s31
	s_cbranch_vccz .LBB10_47
; %bb.43:                               ;   in Loop: Header=BB10_42 Depth=2
	s_mov_b32 s26, 0
	s_mov_b32 s24, 0
                                        ; implicit-def: $vgpr1
	s_and_saveexec_b32 s37, s1
	s_delay_alu instid0(SALU_CYCLE_1)
	s_xor_b32 s37, exec_lo, s37
; %bb.44:                               ;   in Loop: Header=BB10_42 Depth=2
	v_add_nc_u32_e32 v20, s25, v19
	s_mov_b32 s24, exec_lo
	s_delay_alu instid0(VALU_DEP_1)
	v_mad_u64_u32 v[1:2], null, v20, s3, v[0:1]
; %bb.45:                               ;   in Loop: Header=BB10_42 Depth=2
	s_or_b32 exec_lo, exec_lo, s37
	s_delay_alu instid0(SALU_CYCLE_1)
	s_and_b32 vcc_lo, exec_lo, s26
	s_cbranch_vccnz .LBB10_48
.LBB10_46:                              ;   in Loop: Header=BB10_42 Depth=2
	v_mov_b32_e32 v2, s26
	s_and_saveexec_b32 s26, s24
	s_cbranch_execz .LBB10_41
	s_branch .LBB10_51
.LBB10_47:                              ;   in Loop: Header=BB10_42 Depth=2
	s_mov_b32 s26, -1
	s_mov_b32 s24, 0
                                        ; implicit-def: $vgpr1
	s_cbranch_execz .LBB10_46
.LBB10_48:                              ;   in Loop: Header=BB10_42 Depth=2
                                        ; implicit-def: $vgpr1
	s_and_saveexec_b32 s26, s1
; %bb.49:                               ;   in Loop: Header=BB10_42 Depth=2
	v_add_nc_u32_e32 v1, v3, v19
	s_or_b32 s24, s24, exec_lo
; %bb.50:                               ;   in Loop: Header=BB10_42 Depth=2
	s_or_b32 exec_lo, exec_lo, s26
	s_mov_b32 s26, 0
	s_delay_alu instid0(SALU_CYCLE_1)
	v_mov_b32_e32 v2, s26
	s_and_saveexec_b32 s26, s24
	s_cbranch_execz .LBB10_41
.LBB10_51:                              ;   in Loop: Header=BB10_42 Depth=2
	v_ashrrev_i32_e32 v2, 31, v1
	s_delay_alu instid0(VALU_DEP_1) | instskip(NEXT) | instid1(VALU_DEP_1)
	v_lshlrev_b64 v[1:2], 2, v[1:2]
	v_add_co_u32 v1, vcc_lo, s18, v1
	s_delay_alu instid0(VALU_DEP_2)
	v_add_co_ci_u32_e32 v2, vcc_lo, s19, v2, vcc_lo
	global_load_b32 v2, v[1:2], off
	s_branch .LBB10_41
.LBB10_52:                              ;   in Loop: Header=BB10_10 Depth=1
	s_or_b32 exec_lo, exec_lo, s22
; %bb.53:                               ;   in Loop: Header=BB10_10 Depth=1
	s_cmp_lt_i32 s27, 2
	s_cbranch_scc1 .LBB10_69
; %bb.54:                               ;   in Loop: Header=BB10_10 Depth=1
	s_add_i32 s22, s27, -2
	s_mov_b32 s23, 0
	s_branch .LBB10_56
.LBB10_55:                              ;   in Loop: Header=BB10_56 Depth=2
	s_or_b32 exec_lo, exec_lo, s24
	s_add_i32 s24, s23, 1
	s_cmp_eq_u32 s23, s22
	s_mov_b32 s23, s24
	s_cbranch_scc1 .LBB10_69
.LBB10_56:                              ;   Parent Loop BB10_10 Depth=1
                                        ; =>  This Loop Header: Depth=2
                                        ;       Child Loop BB10_59 Depth 3
	s_and_saveexec_b32 s24, s0
	s_cbranch_execz .LBB10_55
; %bb.57:                               ;   in Loop: Header=BB10_56 Depth=2
	s_lshl_b32 s25, s23, 2
	v_mov_b32_e32 v23, v5
	v_add_nc_u32_e64 v1, 0x1000, s25
	s_mov_b32 s25, 0
	ds_load_2addr_b32 v[1:2], v1 offset0:64 offset1:96
	s_waitcnt lgkmcnt(0)
	v_add_nc_u32_e32 v19, v2, v10
	v_add_nc_u32_e32 v20, v0, v2
	;; [unrolled: 1-line block ×4, first 2 shown]
	s_branch .LBB10_59
.LBB10_58:                              ;   in Loop: Header=BB10_59 Depth=3
	v_lshlrev_b32_e32 v1, 2, v23
	v_add_nc_u32_e32 v23, 4, v23
	v_add_nc_u32_e32 v22, s35, v22
	v_add_nc_u32_e32 v21, 4, v21
	s_delay_alu instid0(VALU_DEP_4) | instskip(NEXT) | instid1(VALU_DEP_4)
	v_mad_u32_u24 v1, 0x44, v0, v1
	v_cmp_le_i32_e32 vcc_lo, s3, v23
	ds_load_b32 v3, v1 offset:1088
	s_or_b32 s25, vcc_lo, s25
	s_waitcnt lgkmcnt(0)
	v_add_f32_e32 v2, v2, v3
	ds_store_b32 v1, v2 offset:1088
	s_and_not1_b32 exec_lo, exec_lo, s25
	s_cbranch_execz .LBB10_55
.LBB10_59:                              ;   Parent Loop BB10_10 Depth=1
                                        ;     Parent Loop BB10_56 Depth=2
                                        ; =>    This Inner Loop Header: Depth=3
	s_delay_alu instid0(VALU_DEP_2)
	v_dual_mov_b32 v24, 0 :: v_dual_mov_b32 v1, v21
	v_mov_b32_e32 v3, v20
	s_mov_b32 s26, 0
	s_and_b32 vcc_lo, exec_lo, s31
	s_cbranch_vccz .LBB10_63
.LBB10_60:                              ;   in Loop: Header=BB10_59 Depth=3
	v_ashrrev_i32_e32 v2, 31, v1
	v_mov_b32_e32 v4, 0
	s_delay_alu instid0(VALU_DEP_2) | instskip(NEXT) | instid1(VALU_DEP_1)
	v_lshlrev_b64 v[25:26], 2, v[1:2]
	v_add_co_u32 v25, vcc_lo, s18, v25
	s_delay_alu instid0(VALU_DEP_2)
	v_add_co_ci_u32_e32 v26, vcc_lo, s19, v26, vcc_lo
	global_load_b32 v2, v[25:26], off
	s_and_saveexec_b32 s27, s1
	s_cbranch_execz .LBB10_62
; %bb.61:                               ;   in Loop: Header=BB10_59 Depth=3
	v_ashrrev_i32_e32 v4, 31, v3
	s_delay_alu instid0(VALU_DEP_1) | instskip(NEXT) | instid1(VALU_DEP_1)
	v_lshlrev_b64 v[25:26], 2, v[3:4]
	v_add_co_u32 v25, vcc_lo, s18, v25
	s_delay_alu instid0(VALU_DEP_2)
	v_add_co_ci_u32_e32 v26, vcc_lo, s19, v26, vcc_lo
	global_load_b32 v4, v[25:26], off
.LBB10_62:                              ;   in Loop: Header=BB10_59 Depth=3
	s_or_b32 exec_lo, exec_lo, s27
	s_waitcnt vmcnt(0)
	v_fma_f32 v2, v2, v4, v24
	s_branch .LBB10_67
.LBB10_63:                              ;   in Loop: Header=BB10_59 Depth=3
                                        ; implicit-def: $vgpr2
	s_cbranch_execz .LBB10_67
; %bb.64:                               ;   in Loop: Header=BB10_59 Depth=3
	v_dual_mov_b32 v4, 0 :: v_dual_add_nc_u32 v25, s26, v22
	s_delay_alu instid0(VALU_DEP_1) | instskip(NEXT) | instid1(VALU_DEP_1)
	v_ashrrev_i32_e32 v26, 31, v25
	v_lshlrev_b64 v[25:26], 2, v[25:26]
	s_delay_alu instid0(VALU_DEP_1) | instskip(NEXT) | instid1(VALU_DEP_2)
	v_add_co_u32 v25, vcc_lo, s18, v25
	v_add_co_ci_u32_e32 v26, vcc_lo, s19, v26, vcc_lo
	global_load_b32 v2, v[25:26], off
	s_and_saveexec_b32 s27, s1
	s_cbranch_execz .LBB10_66
; %bb.65:                               ;   in Loop: Header=BB10_59 Depth=3
	v_add_nc_u32_e32 v25, s26, v19
	s_delay_alu instid0(VALU_DEP_1) | instskip(NEXT) | instid1(VALU_DEP_1)
	v_ashrrev_i32_e32 v26, 31, v25
	v_lshlrev_b64 v[25:26], 2, v[25:26]
	s_delay_alu instid0(VALU_DEP_1) | instskip(NEXT) | instid1(VALU_DEP_2)
	v_add_co_u32 v25, vcc_lo, s18, v25
	v_add_co_ci_u32_e32 v26, vcc_lo, s19, v26, vcc_lo
	global_load_b32 v4, v[25:26], off
.LBB10_66:                              ;   in Loop: Header=BB10_59 Depth=3
	s_or_b32 exec_lo, exec_lo, s27
	s_waitcnt vmcnt(0)
	v_fmac_f32_e32 v24, v2, v4
	s_delay_alu instid0(VALU_DEP_1)
	v_mov_b32_e32 v2, v24
.LBB10_67:                              ;   in Loop: Header=BB10_59 Depth=3
	v_add_nc_u32_e32 v3, s3, v3
	v_add_nc_u32_e32 v1, s3, v1
	s_add_i32 s26, s26, 1
	s_delay_alu instid0(SALU_CYCLE_1)
	s_cmp_eq_u32 s3, s26
	s_cbranch_scc1 .LBB10_58
; %bb.68:                               ;   in Loop: Header=BB10_59 Depth=3
	v_mov_b32_e32 v24, v2
	s_and_b32 vcc_lo, exec_lo, s31
	s_cbranch_vccnz .LBB10_60
	s_branch .LBB10_63
.LBB10_69:                              ;   in Loop: Header=BB10_10 Depth=1
	s_and_not1_b32 vcc_lo, exec_lo, s34
	s_waitcnt lgkmcnt(0)
	buffer_gl0_inv
	s_cbranch_vccnz .LBB10_82
; %bb.70:                               ;   in Loop: Header=BB10_10 Depth=1
	v_mov_b32_e32 v1, v15
	s_mov_b32 s22, 0
	s_mov_b32 s23, 0
	s_branch .LBB10_72
.LBB10_71:                              ;   in Loop: Header=BB10_72 Depth=2
	s_or_b32 exec_lo, exec_lo, s24
	v_add_nc_u32_e32 v1, 4, v1
	s_add_i32 s23, s23, 1
	s_addk_i32 s22, 0x44
	s_cmp_eq_u32 s23, s3
	s_waitcnt lgkmcnt(0)
	buffer_gl0_inv
	s_cbranch_scc1 .LBB10_82
.LBB10_72:                              ;   Parent Loop BB10_10 Depth=1
                                        ; =>  This Loop Header: Depth=2
                                        ;       Child Loop BB10_78 Depth 3
                                        ;       Child Loop BB10_81 Depth 3
	s_lshl_b32 s24, s23, 2
	s_mul_i32 s25, s23, 0x44
	v_mad_u32_u24 v3, 0x44, v0, s24
	s_add_i32 s25, s24, s25
	s_delay_alu instid0(SALU_CYCLE_1)
	v_mov_b32_e32 v2, s25
	ds_load_b32 v4, v2
	ds_load_b32 v2, v3 offset:2176
	s_waitcnt lgkmcnt(1)
	v_cmp_neq_f32_e32 vcc_lo, 0, v4
	v_cndmask_b32_e32 v4, 1.0, v4, vcc_lo
	s_or_b32 s24, vcc_lo, s2
	s_delay_alu instid0(SALU_CYCLE_1) | instskip(NEXT) | instid1(SALU_CYCLE_1)
	s_xor_b32 s25, s24, -1
	s_and_saveexec_b32 s24, s25
	s_cbranch_execz .LBB10_76
; %bb.73:                               ;   in Loop: Header=BB10_72 Depth=2
	v_mbcnt_lo_u32_b32 v4, exec_lo, 0
	s_mov_b32 s25, exec_lo
	s_delay_alu instid0(VALU_DEP_1)
	v_cmpx_eq_u32_e32 0, v4
	s_cbranch_execz .LBB10_75
; %bb.74:                               ;   in Loop: Header=BB10_72 Depth=2
	v_mov_b32_e32 v4, s36
	global_atomic_min_i32 v18, v4, s[10:11]
.LBB10_75:                              ;   in Loop: Header=BB10_72 Depth=2
	s_or_b32 exec_lo, exec_lo, s25
	v_mov_b32_e32 v4, 1.0
.LBB10_76:                              ;   in Loop: Header=BB10_72 Depth=2
	s_or_b32 exec_lo, exec_lo, s24
	v_lshl_add_u32 v19, s23, 2, v7
	s_cmp_eq_u32 s23, 0
	ds_load_b32 v19, v19 offset:1088
	s_cbranch_scc1 .LBB10_79
; %bb.77:                               ;   in Loop: Header=BB10_72 Depth=2
	v_mov_b32_e32 v20, v13
	s_mov_b32 s24, 0
	s_mov_b32 s25, s22
.LBB10_78:                              ;   Parent Loop BB10_10 Depth=1
                                        ;     Parent Loop BB10_72 Depth=2
                                        ; =>    This Inner Loop Header: Depth=3
	s_delay_alu instid0(SALU_CYCLE_1)
	v_mov_b32_e32 v21, s25
	s_add_i32 s24, s24, 1
	s_add_i32 s25, s25, 4
	s_cmp_ge_u32 s24, s23
	ds_load_b32 v22, v20
	ds_load_b32 v21, v21
	s_waitcnt lgkmcnt(0)
	v_dual_fmac_f32 v19, v21, v22 :: v_dual_add_nc_u32 v20, 4, v20
	s_cbranch_scc0 .LBB10_78
.LBB10_79:                              ;   in Loop: Header=BB10_72 Depth=2
	s_waitcnt lgkmcnt(0)
	s_delay_alu instid0(VALU_DEP_1) | instskip(NEXT) | instid1(VALU_DEP_1)
	v_sub_f32_e32 v2, v2, v19
	v_div_scale_f32 v19, null, v4, v4, v2
	v_div_scale_f32 v22, vcc_lo, v2, v4, v2
	s_delay_alu instid0(VALU_DEP_2) | instskip(SKIP_2) | instid1(VALU_DEP_1)
	v_rcp_f32_e32 v20, v19
	s_waitcnt_depctr 0xfff
	v_fma_f32 v21, -v19, v20, 1.0
	v_dual_fmac_f32 v20, v21, v20 :: v_dual_add_nc_u32 v3, 0x880, v3
	s_delay_alu instid0(VALU_DEP_1) | instskip(NEXT) | instid1(VALU_DEP_1)
	v_mul_f32_e32 v21, v22, v20
	v_fma_f32 v23, -v19, v21, v22
	s_delay_alu instid0(VALU_DEP_1) | instskip(NEXT) | instid1(VALU_DEP_1)
	v_fmac_f32_e32 v21, v23, v20
	v_fma_f32 v19, -v19, v21, v22
	s_delay_alu instid0(VALU_DEP_1) | instskip(NEXT) | instid1(VALU_DEP_1)
	v_div_fmas_f32 v19, v19, v20, v21
	v_div_fixup_f32 v2, v19, v4, v2
	ds_store_b32 v3, v2
	s_waitcnt lgkmcnt(0)
	s_waitcnt_vscnt null, 0x0
	buffer_gl0_inv
	s_and_saveexec_b32 s24, s0
	s_cbranch_execz .LBB10_71
; %bb.80:                               ;   in Loop: Header=BB10_72 Depth=2
	v_dual_mov_b32 v3, v16 :: v_dual_mov_b32 v4, v1
	v_mov_b32_e32 v19, v5
	s_mov_b32 s25, 0
.LBB10_81:                              ;   Parent Loop BB10_10 Depth=1
                                        ;     Parent Loop BB10_72 Depth=2
                                        ; =>    This Inner Loop Header: Depth=3
	ds_load_b32 v20, v4
	ds_load_b32 v21, v3
	v_add_nc_u32_e32 v19, 4, v19
	v_add_nc_u32_e32 v4, 0x110, v4
	s_delay_alu instid0(VALU_DEP_2)
	v_cmp_le_i32_e32 vcc_lo, s3, v19
	s_or_b32 s25, vcc_lo, s25
	s_waitcnt lgkmcnt(0)
	v_fmac_f32_e32 v21, v2, v20
	ds_store_b32 v3, v21
	v_add_nc_u32_e32 v3, 16, v3
	s_and_not1_b32 exec_lo, exec_lo, s25
	s_cbranch_execnz .LBB10_81
	s_branch .LBB10_71
.LBB10_82:                              ;   in Loop: Header=BB10_10 Depth=1
	s_and_saveexec_b32 s22, s0
	s_cbranch_execz .LBB10_9
; %bb.83:                               ;   in Loop: Header=BB10_10 Depth=1
	v_mov_b32_e32 v3, v17
	v_mov_b32_e32 v4, v5
	s_mov_b32 s23, 0
	s_set_inst_prefetch_distance 0x1
	s_branch .LBB10_86
	.p2align	6
.LBB10_84:                              ;   in Loop: Header=BB10_86 Depth=2
	s_delay_alu instid0(VALU_DEP_1) | instskip(NEXT) | instid1(VALU_DEP_1)
	v_ashrrev_i32_e32 v2, 31, v1
	v_lshlrev_b64 v[1:2], 2, v[1:2]
	s_delay_alu instid0(VALU_DEP_1) | instskip(NEXT) | instid1(VALU_DEP_2)
	v_add_co_u32 v1, vcc_lo, s18, v1
	v_add_co_ci_u32_e32 v2, vcc_lo, s19, v2, vcc_lo
	s_waitcnt lgkmcnt(0)
	global_store_b32 v[1:2], v19, off
.LBB10_85:                              ;   in Loop: Header=BB10_86 Depth=2
	s_or_b32 exec_lo, exec_lo, s24
	v_add_nc_u32_e32 v4, 4, v4
	v_add_nc_u32_e32 v3, 16, v3
	s_delay_alu instid0(VALU_DEP_2) | instskip(SKIP_1) | instid1(SALU_CYCLE_1)
	v_cmp_le_i32_e32 vcc_lo, s3, v4
	s_or_b32 s23, vcc_lo, s23
	s_and_not1_b32 exec_lo, exec_lo, s23
	s_cbranch_execz .LBB10_9
.LBB10_86:                              ;   Parent Loop BB10_10 Depth=1
                                        ; =>  This Inner Loop Header: Depth=2
	s_and_saveexec_b32 s24, s1
	s_cbranch_execz .LBB10_85
; %bb.87:                               ;   in Loop: Header=BB10_86 Depth=2
	ds_load_b32 v19, v3
	s_and_b32 vcc_lo, exec_lo, s31
	s_cbranch_vccz .LBB10_89
; %bb.88:                               ;   in Loop: Header=BB10_86 Depth=2
	v_add_nc_u32_e32 v20, s21, v4
	s_delay_alu instid0(VALU_DEP_1)
	v_mad_u64_u32 v[1:2], null, v20, s3, v[0:1]
	s_cbranch_execnz .LBB10_84
	s_branch .LBB10_90
.LBB10_89:                              ;   in Loop: Header=BB10_86 Depth=2
                                        ; implicit-def: $vgpr1
.LBB10_90:                              ;   in Loop: Header=BB10_86 Depth=2
	v_add_nc_u32_e32 v1, v14, v4
	s_branch .LBB10_84
.LBB10_91:                              ;   in Loop: Header=BB10_10 Depth=1
                                        ; implicit-def: $sgpr20
                                        ; implicit-def: $vgpr14
	s_cbranch_execz .LBB10_10
.LBB10_92:
	v_cmp_gt_i32_e64 s0, s3, v5
	s_delay_alu instid0(VALU_DEP_1)
	s_and_saveexec_b32 s2, s0
	s_cbranch_execz .LBB10_105
; %bb.93:
	s_mul_i32 s4, s28, s3
	v_cmp_gt_i32_e64 s1, s3, v0
	v_add_nc_u32_e32 v1, s4, v0
	v_add3_u32 v4, v7, v6, 0x880
	v_mov_b32_e32 v9, v5
	s_cmp_lg_u32 s29, 0
	s_mov_b32 s5, 0
	v_mul_lo_u32 v3, v1, s3
	s_cselect_b32 s12, -1, 0
	s_branch .LBB10_95
.LBB10_94:                              ;   in Loop: Header=BB10_95 Depth=1
	s_or_b32 exec_lo, exec_lo, s14
	v_add_nc_u32_e32 v9, 4, v9
	s_waitcnt vmcnt(0)
	ds_store_b32 v4, v2
	v_add_nc_u32_e32 v4, 16, v4
	v_cmp_le_i32_e32 vcc_lo, s3, v9
	s_or_b32 s5, vcc_lo, s5
	s_delay_alu instid0(SALU_CYCLE_1)
	s_and_not1_b32 exec_lo, exec_lo, s5
	s_cbranch_execz .LBB10_105
.LBB10_95:                              ; =>This Inner Loop Header: Depth=1
	s_and_b32 vcc_lo, exec_lo, s12
	s_cbranch_vccz .LBB10_100
; %bb.96:                               ;   in Loop: Header=BB10_95 Depth=1
	s_mov_b32 s14, 0
	s_mov_b32 s13, 0
                                        ; implicit-def: $vgpr1
	s_and_saveexec_b32 s15, s1
	s_delay_alu instid0(SALU_CYCLE_1)
	s_xor_b32 s15, exec_lo, s15
; %bb.97:                               ;   in Loop: Header=BB10_95 Depth=1
	v_add_nc_u32_e32 v10, s4, v9
	s_mov_b32 s13, exec_lo
	s_delay_alu instid0(VALU_DEP_1)
	v_mad_u64_u32 v[1:2], null, v10, s3, v[0:1]
; %bb.98:                               ;   in Loop: Header=BB10_95 Depth=1
	s_or_b32 exec_lo, exec_lo, s15
	s_delay_alu instid0(SALU_CYCLE_1)
	s_and_b32 vcc_lo, exec_lo, s14
	s_cbranch_vccnz .LBB10_101
.LBB10_99:                              ;   in Loop: Header=BB10_95 Depth=1
	v_mov_b32_e32 v2, s14
	s_and_saveexec_b32 s14, s13
	s_cbranch_execz .LBB10_94
	s_branch .LBB10_104
.LBB10_100:                             ;   in Loop: Header=BB10_95 Depth=1
	s_mov_b32 s14, -1
	s_mov_b32 s13, 0
                                        ; implicit-def: $vgpr1
	s_cbranch_execz .LBB10_99
.LBB10_101:                             ;   in Loop: Header=BB10_95 Depth=1
                                        ; implicit-def: $vgpr1
	s_and_saveexec_b32 s14, s1
; %bb.102:                              ;   in Loop: Header=BB10_95 Depth=1
	v_add_nc_u32_e32 v1, v3, v9
	s_or_b32 s13, s13, exec_lo
; %bb.103:                              ;   in Loop: Header=BB10_95 Depth=1
	s_or_b32 exec_lo, exec_lo, s14
	s_mov_b32 s14, 0
	s_delay_alu instid0(SALU_CYCLE_1)
	v_mov_b32_e32 v2, s14
	s_and_saveexec_b32 s14, s13
	s_cbranch_execz .LBB10_94
.LBB10_104:                             ;   in Loop: Header=BB10_95 Depth=1
	v_ashrrev_i32_e32 v2, 31, v1
	s_delay_alu instid0(VALU_DEP_1) | instskip(NEXT) | instid1(VALU_DEP_1)
	v_lshlrev_b64 v[1:2], 2, v[1:2]
	v_add_co_u32 v1, vcc_lo, s18, v1
	s_delay_alu instid0(VALU_DEP_2)
	v_add_co_ci_u32_e32 v2, vcc_lo, s19, v2, vcc_lo
	global_load_b32 v2, v[1:2], off
	s_branch .LBB10_94
.LBB10_105:
	s_or_b32 exec_lo, exec_lo, s2
; %bb.106:
	s_cmp_lt_i32 s3, 1
	s_waitcnt lgkmcnt(0)
	buffer_gl0_inv
	s_cbranch_scc1 .LBB10_119
; %bb.107:
	v_or_b32_e32 v1, v5, v0
	v_mad_u32_u24 v2, 0x44, v0, v8
	s_movk_i32 s2, 0x880
	v_add3_u32 v4, v7, v6, 0xcc0
	v_mad_u32_u24 v3, 0x44, v5, s2
	v_cmp_ne_u32_e64 s1, 0, v1
	v_dual_mov_b32 v8, 0 :: v_dual_add_nc_u32 v1, 0x880, v2
	v_add_nc_u32_e32 v2, 0xcc0, v2
	s_mov_b32 s4, 0
	s_add_i32 s5, s16, s17
	s_branch .LBB10_109
.LBB10_108:                             ;   in Loop: Header=BB10_109 Depth=1
	s_or_b32 exec_lo, exec_lo, s2
	v_add_nc_u32_e32 v3, 4, v3
	s_add_i32 s4, s4, 1
	s_waitcnt lgkmcnt(0)
	s_waitcnt_vscnt null, 0x0
	buffer_gl0_inv
	s_cmp_eq_u32 s4, s3
	s_cbranch_scc1 .LBB10_119
.LBB10_109:                             ; =>This Loop Header: Depth=1
                                        ;     Child Loop BB10_118 Depth 2
	s_mov_b32 s12, exec_lo
	v_cmpx_eq_u32_e64 s4, v0
	s_cbranch_execz .LBB10_111
; %bb.110:                              ;   in Loop: Header=BB10_109 Depth=1
	ds_load_b32 v9, v1
	ds_load_b32 v10, v2
	s_waitcnt lgkmcnt(0)
	v_sub_f32_e32 v9, v9, v10
	s_delay_alu instid0(VALU_DEP_1) | instskip(SKIP_1) | instid1(VALU_DEP_1)
	v_cmp_gt_f32_e32 vcc_lo, 0, v9
	v_cndmask_b32_e64 v9, v9, -v9, vcc_lo
	v_mul_f32_e32 v10, 0x4f800000, v9
	v_cmp_gt_f32_e32 vcc_lo, 0xf800000, v9
	s_delay_alu instid0(VALU_DEP_2) | instskip(NEXT) | instid1(VALU_DEP_1)
	v_cndmask_b32_e32 v9, v9, v10, vcc_lo
	v_sqrt_f32_e32 v10, v9
	s_waitcnt_depctr 0xfff
	v_add_nc_u32_e32 v11, -1, v10
	v_add_nc_u32_e32 v12, 1, v10
	s_delay_alu instid0(VALU_DEP_2) | instskip(NEXT) | instid1(VALU_DEP_2)
	v_fma_f32 v13, -v11, v10, v9
	v_fma_f32 v14, -v12, v10, v9
	s_delay_alu instid0(VALU_DEP_2) | instskip(NEXT) | instid1(VALU_DEP_1)
	v_cmp_ge_f32_e64 s2, 0, v13
	v_cndmask_b32_e64 v10, v10, v11, s2
	s_delay_alu instid0(VALU_DEP_3) | instskip(NEXT) | instid1(VALU_DEP_1)
	v_cmp_lt_f32_e64 s2, 0, v14
	v_cndmask_b32_e64 v10, v10, v12, s2
	s_delay_alu instid0(VALU_DEP_1) | instskip(NEXT) | instid1(VALU_DEP_1)
	v_mul_f32_e32 v11, 0x37800000, v10
	v_cndmask_b32_e32 v10, v10, v11, vcc_lo
	v_cmp_class_f32_e64 vcc_lo, v9, 0x260
	s_delay_alu instid0(VALU_DEP_2)
	v_cndmask_b32_e32 v9, v10, v9, vcc_lo
	ds_store_b32 v1, v9
.LBB10_111:                             ;   in Loop: Header=BB10_109 Depth=1
	s_or_b32 exec_lo, exec_lo, s12
	s_lshl_b32 s2, s4, 2
	s_mul_i32 s12, s4, 0x44
	s_waitcnt lgkmcnt(0)
	buffer_gl0_inv
	s_add_i32 s12, s12, s2
	s_delay_alu instid0(SALU_CYCLE_1)
	v_mov_b32_e32 v9, s12
	ds_load_b32 v11, v9 offset:2176
	v_mad_u32_u24 v9, 0x44, v0, s2
	ds_load_b32 v10, v9 offset:2176
	s_waitcnt lgkmcnt(1)
	v_cmp_neq_f32_e32 vcc_lo, 0, v11
	v_cndmask_b32_e32 v11, 1.0, v11, vcc_lo
	s_or_b32 s2, vcc_lo, s1
	s_delay_alu instid0(SALU_CYCLE_1) | instskip(NEXT) | instid1(SALU_CYCLE_1)
	s_xor_b32 s12, s2, -1
	s_and_saveexec_b32 s2, s12
	s_cbranch_execz .LBB10_115
; %bb.112:                              ;   in Loop: Header=BB10_109 Depth=1
	v_mbcnt_lo_u32_b32 v11, exec_lo, 0
	s_mov_b32 s12, exec_lo
	s_delay_alu instid0(VALU_DEP_1)
	v_cmpx_eq_u32_e32 0, v11
	s_cbranch_execz .LBB10_114
; %bb.113:                              ;   in Loop: Header=BB10_109 Depth=1
	v_mov_b32_e32 v11, s5
	global_atomic_min_i32 v8, v11, s[10:11]
.LBB10_114:                             ;   in Loop: Header=BB10_109 Depth=1
	s_or_b32 exec_lo, exec_lo, s12
	v_mov_b32_e32 v11, 1.0
.LBB10_115:                             ;   in Loop: Header=BB10_109 Depth=1
	s_or_b32 exec_lo, exec_lo, s2
	s_delay_alu instid0(SALU_CYCLE_1)
	s_mov_b32 s2, exec_lo
	v_cmpx_lt_u32_e64 s4, v0
	s_cbranch_execz .LBB10_108
; %bb.116:                              ;   in Loop: Header=BB10_109 Depth=1
	v_lshl_add_u32 v12, s4, 2, v7
	ds_load_b32 v12, v12 offset:3264
	s_waitcnt lgkmcnt(0)
	v_sub_f32_e32 v10, v10, v12
	s_delay_alu instid0(VALU_DEP_1) | instskip(SKIP_1) | instid1(VALU_DEP_2)
	v_div_scale_f32 v12, null, v11, v11, v10
	v_div_scale_f32 v15, vcc_lo, v10, v11, v10
	v_rcp_f32_e32 v13, v12
	s_waitcnt_depctr 0xfff
	v_fma_f32 v14, -v12, v13, 1.0
	s_delay_alu instid0(VALU_DEP_1) | instskip(NEXT) | instid1(VALU_DEP_1)
	v_fmac_f32_e32 v13, v14, v13
	v_mul_f32_e32 v14, v15, v13
	s_delay_alu instid0(VALU_DEP_1) | instskip(NEXT) | instid1(VALU_DEP_1)
	v_fma_f32 v16, -v12, v14, v15
	v_fmac_f32_e32 v14, v16, v13
	s_delay_alu instid0(VALU_DEP_1) | instskip(NEXT) | instid1(VALU_DEP_1)
	v_fma_f32 v12, -v12, v14, v15
	v_div_fmas_f32 v12, v12, v13, v14
	v_add_nc_u32_e32 v13, 0x880, v9
	s_delay_alu instid0(VALU_DEP_2)
	v_div_fixup_f32 v9, v12, v11, v10
	ds_store_b32 v13, v9
	s_waitcnt lgkmcnt(0)
	s_waitcnt_vscnt null, 0x0
	buffer_gl0_inv
	s_and_b32 exec_lo, exec_lo, s0
	s_cbranch_execz .LBB10_108
; %bb.117:                              ;   in Loop: Header=BB10_109 Depth=1
	v_dual_mov_b32 v10, v4 :: v_dual_mov_b32 v11, v3
	v_mov_b32_e32 v12, v5
	s_mov_b32 s12, 0
.LBB10_118:                             ;   Parent Loop BB10_109 Depth=1
                                        ; =>  This Inner Loop Header: Depth=2
	ds_load_b32 v13, v11
	ds_load_b32 v14, v10
	v_add_nc_u32_e32 v12, 4, v12
	v_add_nc_u32_e32 v11, 0x110, v11
	s_delay_alu instid0(VALU_DEP_2)
	v_cmp_le_i32_e32 vcc_lo, s3, v12
	s_or_b32 s12, vcc_lo, s12
	s_waitcnt lgkmcnt(0)
	v_fmac_f32_e32 v14, v9, v13
	ds_store_b32 v10, v14
	v_add_nc_u32_e32 v10, 16, v10
	s_and_not1_b32 exec_lo, exec_lo, s12
	s_cbranch_execnz .LBB10_118
	s_branch .LBB10_108
.LBB10_119:
	s_and_saveexec_b32 s1, s0
	s_cbranch_execz .LBB10_128
; %bb.120:
	s_mul_i32 s28, s28, s3
	v_add3_u32 v4, v7, v6, 0x880
	v_dual_mov_b32 v6, v5 :: v_dual_add_nc_u32 v1, s28, v0
	v_cmp_gt_i32_e64 s0, s3, v0
	s_cmp_lg_u32 s29, 0
	s_mov_b32 s2, 0
	s_delay_alu instid0(VALU_DEP_2)
	v_mul_lo_u32 v3, v1, s3
	s_cselect_b32 s4, -1, 0
	s_set_inst_prefetch_distance 0x1
	s_branch .LBB10_123
	.p2align	6
.LBB10_121:                             ;   in Loop: Header=BB10_123 Depth=1
	s_delay_alu instid0(VALU_DEP_1) | instskip(NEXT) | instid1(VALU_DEP_1)
	v_ashrrev_i32_e32 v2, 31, v1
	v_lshlrev_b64 v[1:2], 2, v[1:2]
	s_delay_alu instid0(VALU_DEP_1) | instskip(NEXT) | instid1(VALU_DEP_2)
	v_add_co_u32 v1, vcc_lo, s18, v1
	v_add_co_ci_u32_e32 v2, vcc_lo, s19, v2, vcc_lo
	s_waitcnt lgkmcnt(0)
	global_store_b32 v[1:2], v7, off
.LBB10_122:                             ;   in Loop: Header=BB10_123 Depth=1
	s_or_b32 exec_lo, exec_lo, s5
	v_add_nc_u32_e32 v6, 4, v6
	v_add_nc_u32_e32 v4, 16, v4
	s_delay_alu instid0(VALU_DEP_2) | instskip(SKIP_1) | instid1(SALU_CYCLE_1)
	v_cmp_le_i32_e32 vcc_lo, s3, v6
	s_or_b32 s2, vcc_lo, s2
	s_and_not1_b32 exec_lo, exec_lo, s2
	s_cbranch_execz .LBB10_128
.LBB10_123:                             ; =>This Inner Loop Header: Depth=1
	s_and_saveexec_b32 s5, s0
	s_cbranch_execz .LBB10_122
; %bb.124:                              ;   in Loop: Header=BB10_123 Depth=1
	ds_load_b32 v7, v4
	s_and_b32 vcc_lo, exec_lo, s4
	s_cbranch_vccz .LBB10_126
; %bb.125:                              ;   in Loop: Header=BB10_123 Depth=1
	v_add_nc_u32_e32 v8, s28, v6
	s_delay_alu instid0(VALU_DEP_1)
	v_mad_u64_u32 v[1:2], null, v8, s3, v[0:1]
	s_cbranch_execnz .LBB10_121
	s_branch .LBB10_127
.LBB10_126:                             ;   in Loop: Header=BB10_123 Depth=1
                                        ; implicit-def: $vgpr1
.LBB10_127:                             ;   in Loop: Header=BB10_123 Depth=1
	v_add_nc_u32_e32 v1, v3, v6
	s_branch .LBB10_121
.LBB10_128:
	s_set_inst_prefetch_distance 0x2
	s_or_b32 exec_lo, exec_lo, s1
	v_or_b32_e32 v1, v5, v0
	s_delay_alu instid0(VALU_DEP_1)
	v_cmp_eq_u32_e64 s3, 0, v1
.LBB10_129:
	s_delay_alu instid0(VALU_DEP_1)
	s_and_saveexec_b32 s0, s3
	s_cbranch_execnz .LBB10_137
.LBB10_130:
	s_nop 0
	s_sendmsg sendmsg(MSG_DEALLOC_VGPRS)
	s_endpgm
.LBB10_131:
	s_cbranch_execz .LBB10_129
; %bb.132:
	v_or_b32_e32 v0, v5, v0
	s_mov_b32 s0, exec_lo
	s_delay_alu instid0(VALU_DEP_1)
	v_cmpx_eq_u32_e32 0, v0
	s_cbranch_execz .LBB10_136
; %bb.133:
	v_mbcnt_lo_u32_b32 v0, exec_lo, 0
	s_mov_b32 s1, exec_lo
	s_delay_alu instid0(VALU_DEP_1)
	v_cmpx_eq_u32_e32 0, v0
	s_cbranch_execz .LBB10_135
; %bb.134:
	s_add_i32 s2, s16, s17
	s_delay_alu instid0(SALU_CYCLE_1)
	v_dual_mov_b32 v0, 0 :: v_dual_mov_b32 v1, s2
	global_atomic_min_i32 v0, v1, s[10:11]
.LBB10_135:
	s_or_b32 exec_lo, exec_lo, s1
	s_delay_alu instid0(SALU_CYCLE_1)
	s_or_b32 s3, s3, exec_lo
.LBB10_136:
	s_or_b32 exec_lo, exec_lo, s0
	s_and_saveexec_b32 s0, s3
	s_cbranch_execz .LBB10_130
.LBB10_137:
	v_dual_mov_b32 v0, 0 :: v_dual_mov_b32 v1, 1
	s_add_u32 s0, s6, s8
	s_addc_u32 s1, s7, s9
	s_waitcnt_vscnt null, 0x0
	global_store_b32 v0, v1, s[0:1]
	s_nop 0
	s_sendmsg sendmsg(MSG_DEALLOC_VGPRS)
	s_endpgm
	.section	.rodata,"a",@progbits
	.p2align	6, 0x0
	.amdhsa_kernel _ZN9rocsparseL18bsric0_9_16_kernelILi64ELi32ELi16EfEEv20rocsparse_direction_iiPKiS3_PT2_S3_PiS3_S6_21rocsparse_index_base_
		.amdhsa_group_segment_fixed_size 4736
		.amdhsa_private_segment_fixed_size 0
		.amdhsa_kernarg_size 76
		.amdhsa_user_sgpr_count 15
		.amdhsa_user_sgpr_dispatch_ptr 0
		.amdhsa_user_sgpr_queue_ptr 0
		.amdhsa_user_sgpr_kernarg_segment_ptr 1
		.amdhsa_user_sgpr_dispatch_id 0
		.amdhsa_user_sgpr_private_segment_size 0
		.amdhsa_wavefront_size32 1
		.amdhsa_uses_dynamic_stack 0
		.amdhsa_enable_private_segment 0
		.amdhsa_system_sgpr_workgroup_id_x 1
		.amdhsa_system_sgpr_workgroup_id_y 0
		.amdhsa_system_sgpr_workgroup_id_z 0
		.amdhsa_system_sgpr_workgroup_info 0
		.amdhsa_system_vgpr_workitem_id 1
		.amdhsa_next_free_vgpr 27
		.amdhsa_next_free_sgpr 44
		.amdhsa_reserve_vcc 1
		.amdhsa_float_round_mode_32 0
		.amdhsa_float_round_mode_16_64 0
		.amdhsa_float_denorm_mode_32 3
		.amdhsa_float_denorm_mode_16_64 3
		.amdhsa_dx10_clamp 1
		.amdhsa_ieee_mode 1
		.amdhsa_fp16_overflow 0
		.amdhsa_workgroup_processor_mode 1
		.amdhsa_memory_ordered 1
		.amdhsa_forward_progress 0
		.amdhsa_shared_vgpr_count 0
		.amdhsa_exception_fp_ieee_invalid_op 0
		.amdhsa_exception_fp_denorm_src 0
		.amdhsa_exception_fp_ieee_div_zero 0
		.amdhsa_exception_fp_ieee_overflow 0
		.amdhsa_exception_fp_ieee_underflow 0
		.amdhsa_exception_fp_ieee_inexact 0
		.amdhsa_exception_int_div_zero 0
	.end_amdhsa_kernel
	.section	.text._ZN9rocsparseL18bsric0_9_16_kernelILi64ELi32ELi16EfEEv20rocsparse_direction_iiPKiS3_PT2_S3_PiS3_S6_21rocsparse_index_base_,"axG",@progbits,_ZN9rocsparseL18bsric0_9_16_kernelILi64ELi32ELi16EfEEv20rocsparse_direction_iiPKiS3_PT2_S3_PiS3_S6_21rocsparse_index_base_,comdat
.Lfunc_end10:
	.size	_ZN9rocsparseL18bsric0_9_16_kernelILi64ELi32ELi16EfEEv20rocsparse_direction_iiPKiS3_PT2_S3_PiS3_S6_21rocsparse_index_base_, .Lfunc_end10-_ZN9rocsparseL18bsric0_9_16_kernelILi64ELi32ELi16EfEEv20rocsparse_direction_iiPKiS3_PT2_S3_PiS3_S6_21rocsparse_index_base_
                                        ; -- End function
	.section	.AMDGPU.csdata,"",@progbits
; Kernel info:
; codeLenInByte = 4224
; NumSgprs: 46
; NumVgprs: 27
; ScratchSize: 0
; MemoryBound: 0
; FloatMode: 240
; IeeeMode: 1
; LDSByteSize: 4736 bytes/workgroup (compile time only)
; SGPRBlocks: 5
; VGPRBlocks: 3
; NumSGPRsForWavesPerEU: 46
; NumVGPRsForWavesPerEU: 27
; Occupancy: 14
; WaveLimiterHint : 1
; COMPUTE_PGM_RSRC2:SCRATCH_EN: 0
; COMPUTE_PGM_RSRC2:USER_SGPR: 15
; COMPUTE_PGM_RSRC2:TRAP_HANDLER: 0
; COMPUTE_PGM_RSRC2:TGID_X_EN: 1
; COMPUTE_PGM_RSRC2:TGID_Y_EN: 0
; COMPUTE_PGM_RSRC2:TGID_Z_EN: 0
; COMPUTE_PGM_RSRC2:TIDIG_COMP_CNT: 1
	.section	.text._ZN9rocsparseL19bsric0_17_32_kernelILi64ELi32ELi32EfEEv20rocsparse_direction_iiPKiS3_PT2_S3_PiS3_S6_21rocsparse_index_base_,"axG",@progbits,_ZN9rocsparseL19bsric0_17_32_kernelILi64ELi32ELi32EfEEv20rocsparse_direction_iiPKiS3_PT2_S3_PiS3_S6_21rocsparse_index_base_,comdat
	.globl	_ZN9rocsparseL19bsric0_17_32_kernelILi64ELi32ELi32EfEEv20rocsparse_direction_iiPKiS3_PT2_S3_PiS3_S6_21rocsparse_index_base_ ; -- Begin function _ZN9rocsparseL19bsric0_17_32_kernelILi64ELi32ELi32EfEEv20rocsparse_direction_iiPKiS3_PT2_S3_PiS3_S6_21rocsparse_index_base_
	.p2align	8
	.type	_ZN9rocsparseL19bsric0_17_32_kernelILi64ELi32ELi32EfEEv20rocsparse_direction_iiPKiS3_PT2_S3_PiS3_S6_21rocsparse_index_base_,@function
_ZN9rocsparseL19bsric0_17_32_kernelILi64ELi32ELi32EfEEv20rocsparse_direction_iiPKiS3_PT2_S3_PiS3_S6_21rocsparse_index_base_: ; @_ZN9rocsparseL19bsric0_17_32_kernelILi64ELi32ELi32EfEEv20rocsparse_direction_iiPKiS3_PT2_S3_PiS3_S6_21rocsparse_index_base_
; %bb.0:
	s_load_b256 s[4:11], s[0:1], 0x28
	s_mov_b32 s2, s15
	s_mov_b32 s3, 0
	v_and_b32_e32 v5, 0x3ff, v0
	s_lshl_b64 s[12:13], s[2:3], 2
	v_bfe_u32 v0, v0, 10, 10
	s_waitcnt lgkmcnt(0)
	s_add_u32 s8, s8, s12
	s_addc_u32 s9, s9, s13
	s_load_b32 s16, s[8:9], 0x0
	s_waitcnt lgkmcnt(0)
	s_ashr_i32 s17, s16, 31
	s_delay_alu instid0(SALU_CYCLE_1) | instskip(NEXT) | instid1(SALU_CYCLE_1)
	s_lshl_b64 s[8:9], s[16:17], 2
	s_add_u32 s12, s4, s8
	s_addc_u32 s13, s5, s9
	s_load_b32 s28, s[12:13], 0x0
	s_load_b32 s17, s[0:1], 0x48
	s_waitcnt lgkmcnt(0)
	s_cmp_lg_u32 s28, -1
	s_cbranch_scc0 .LBB11_119
; %bb.1:
	s_clause 0x1
	s_load_b128 s[12:15], s[0:1], 0x10
	s_load_b64 s[18:19], s[0:1], 0x20
	v_lshlrev_b32_e32 v1, 1, v0
	v_lshlrev_b32_e32 v6, 2, v5
	s_waitcnt lgkmcnt(0)
	s_add_u32 s2, s12, s8
	s_addc_u32 s3, s13, s9
	s_load_b32 s2, s[2:3], 0x0
	s_waitcnt lgkmcnt(0)
	s_sub_i32 s30, s2, s17
	s_mov_b32 s2, exec_lo
	v_add3_u32 v1, v1, v5, s30
	s_delay_alu instid0(VALU_DEP_1)
	v_cmpx_ge_i32_e64 s28, v1
	s_cbranch_execz .LBB11_4
; %bb.2:
	v_lshlrev_b32_e32 v2, 3, v0
	s_mov_b32 s3, 0
	s_delay_alu instid0(VALU_DEP_1)
	v_add3_u32 v3, v2, v6, 0x3280
	.p2align	6
.LBB11_3:                               ; =>This Inner Loop Header: Depth=1
	v_ashrrev_i32_e32 v2, 31, v1
	s_delay_alu instid0(VALU_DEP_1) | instskip(SKIP_1) | instid1(VALU_DEP_2)
	v_lshlrev_b64 v[7:8], 2, v[1:2]
	v_add_nc_u32_e32 v1, 64, v1
	v_add_co_u32 v7, vcc_lo, s14, v7
	s_delay_alu instid0(VALU_DEP_3) | instskip(NEXT) | instid1(VALU_DEP_3)
	v_add_co_ci_u32_e32 v8, vcc_lo, s15, v8, vcc_lo
	v_cmp_lt_i32_e32 vcc_lo, s28, v1
	global_load_b32 v2, v[7:8], off
	s_or_b32 s3, vcc_lo, s3
	s_waitcnt vmcnt(0)
	v_subrev_nc_u32_e32 v2, s17, v2
	ds_store_b32 v3, v2
	v_add_nc_u32_e32 v3, 0x100, v3
	s_and_not1_b32 exec_lo, exec_lo, s3
	s_cbranch_execnz .LBB11_3
.LBB11_4:
	s_or_b32 exec_lo, exec_lo, s2
	v_mul_u32_u24_e32 v7, 0x84, v0
	s_mov_b32 s2, exec_lo
	v_cmpx_gt_u32_e32 32, v5
	s_cbranch_execz .LBB11_7
; %bb.5:
	v_add_nc_u32_e32 v1, -2, v5
	v_add3_u32 v2, v7, v6, 0x2100
	v_mov_b32_e32 v3, 0
	s_mov_b32 s3, 0
.LBB11_6:                               ; =>This Inner Loop Header: Depth=1
	s_delay_alu instid0(VALU_DEP_3) | instskip(SKIP_4) | instid1(SALU_CYCLE_1)
	v_add_nc_u32_e32 v1, 2, v1
	ds_store_b32 v2, v3
	v_add_nc_u32_e32 v2, 8, v2
	v_cmp_lt_u32_e32 vcc_lo, 29, v1
	s_or_b32 s3, vcc_lo, s3
	s_and_not1_b32 exec_lo, exec_lo, s3
	s_cbranch_execnz .LBB11_6
.LBB11_7:
	s_or_b32 exec_lo, exec_lo, s2
	s_clause 0x1
	s_load_b32 s3, s[0:1], 0x8
	s_load_b32 s29, s[0:1], 0x0
	s_cmp_ge_i32 s30, s28
	s_waitcnt lgkmcnt(0)
	buffer_gl0_inv
	v_cmp_gt_i32_e64 s0, s3, v5
	s_cbranch_scc1 .LBB11_80
; %bb.8:
	v_mad_u64_u32 v[1:2], null, s3, s30, v[0:1]
	v_or_b32_e32 v2, v5, v0
	v_mad_u32_u24 v9, 0x84, v0, v6
	s_cmp_eq_u32 s29, 0
	v_mul_lo_u32 v8, v0, s3
	v_mul_lo_u32 v10, v5, s3
	s_movk_i32 s20, 0x1080
	v_mul_lo_u32 v12, s3, v1
	s_cselect_b32 s31, -1, 0
	s_cmp_lg_u32 s29, 0
	v_cmp_gt_i32_e64 s1, s3, v0
	v_cmp_ne_u32_e64 s2, 0, v2
	v_mad_u32_u24 v11, 0x84, v0, s20
	v_mad_u32_u24 v13, 0x84, v5, s20
	v_add_nc_u32_e32 v14, 0x2100, v9
	v_dual_mov_b32 v16, 0 :: v_dual_add_nc_u32 v15, 0x1080, v9
	s_cselect_b32 s33, -1, 0
	s_cmp_gt_i32 s3, 0
	s_mul_i32 s35, s3, s3
	s_cselect_b32 s34, -1, 0
	s_lshl_b32 s36, s3, 1
	s_mov_b32 s20, s30
	s_branch .LBB11_10
.LBB11_9:                               ;   in Loop: Header=BB11_10 Depth=1
	s_set_inst_prefetch_distance 0x2
	s_or_b32 exec_lo, exec_lo, s22
	s_add_i32 s20, s20, 1
	v_add_nc_u32_e32 v12, s35, v12
	s_cmp_ge_i32 s20, s28
	s_waitcnt_vscnt null, 0x0
	buffer_gl1_inv
	buffer_gl0_inv
	s_cselect_b32 s21, -1, 0
	s_delay_alu instid0(SALU_CYCLE_1)
	s_and_b32 vcc_lo, exec_lo, s21
	s_cbranch_vccnz .LBB11_80
.LBB11_10:                              ; =>This Loop Header: Depth=1
                                        ;     Child Loop BB11_14 Depth 2
                                        ;     Child Loop BB11_27 Depth 2
	;; [unrolled: 1-line block ×4, first 2 shown]
                                        ;       Child Loop BB11_45 Depth 3
                                        ;     Child Loop BB11_58 Depth 2
                                        ;       Child Loop BB11_65 Depth 3
                                        ;       Child Loop BB11_69 Depth 3
                                        ;     Child Loop BB11_74 Depth 2
	s_ashr_i32 s21, s20, 31
	s_delay_alu instid0(SALU_CYCLE_1) | instskip(NEXT) | instid1(SALU_CYCLE_1)
	s_lshl_b64 s[22:23], s[20:21], 2
	s_add_u32 s22, s14, s22
	s_addc_u32 s23, s15, s23
	s_load_b32 s37, s[22:23], 0x0
	s_waitcnt lgkmcnt(0)
	s_sub_i32 s24, s37, s17
	s_delay_alu instid0(SALU_CYCLE_1) | instskip(NEXT) | instid1(SALU_CYCLE_1)
	s_ashr_i32 s25, s24, 31
	s_lshl_b64 s[22:23], s[24:25], 2
	s_delay_alu instid0(SALU_CYCLE_1)
	s_add_u32 s26, s4, s22
	s_addc_u32 s27, s5, s23
	s_load_b32 s25, s[26:27], 0x0
	s_waitcnt lgkmcnt(0)
	s_cmp_eq_u32 s25, -1
	s_cbranch_scc1 .LBB11_79
; %bb.11:                               ;   in Loop: Header=BB11_10 Depth=1
	s_add_u32 s26, s12, s22
	s_addc_u32 s27, s13, s23
	s_mul_i32 s21, s20, s3
	s_load_b32 s26, s[26:27], 0x0
	s_and_saveexec_b32 s27, s0
	s_cbranch_execz .LBB11_24
; %bb.12:                               ;   in Loop: Header=BB11_10 Depth=1
	v_mov_b32_e32 v3, v9
	v_mov_b32_e32 v4, v5
	s_mov_b32 s38, 0
	s_set_inst_prefetch_distance 0x1
	s_branch .LBB11_14
	.p2align	6
.LBB11_13:                              ;   in Loop: Header=BB11_14 Depth=2
	s_or_b32 exec_lo, exec_lo, s40
	v_add_nc_u32_e32 v4, 2, v4
	s_waitcnt vmcnt(0)
	ds_store_b32 v3, v2 offset:4224
	ds_store_b32 v3, v16
	v_add_nc_u32_e32 v3, 8, v3
	v_cmp_le_i32_e32 vcc_lo, s3, v4
	s_or_b32 s38, vcc_lo, s38
	s_delay_alu instid0(SALU_CYCLE_1)
	s_and_not1_b32 exec_lo, exec_lo, s38
	s_cbranch_execz .LBB11_24
.LBB11_14:                              ;   Parent Loop BB11_10 Depth=1
                                        ; =>  This Inner Loop Header: Depth=2
	s_and_b32 vcc_lo, exec_lo, s33
	s_cbranch_vccz .LBB11_18
; %bb.15:                               ;   in Loop: Header=BB11_14 Depth=2
	s_mov_b32 s40, 0
	s_mov_b32 s39, 0
                                        ; implicit-def: $vgpr1
	s_and_saveexec_b32 s41, s1
	s_delay_alu instid0(SALU_CYCLE_1)
	s_xor_b32 s41, exec_lo, s41
; %bb.16:                               ;   in Loop: Header=BB11_14 Depth=2
	v_add_nc_u32_e32 v17, s21, v4
	s_mov_b32 s39, exec_lo
	s_delay_alu instid0(VALU_DEP_1)
	v_mad_u64_u32 v[1:2], null, v17, s3, v[0:1]
; %bb.17:                               ;   in Loop: Header=BB11_14 Depth=2
	s_or_b32 exec_lo, exec_lo, s41
	s_delay_alu instid0(SALU_CYCLE_1)
	s_and_b32 vcc_lo, exec_lo, s40
	s_cbranch_vccnz .LBB11_19
	s_branch .LBB11_22
.LBB11_18:                              ;   in Loop: Header=BB11_14 Depth=2
	s_mov_b32 s40, -1
	s_mov_b32 s39, 0
                                        ; implicit-def: $vgpr1
	s_cbranch_execz .LBB11_22
.LBB11_19:                              ;   in Loop: Header=BB11_14 Depth=2
                                        ; implicit-def: $vgpr1
	s_and_saveexec_b32 s40, s1
; %bb.20:                               ;   in Loop: Header=BB11_14 Depth=2
	v_add_nc_u32_e32 v1, v12, v4
	s_or_b32 s39, s39, exec_lo
; %bb.21:                               ;   in Loop: Header=BB11_14 Depth=2
	s_or_b32 exec_lo, exec_lo, s40
	s_mov_b32 s40, 0
.LBB11_22:                              ;   in Loop: Header=BB11_14 Depth=2
	s_delay_alu instid0(SALU_CYCLE_1)
	v_mov_b32_e32 v2, s40
	s_and_saveexec_b32 s40, s39
	s_cbranch_execz .LBB11_13
; %bb.23:                               ;   in Loop: Header=BB11_14 Depth=2
	v_ashrrev_i32_e32 v2, 31, v1
	s_delay_alu instid0(VALU_DEP_1) | instskip(NEXT) | instid1(VALU_DEP_1)
	v_lshlrev_b64 v[1:2], 2, v[1:2]
	v_add_co_u32 v1, vcc_lo, s18, v1
	s_delay_alu instid0(VALU_DEP_2)
	v_add_co_ci_u32_e32 v2, vcc_lo, s19, v2, vcc_lo
	global_load_b32 v2, v[1:2], off
	s_branch .LBB11_13
.LBB11_24:                              ;   in Loop: Header=BB11_10 Depth=1
	s_set_inst_prefetch_distance 0x2
	s_or_b32 exec_lo, exec_lo, s27
; %bb.25:                               ;   in Loop: Header=BB11_10 Depth=1
	ds_load_b32 v1, v16 offset:12928
	s_waitcnt lgkmcnt(0)
	s_sub_i32 s26, s26, s17
	s_delay_alu instid0(SALU_CYCLE_1) | instskip(SKIP_3) | instid1(SALU_CYCLE_1)
	s_cmp_le_i32 s26, s25
	s_cselect_b32 s27, -1, 0
	v_cmp_ge_i32_e32 vcc_lo, s24, v1
	s_and_b32 s27, s27, vcc_lo
	s_and_not1_b32 vcc_lo, exec_lo, s27
	s_mov_b32 s27, 0
	s_cbranch_vccnz .LBB11_37
; %bb.26:                               ;   in Loop: Header=BB11_10 Depth=1
	s_mov_b32 s38, 0
	s_mov_b32 s39, 0
.LBB11_27:                              ;   Parent Loop BB11_10 Depth=1
                                        ; =>  This Inner Loop Header: Depth=2
	s_ashr_i32 s27, s26, 31
	s_mov_b32 s43, -1
	s_lshl_b64 s[40:41], s[26:27], 2
                                        ; implicit-def: $sgpr42
	s_delay_alu instid0(SALU_CYCLE_1) | instskip(SKIP_2) | instid1(SALU_CYCLE_1)
	s_add_u32 s40, s14, s40
	s_addc_u32 s41, s15, s41
	s_lshl_b32 s27, s39, 2
	v_mov_b32_e32 v1, s27
	s_load_b32 s27, s[40:41], 0x0
                                        ; implicit-def: $sgpr41
	ds_load_b32 v1, v1 offset:12928
	s_waitcnt lgkmcnt(0)
	s_sub_i32 s44, s27, s17
                                        ; implicit-def: $sgpr27
	s_delay_alu instid0(SALU_CYCLE_1)
	v_cmp_ge_i32_e32 vcc_lo, s44, v1
	v_readfirstlane_b32 s40, v1
	s_cbranch_vccz .LBB11_33
; %bb.28:                               ;   in Loop: Header=BB11_27 Depth=2
	s_delay_alu instid0(VALU_DEP_1)
	s_cmp_le_i32 s44, s40
                                        ; implicit-def: $sgpr27
                                        ; implicit-def: $sgpr42
                                        ; implicit-def: $sgpr41
	s_cbranch_scc0 .LBB11_30
; %bb.29:                               ;   in Loop: Header=BB11_27 Depth=2
	s_add_i32 s27, s39, s30
	s_lshl_b32 s41, s38, 2
	s_mul_i32 s27, s27, s35
	s_mul_i32 s42, s26, s35
	s_delay_alu instid0(SALU_CYCLE_1)
	v_dual_mov_b32 v1, s27 :: v_dual_mov_b32 v2, s42
	v_add_nc_u32_e64 v3, 0x3000, s41
	s_add_i32 s41, s39, 1
	s_add_i32 s42, s26, 1
	s_add_i32 s27, s38, 1
	s_mov_b32 s43, 0
	ds_store_2addr_b32 v3, v2, v1 offset0:96 offset1:128
.LBB11_30:                              ;   in Loop: Header=BB11_27 Depth=2
	s_and_not1_b32 vcc_lo, exec_lo, s43
	s_cbranch_vccnz .LBB11_32
; %bb.31:                               ;   in Loop: Header=BB11_27 Depth=2
	s_add_i32 s41, s39, 1
	s_mov_b32 s27, s38
	s_mov_b32 s42, s26
.LBB11_32:                              ;   in Loop: Header=BB11_27 Depth=2
	s_mov_b32 s43, 0
.LBB11_33:                              ;   in Loop: Header=BB11_27 Depth=2
	s_delay_alu instid0(SALU_CYCLE_1)
	s_and_not1_b32 vcc_lo, exec_lo, s43
	s_cbranch_vccnz .LBB11_35
; %bb.34:                               ;   in Loop: Header=BB11_27 Depth=2
	s_add_i32 s42, s26, 1
	s_mov_b32 s41, s39
	s_mov_b32 s27, s38
.LBB11_35:                              ;   in Loop: Header=BB11_27 Depth=2
	s_cmp_le_i32 s42, s25
	s_cselect_b32 s26, -1, 0
	s_cmp_le_i32 s40, s24
	s_cselect_b32 s38, -1, 0
	s_delay_alu instid0(SALU_CYCLE_1) | instskip(NEXT) | instid1(SALU_CYCLE_1)
	s_and_b32 s26, s26, s38
	s_and_b32 vcc_lo, exec_lo, s26
	s_cbranch_vccz .LBB11_37
; %bb.36:                               ;   in Loop: Header=BB11_27 Depth=2
	s_mov_b32 s38, s27
	s_mov_b32 s26, s42
	;; [unrolled: 1-line block ×3, first 2 shown]
	s_branch .LBB11_27
.LBB11_37:                              ;   in Loop: Header=BB11_10 Depth=1
	s_add_u32 s22, s6, s22
	s_addc_u32 s23, s7, s23
	s_waitcnt lgkmcnt(0)
	buffer_gl0_inv
.LBB11_38:                              ;   Parent Loop BB11_10 Depth=1
                                        ; =>  This Inner Loop Header: Depth=2
	global_load_b32 v1, v16, s[22:23] glc
	s_waitcnt vmcnt(0)
	v_cmp_eq_u32_e32 vcc_lo, 0, v1
	s_cbranch_vccnz .LBB11_38
; %bb.39:                               ;   in Loop: Header=BB11_10 Depth=1
	s_cmp_lt_i32 s27, 2
	buffer_gl1_inv
	buffer_gl0_inv
	s_cbranch_scc1 .LBB11_55
; %bb.40:                               ;   in Loop: Header=BB11_10 Depth=1
	s_add_i32 s22, s27, -2
	s_mov_b32 s23, 0
	s_branch .LBB11_42
.LBB11_41:                              ;   in Loop: Header=BB11_42 Depth=2
	s_or_b32 exec_lo, exec_lo, s24
	s_add_i32 s24, s23, 1
	s_cmp_eq_u32 s23, s22
	s_mov_b32 s23, s24
	s_cbranch_scc1 .LBB11_55
.LBB11_42:                              ;   Parent Loop BB11_10 Depth=1
                                        ; =>  This Loop Header: Depth=2
                                        ;       Child Loop BB11_45 Depth 3
	s_and_saveexec_b32 s24, s0
	s_cbranch_execz .LBB11_41
; %bb.43:                               ;   in Loop: Header=BB11_42 Depth=2
	s_lshl_b32 s26, s23, 2
	v_mov_b32_e32 v21, v5
	v_add_nc_u32_e64 v1, 0x3000, s26
	s_mov_b32 s26, 0
	ds_load_2addr_b32 v[1:2], v1 offset0:96 offset1:128
	s_waitcnt lgkmcnt(0)
	v_add_nc_u32_e32 v17, v2, v8
	v_add_nc_u32_e32 v18, v0, v2
	v_add_nc_u32_e32 v19, v5, v1
	v_add_nc_u32_e32 v20, v10, v1
	s_branch .LBB11_45
.LBB11_44:                              ;   in Loop: Header=BB11_45 Depth=3
	v_lshlrev_b32_e32 v1, 2, v21
	v_add_nc_u32_e32 v21, 2, v21
	v_add_nc_u32_e32 v19, 2, v19
	;; [unrolled: 1-line block ×3, first 2 shown]
	s_delay_alu instid0(VALU_DEP_4) | instskip(NEXT) | instid1(VALU_DEP_4)
	v_mad_u32_u24 v1, 0x84, v0, v1
	v_cmp_le_i32_e32 vcc_lo, s3, v21
	ds_load_b32 v3, v1
	s_or_b32 s26, vcc_lo, s26
	s_waitcnt lgkmcnt(0)
	v_add_f32_e32 v2, v2, v3
	ds_store_b32 v1, v2
	s_and_not1_b32 exec_lo, exec_lo, s26
	s_cbranch_execz .LBB11_41
.LBB11_45:                              ;   Parent Loop BB11_10 Depth=1
                                        ;     Parent Loop BB11_42 Depth=2
                                        ; =>    This Inner Loop Header: Depth=3
	s_delay_alu instid0(VALU_DEP_2)
	v_dual_mov_b32 v22, 0 :: v_dual_mov_b32 v1, v19
	v_mov_b32_e32 v3, v18
	s_mov_b32 s27, 0
	s_and_b32 vcc_lo, exec_lo, s33
	s_cbranch_vccz .LBB11_49
.LBB11_46:                              ;   in Loop: Header=BB11_45 Depth=3
	v_ashrrev_i32_e32 v2, 31, v1
	v_mov_b32_e32 v4, 0
	s_delay_alu instid0(VALU_DEP_2) | instskip(NEXT) | instid1(VALU_DEP_1)
	v_lshlrev_b64 v[23:24], 2, v[1:2]
	v_add_co_u32 v23, vcc_lo, s18, v23
	s_delay_alu instid0(VALU_DEP_2)
	v_add_co_ci_u32_e32 v24, vcc_lo, s19, v24, vcc_lo
	global_load_b32 v2, v[23:24], off
	s_and_saveexec_b32 s38, s1
	s_cbranch_execz .LBB11_48
; %bb.47:                               ;   in Loop: Header=BB11_45 Depth=3
	v_ashrrev_i32_e32 v4, 31, v3
	s_delay_alu instid0(VALU_DEP_1) | instskip(NEXT) | instid1(VALU_DEP_1)
	v_lshlrev_b64 v[23:24], 2, v[3:4]
	v_add_co_u32 v23, vcc_lo, s18, v23
	s_delay_alu instid0(VALU_DEP_2)
	v_add_co_ci_u32_e32 v24, vcc_lo, s19, v24, vcc_lo
	global_load_b32 v4, v[23:24], off
.LBB11_48:                              ;   in Loop: Header=BB11_45 Depth=3
	s_or_b32 exec_lo, exec_lo, s38
	s_waitcnt vmcnt(0)
	v_fma_f32 v2, v2, v4, v22
	s_branch .LBB11_53
.LBB11_49:                              ;   in Loop: Header=BB11_45 Depth=3
                                        ; implicit-def: $vgpr2
	s_cbranch_execz .LBB11_53
; %bb.50:                               ;   in Loop: Header=BB11_45 Depth=3
	v_dual_mov_b32 v4, 0 :: v_dual_add_nc_u32 v23, s27, v20
	s_delay_alu instid0(VALU_DEP_1) | instskip(NEXT) | instid1(VALU_DEP_1)
	v_ashrrev_i32_e32 v24, 31, v23
	v_lshlrev_b64 v[23:24], 2, v[23:24]
	s_delay_alu instid0(VALU_DEP_1) | instskip(NEXT) | instid1(VALU_DEP_2)
	v_add_co_u32 v23, vcc_lo, s18, v23
	v_add_co_ci_u32_e32 v24, vcc_lo, s19, v24, vcc_lo
	global_load_b32 v2, v[23:24], off
	s_and_saveexec_b32 s38, s1
	s_cbranch_execz .LBB11_52
; %bb.51:                               ;   in Loop: Header=BB11_45 Depth=3
	v_add_nc_u32_e32 v23, s27, v17
	s_delay_alu instid0(VALU_DEP_1) | instskip(NEXT) | instid1(VALU_DEP_1)
	v_ashrrev_i32_e32 v24, 31, v23
	v_lshlrev_b64 v[23:24], 2, v[23:24]
	s_delay_alu instid0(VALU_DEP_1) | instskip(NEXT) | instid1(VALU_DEP_2)
	v_add_co_u32 v23, vcc_lo, s18, v23
	v_add_co_ci_u32_e32 v24, vcc_lo, s19, v24, vcc_lo
	global_load_b32 v4, v[23:24], off
.LBB11_52:                              ;   in Loop: Header=BB11_45 Depth=3
	s_or_b32 exec_lo, exec_lo, s38
	s_waitcnt vmcnt(0)
	v_fmac_f32_e32 v22, v2, v4
	s_delay_alu instid0(VALU_DEP_1)
	v_mov_b32_e32 v2, v22
.LBB11_53:                              ;   in Loop: Header=BB11_45 Depth=3
	v_add_nc_u32_e32 v3, s3, v3
	v_add_nc_u32_e32 v1, s3, v1
	s_add_i32 s27, s27, 1
	s_delay_alu instid0(SALU_CYCLE_1)
	s_cmp_eq_u32 s3, s27
	s_cbranch_scc1 .LBB11_44
; %bb.54:                               ;   in Loop: Header=BB11_45 Depth=3
	v_mov_b32_e32 v22, v2
	s_and_b32 vcc_lo, exec_lo, s33
	s_cbranch_vccz .LBB11_49
	s_branch .LBB11_46
.LBB11_55:                              ;   in Loop: Header=BB11_10 Depth=1
	s_and_not1_b32 vcc_lo, exec_lo, s34
	s_waitcnt lgkmcnt(0)
	buffer_gl0_inv
	s_cbranch_vccnz .LBB11_70
; %bb.56:                               ;   in Loop: Header=BB11_10 Depth=1
	v_mov_b32_e32 v1, v13
	s_mul_i32 s24, s35, s25
	s_mov_b32 s25, 0
	s_mov_b32 s26, s24
	s_branch .LBB11_58
.LBB11_57:                              ;   in Loop: Header=BB11_58 Depth=2
	s_or_b32 exec_lo, exec_lo, s22
	v_add_nc_u32_e32 v1, 4, v1
	s_add_i32 s25, s25, 1
	s_add_i32 s26, s26, 1
	s_cmp_eq_u32 s25, s3
	s_waitcnt lgkmcnt(0)
	buffer_gl0_inv
	s_cbranch_scc1 .LBB11_70
.LBB11_58:                              ;   Parent Loop BB11_10 Depth=1
                                        ; =>  This Loop Header: Depth=2
                                        ;       Child Loop BB11_65 Depth 3
                                        ;       Child Loop BB11_69 Depth 3
	s_mul_i32 s27, s25, s3
	v_lshl_add_u32 v3, s25, 2, v7
	s_add_i32 s27, s27, s24
	s_delay_alu instid0(SALU_CYCLE_1) | instskip(SKIP_2) | instid1(SALU_CYCLE_1)
	s_add_i32 s22, s27, s25
	ds_load_b32 v2, v3 offset:4224
	s_ashr_i32 s23, s22, 31
	s_lshl_b64 s[22:23], s[22:23], 2
	s_delay_alu instid0(SALU_CYCLE_1)
	s_add_u32 s22, s18, s22
	s_addc_u32 s23, s19, s23
	global_load_b32 v4, v16, s[22:23]
	s_waitcnt vmcnt(0)
	v_cmp_neq_f32_e32 vcc_lo, 0, v4
	v_cndmask_b32_e32 v4, 1.0, v4, vcc_lo
	s_or_b32 s22, vcc_lo, s2
	s_delay_alu instid0(SALU_CYCLE_1) | instskip(NEXT) | instid1(SALU_CYCLE_1)
	s_xor_b32 s23, s22, -1
	s_and_saveexec_b32 s22, s23
	s_cbranch_execz .LBB11_62
; %bb.59:                               ;   in Loop: Header=BB11_58 Depth=2
	v_mbcnt_lo_u32_b32 v4, exec_lo, 0
	s_mov_b32 s23, exec_lo
	s_delay_alu instid0(VALU_DEP_1)
	v_cmpx_eq_u32_e32 0, v4
	s_cbranch_execz .LBB11_61
; %bb.60:                               ;   in Loop: Header=BB11_58 Depth=2
	v_mov_b32_e32 v4, s37
	global_atomic_min_i32 v16, v4, s[10:11]
.LBB11_61:                              ;   in Loop: Header=BB11_58 Depth=2
	s_or_b32 exec_lo, exec_lo, s23
	v_mov_b32_e32 v4, 1.0
.LBB11_62:                              ;   in Loop: Header=BB11_58 Depth=2
	s_or_b32 exec_lo, exec_lo, s22
	ds_load_b32 v17, v3
	s_cmp_eq_u32 s25, 0
	s_cbranch_scc1 .LBB11_67
; %bb.63:                               ;   in Loop: Header=BB11_58 Depth=2
	v_mov_b32_e32 v18, v11
	s_mov_b32 s38, 0
	s_mov_b32 s39, s26
	s_branch .LBB11_65
	.p2align	6
.LBB11_64:                              ;   in Loop: Header=BB11_65 Depth=3
	s_ashr_i32 s23, s22, 31
	ds_load_b32 v20, v18
	s_lshl_b64 s[22:23], s[22:23], 2
	v_add_nc_u32_e32 v18, 4, v18
	s_add_u32 s22, s18, s22
	s_addc_u32 s23, s19, s23
	s_add_i32 s38, s38, 1
	global_load_b32 v19, v16, s[22:23]
	s_add_i32 s39, s39, s3
	s_cmp_ge_u32 s38, s25
	s_waitcnt vmcnt(0) lgkmcnt(0)
	v_fmac_f32_e32 v17, v19, v20
	s_cbranch_scc1 .LBB11_67
.LBB11_65:                              ;   Parent Loop BB11_10 Depth=1
                                        ;     Parent Loop BB11_58 Depth=2
                                        ; =>    This Inner Loop Header: Depth=3
	s_and_not1_b32 vcc_lo, exec_lo, s31
	s_mov_b32 s22, s39
	s_cbranch_vccnz .LBB11_64
; %bb.66:                               ;   in Loop: Header=BB11_65 Depth=3
	s_add_i32 s22, s38, s27
	s_branch .LBB11_64
.LBB11_67:                              ;   in Loop: Header=BB11_58 Depth=2
	s_waitcnt lgkmcnt(0)
	s_delay_alu instid0(VALU_DEP_1) | instskip(NEXT) | instid1(VALU_DEP_1)
	v_dual_sub_f32 v2, v2, v17 :: v_dual_add_nc_u32 v3, 0x1080, v3
	v_div_scale_f32 v17, null, v4, v4, v2
	v_div_scale_f32 v20, vcc_lo, v2, v4, v2
	s_delay_alu instid0(VALU_DEP_2) | instskip(SKIP_2) | instid1(VALU_DEP_1)
	v_rcp_f32_e32 v18, v17
	s_waitcnt_depctr 0xfff
	v_fma_f32 v19, -v17, v18, 1.0
	v_fmac_f32_e32 v18, v19, v18
	s_delay_alu instid0(VALU_DEP_1) | instskip(NEXT) | instid1(VALU_DEP_1)
	v_mul_f32_e32 v19, v20, v18
	v_fma_f32 v21, -v17, v19, v20
	s_delay_alu instid0(VALU_DEP_1) | instskip(NEXT) | instid1(VALU_DEP_1)
	v_fmac_f32_e32 v19, v21, v18
	v_fma_f32 v17, -v17, v19, v20
	s_delay_alu instid0(VALU_DEP_1) | instskip(NEXT) | instid1(VALU_DEP_1)
	v_div_fmas_f32 v17, v17, v18, v19
	v_div_fixup_f32 v2, v17, v4, v2
	ds_store_b32 v3, v2
	s_waitcnt lgkmcnt(0)
	s_waitcnt_vscnt null, 0x0
	buffer_gl0_inv
	s_and_saveexec_b32 s22, s0
	s_cbranch_execz .LBB11_57
; %bb.68:                               ;   in Loop: Header=BB11_58 Depth=2
	v_dual_mov_b32 v3, v14 :: v_dual_mov_b32 v4, v1
	v_mov_b32_e32 v17, v5
	s_mov_b32 s23, 0
.LBB11_69:                              ;   Parent Loop BB11_10 Depth=1
                                        ;     Parent Loop BB11_58 Depth=2
                                        ; =>    This Inner Loop Header: Depth=3
	ds_load_b32 v18, v4
	ds_load_b32 v19, v3
	v_add_nc_u32_e32 v17, 2, v17
	v_add_nc_u32_e32 v4, 0x108, v4
	s_delay_alu instid0(VALU_DEP_2)
	v_cmp_le_i32_e32 vcc_lo, s3, v17
	s_or_b32 s23, vcc_lo, s23
	s_waitcnt lgkmcnt(0)
	v_fmac_f32_e32 v19, v2, v18
	ds_store_b32 v3, v19
	v_add_nc_u32_e32 v3, 8, v3
	s_and_not1_b32 exec_lo, exec_lo, s23
	s_cbranch_execnz .LBB11_69
	s_branch .LBB11_57
.LBB11_70:                              ;   in Loop: Header=BB11_10 Depth=1
	s_and_saveexec_b32 s22, s0
	s_cbranch_execz .LBB11_9
; %bb.71:                               ;   in Loop: Header=BB11_10 Depth=1
	v_dual_mov_b32 v3, v15 :: v_dual_mov_b32 v4, v5
	s_mov_b32 s23, 0
	s_set_inst_prefetch_distance 0x1
	s_branch .LBB11_74
	.p2align	6
.LBB11_72:                              ;   in Loop: Header=BB11_74 Depth=2
	s_delay_alu instid0(VALU_DEP_1) | instskip(NEXT) | instid1(VALU_DEP_1)
	v_ashrrev_i32_e32 v2, 31, v1
	v_lshlrev_b64 v[1:2], 2, v[1:2]
	s_delay_alu instid0(VALU_DEP_1) | instskip(NEXT) | instid1(VALU_DEP_2)
	v_add_co_u32 v1, vcc_lo, s18, v1
	v_add_co_ci_u32_e32 v2, vcc_lo, s19, v2, vcc_lo
	s_waitcnt lgkmcnt(0)
	global_store_b32 v[1:2], v17, off
.LBB11_73:                              ;   in Loop: Header=BB11_74 Depth=2
	s_or_b32 exec_lo, exec_lo, s24
	v_add_nc_u32_e32 v4, 2, v4
	v_add_nc_u32_e32 v3, 8, v3
	s_delay_alu instid0(VALU_DEP_2) | instskip(SKIP_1) | instid1(SALU_CYCLE_1)
	v_cmp_le_i32_e32 vcc_lo, s3, v4
	s_or_b32 s23, vcc_lo, s23
	s_and_not1_b32 exec_lo, exec_lo, s23
	s_cbranch_execz .LBB11_9
.LBB11_74:                              ;   Parent Loop BB11_10 Depth=1
                                        ; =>  This Inner Loop Header: Depth=2
	s_and_saveexec_b32 s24, s1
	s_cbranch_execz .LBB11_73
; %bb.75:                               ;   in Loop: Header=BB11_74 Depth=2
	ds_load_b32 v17, v3
	s_and_b32 vcc_lo, exec_lo, s33
	s_cbranch_vccz .LBB11_77
; %bb.76:                               ;   in Loop: Header=BB11_74 Depth=2
	v_add_nc_u32_e32 v18, s21, v4
	s_delay_alu instid0(VALU_DEP_1)
	v_mad_u64_u32 v[1:2], null, v18, s3, v[0:1]
	s_cbranch_execnz .LBB11_72
	s_branch .LBB11_78
	.p2align	6
.LBB11_77:                              ;   in Loop: Header=BB11_74 Depth=2
                                        ; implicit-def: $vgpr1
.LBB11_78:                              ;   in Loop: Header=BB11_74 Depth=2
	v_add_nc_u32_e32 v1, v12, v4
	s_branch .LBB11_72
.LBB11_79:                              ;   in Loop: Header=BB11_10 Depth=1
                                        ; implicit-def: $sgpr20
                                        ; implicit-def: $vgpr12
	s_cbranch_execz .LBB11_10
.LBB11_80:
	v_cmp_gt_i32_e64 s0, s3, v5
	s_delay_alu instid0(VALU_DEP_1)
	s_and_saveexec_b32 s2, s0
	s_cbranch_execz .LBB11_93
; %bb.81:
	s_mul_i32 s4, s28, s3
	v_cmp_gt_i32_e64 s1, s3, v0
	v_dual_mov_b32 v8, v5 :: v_dual_add_nc_u32 v1, s4, v0
	v_add3_u32 v4, v7, v6, 0x1080
	s_cmp_lg_u32 s29, 0
	s_mov_b32 s5, 0
	s_delay_alu instid0(VALU_DEP_2)
	v_mul_lo_u32 v3, v1, s3
	s_cselect_b32 s12, -1, 0
	s_branch .LBB11_83
.LBB11_82:                              ;   in Loop: Header=BB11_83 Depth=1
	s_or_b32 exec_lo, exec_lo, s14
	v_add_nc_u32_e32 v8, 2, v8
	s_waitcnt vmcnt(0)
	ds_store_b32 v4, v2
	v_add_nc_u32_e32 v4, 8, v4
	v_cmp_le_i32_e32 vcc_lo, s3, v8
	s_or_b32 s5, vcc_lo, s5
	s_delay_alu instid0(SALU_CYCLE_1)
	s_and_not1_b32 exec_lo, exec_lo, s5
	s_cbranch_execz .LBB11_93
.LBB11_83:                              ; =>This Inner Loop Header: Depth=1
	s_and_b32 vcc_lo, exec_lo, s12
	s_cbranch_vccz .LBB11_88
; %bb.84:                               ;   in Loop: Header=BB11_83 Depth=1
	s_mov_b32 s14, 0
	s_mov_b32 s13, 0
                                        ; implicit-def: $vgpr1
	s_and_saveexec_b32 s15, s1
	s_delay_alu instid0(SALU_CYCLE_1)
	s_xor_b32 s15, exec_lo, s15
; %bb.85:                               ;   in Loop: Header=BB11_83 Depth=1
	v_add_nc_u32_e32 v9, s4, v8
	s_mov_b32 s13, exec_lo
	s_delay_alu instid0(VALU_DEP_1)
	v_mad_u64_u32 v[1:2], null, v9, s3, v[0:1]
; %bb.86:                               ;   in Loop: Header=BB11_83 Depth=1
	s_or_b32 exec_lo, exec_lo, s15
	s_delay_alu instid0(SALU_CYCLE_1)
	s_and_b32 vcc_lo, exec_lo, s14
	s_cbranch_vccnz .LBB11_89
.LBB11_87:                              ;   in Loop: Header=BB11_83 Depth=1
	v_mov_b32_e32 v2, s14
	s_and_saveexec_b32 s14, s13
	s_cbranch_execz .LBB11_82
	s_branch .LBB11_92
.LBB11_88:                              ;   in Loop: Header=BB11_83 Depth=1
	s_mov_b32 s14, -1
	s_mov_b32 s13, 0
                                        ; implicit-def: $vgpr1
	s_cbranch_execz .LBB11_87
.LBB11_89:                              ;   in Loop: Header=BB11_83 Depth=1
                                        ; implicit-def: $vgpr1
	s_and_saveexec_b32 s14, s1
; %bb.90:                               ;   in Loop: Header=BB11_83 Depth=1
	v_add_nc_u32_e32 v1, v3, v8
	s_or_b32 s13, s13, exec_lo
; %bb.91:                               ;   in Loop: Header=BB11_83 Depth=1
	s_or_b32 exec_lo, exec_lo, s14
	s_mov_b32 s14, 0
	s_delay_alu instid0(SALU_CYCLE_1)
	v_mov_b32_e32 v2, s14
	s_and_saveexec_b32 s14, s13
	s_cbranch_execz .LBB11_82
.LBB11_92:                              ;   in Loop: Header=BB11_83 Depth=1
	v_ashrrev_i32_e32 v2, 31, v1
	s_delay_alu instid0(VALU_DEP_1) | instskip(NEXT) | instid1(VALU_DEP_1)
	v_lshlrev_b64 v[1:2], 2, v[1:2]
	v_add_co_u32 v1, vcc_lo, s18, v1
	s_delay_alu instid0(VALU_DEP_2)
	v_add_co_ci_u32_e32 v2, vcc_lo, s19, v2, vcc_lo
	global_load_b32 v2, v[1:2], off
	s_branch .LBB11_82
.LBB11_93:
	s_or_b32 exec_lo, exec_lo, s2
; %bb.94:
	s_cmp_lt_i32 s3, 1
	s_waitcnt lgkmcnt(0)
	buffer_gl0_inv
	s_cbranch_scc1 .LBB11_107
; %bb.95:
	v_dual_mov_b32 v8, 0 :: v_dual_lshlrev_b32 v1, 2, v0
	v_or_b32_e32 v3, v5, v0
	s_movk_i32 s1, 0x1080
	s_mov_b32 s4, 0
	s_delay_alu instid0(VALU_DEP_2)
	v_mad_u32_u24 v4, 0x84, v0, v1
	v_add3_u32 v1, v7, v6, 0x2100
	v_mad_u32_u24 v2, 0x84, v5, s1
	v_cmp_ne_u32_e64 s1, 0, v3
	s_add_i32 s5, s16, s17
	v_add_nc_u32_e32 v3, 0x1080, v4
	v_add_nc_u32_e32 v4, 0x2100, v4
	s_branch .LBB11_97
.LBB11_96:                              ;   in Loop: Header=BB11_97 Depth=1
	s_or_b32 exec_lo, exec_lo, s2
	v_add_nc_u32_e32 v2, 4, v2
	s_add_i32 s4, s4, 1
	s_waitcnt lgkmcnt(0)
	s_waitcnt_vscnt null, 0x0
	buffer_gl0_inv
	s_cmp_eq_u32 s4, s3
	s_cbranch_scc1 .LBB11_107
.LBB11_97:                              ; =>This Loop Header: Depth=1
                                        ;     Child Loop BB11_106 Depth 2
	s_mov_b32 s12, exec_lo
	v_cmpx_eq_u32_e64 s4, v0
	s_cbranch_execz .LBB11_99
; %bb.98:                               ;   in Loop: Header=BB11_97 Depth=1
	ds_load_b32 v9, v3
	ds_load_b32 v10, v4
	s_waitcnt lgkmcnt(0)
	v_sub_f32_e32 v9, v9, v10
	s_delay_alu instid0(VALU_DEP_1) | instskip(SKIP_1) | instid1(VALU_DEP_1)
	v_cmp_gt_f32_e32 vcc_lo, 0, v9
	v_cndmask_b32_e64 v9, v9, -v9, vcc_lo
	v_mul_f32_e32 v10, 0x4f800000, v9
	v_cmp_gt_f32_e32 vcc_lo, 0xf800000, v9
	s_delay_alu instid0(VALU_DEP_2) | instskip(NEXT) | instid1(VALU_DEP_1)
	v_cndmask_b32_e32 v9, v9, v10, vcc_lo
	v_sqrt_f32_e32 v10, v9
	s_waitcnt_depctr 0xfff
	v_add_nc_u32_e32 v11, -1, v10
	v_add_nc_u32_e32 v12, 1, v10
	s_delay_alu instid0(VALU_DEP_2) | instskip(NEXT) | instid1(VALU_DEP_2)
	v_fma_f32 v13, -v11, v10, v9
	v_fma_f32 v14, -v12, v10, v9
	s_delay_alu instid0(VALU_DEP_2) | instskip(NEXT) | instid1(VALU_DEP_1)
	v_cmp_ge_f32_e64 s2, 0, v13
	v_cndmask_b32_e64 v10, v10, v11, s2
	s_delay_alu instid0(VALU_DEP_3) | instskip(NEXT) | instid1(VALU_DEP_1)
	v_cmp_lt_f32_e64 s2, 0, v14
	v_cndmask_b32_e64 v10, v10, v12, s2
	s_delay_alu instid0(VALU_DEP_1) | instskip(NEXT) | instid1(VALU_DEP_1)
	v_mul_f32_e32 v11, 0x37800000, v10
	v_cndmask_b32_e32 v10, v10, v11, vcc_lo
	v_cmp_class_f32_e64 vcc_lo, v9, 0x260
	s_delay_alu instid0(VALU_DEP_2)
	v_cndmask_b32_e32 v9, v10, v9, vcc_lo
	ds_store_b32 v3, v9
.LBB11_99:                              ;   in Loop: Header=BB11_97 Depth=1
	s_or_b32 exec_lo, exec_lo, s12
	s_lshl_b32 s2, s4, 2
	s_mul_i32 s12, s4, 0x84
	s_waitcnt lgkmcnt(0)
	buffer_gl0_inv
	s_add_i32 s12, s12, s2
	s_delay_alu instid0(SALU_CYCLE_1)
	v_mov_b32_e32 v9, s12
	ds_load_b32 v11, v9 offset:4224
	v_mad_u32_u24 v9, 0x84, v0, s2
	ds_load_b32 v10, v9 offset:4224
	s_waitcnt lgkmcnt(1)
	v_cmp_neq_f32_e32 vcc_lo, 0, v11
	v_cndmask_b32_e32 v11, 1.0, v11, vcc_lo
	s_or_b32 s2, vcc_lo, s1
	s_delay_alu instid0(SALU_CYCLE_1) | instskip(NEXT) | instid1(SALU_CYCLE_1)
	s_xor_b32 s12, s2, -1
	s_and_saveexec_b32 s2, s12
	s_cbranch_execz .LBB11_103
; %bb.100:                              ;   in Loop: Header=BB11_97 Depth=1
	v_mbcnt_lo_u32_b32 v11, exec_lo, 0
	s_mov_b32 s12, exec_lo
	s_delay_alu instid0(VALU_DEP_1)
	v_cmpx_eq_u32_e32 0, v11
	s_cbranch_execz .LBB11_102
; %bb.101:                              ;   in Loop: Header=BB11_97 Depth=1
	v_mov_b32_e32 v11, s5
	global_atomic_min_i32 v8, v11, s[10:11]
.LBB11_102:                             ;   in Loop: Header=BB11_97 Depth=1
	s_or_b32 exec_lo, exec_lo, s12
	v_mov_b32_e32 v11, 1.0
.LBB11_103:                             ;   in Loop: Header=BB11_97 Depth=1
	s_or_b32 exec_lo, exec_lo, s2
	s_delay_alu instid0(SALU_CYCLE_1)
	s_mov_b32 s2, exec_lo
	v_cmpx_lt_u32_e64 s4, v0
	s_cbranch_execz .LBB11_96
; %bb.104:                              ;   in Loop: Header=BB11_97 Depth=1
	v_lshl_add_u32 v12, s4, 2, v7
	ds_load_b32 v12, v12 offset:8448
	s_waitcnt lgkmcnt(0)
	v_sub_f32_e32 v10, v10, v12
	s_delay_alu instid0(VALU_DEP_1) | instskip(SKIP_1) | instid1(VALU_DEP_2)
	v_div_scale_f32 v12, null, v11, v11, v10
	v_div_scale_f32 v15, vcc_lo, v10, v11, v10
	v_rcp_f32_e32 v13, v12
	s_waitcnt_depctr 0xfff
	v_fma_f32 v14, -v12, v13, 1.0
	s_delay_alu instid0(VALU_DEP_1) | instskip(NEXT) | instid1(VALU_DEP_1)
	v_fmac_f32_e32 v13, v14, v13
	v_mul_f32_e32 v14, v15, v13
	s_delay_alu instid0(VALU_DEP_1) | instskip(NEXT) | instid1(VALU_DEP_1)
	v_fma_f32 v16, -v12, v14, v15
	v_fmac_f32_e32 v14, v16, v13
	s_delay_alu instid0(VALU_DEP_1) | instskip(NEXT) | instid1(VALU_DEP_1)
	v_fma_f32 v12, -v12, v14, v15
	v_div_fmas_f32 v12, v12, v13, v14
	v_add_nc_u32_e32 v13, 0x1080, v9
	s_delay_alu instid0(VALU_DEP_2)
	v_div_fixup_f32 v9, v12, v11, v10
	ds_store_b32 v13, v9
	s_waitcnt lgkmcnt(0)
	s_waitcnt_vscnt null, 0x0
	buffer_gl0_inv
	s_and_b32 exec_lo, exec_lo, s0
	s_cbranch_execz .LBB11_96
; %bb.105:                              ;   in Loop: Header=BB11_97 Depth=1
	v_dual_mov_b32 v10, v1 :: v_dual_mov_b32 v11, v2
	v_mov_b32_e32 v12, v5
	s_mov_b32 s12, 0
.LBB11_106:                             ;   Parent Loop BB11_97 Depth=1
                                        ; =>  This Inner Loop Header: Depth=2
	ds_load_b32 v13, v11
	ds_load_b32 v14, v10
	v_add_nc_u32_e32 v12, 2, v12
	v_add_nc_u32_e32 v11, 0x108, v11
	s_delay_alu instid0(VALU_DEP_2)
	v_cmp_le_i32_e32 vcc_lo, s3, v12
	s_or_b32 s12, vcc_lo, s12
	s_waitcnt lgkmcnt(0)
	v_fmac_f32_e32 v14, v9, v13
	ds_store_b32 v10, v14
	v_add_nc_u32_e32 v10, 8, v10
	s_and_not1_b32 exec_lo, exec_lo, s12
	s_cbranch_execnz .LBB11_106
	s_branch .LBB11_96
.LBB11_107:
	s_and_saveexec_b32 s1, s0
	s_cbranch_execz .LBB11_116
; %bb.108:
	s_mul_i32 s28, s28, s3
	v_add3_u32 v4, v7, v6, 0x1080
	v_dual_mov_b32 v6, v5 :: v_dual_add_nc_u32 v1, s28, v0
	v_cmp_gt_i32_e64 s0, s3, v0
	s_cmp_lg_u32 s29, 0
	s_mov_b32 s2, 0
	s_delay_alu instid0(VALU_DEP_2)
	v_mul_lo_u32 v3, v1, s3
	s_cselect_b32 s4, -1, 0
	s_set_inst_prefetch_distance 0x1
	s_branch .LBB11_111
	.p2align	6
.LBB11_109:                             ;   in Loop: Header=BB11_111 Depth=1
	s_delay_alu instid0(VALU_DEP_1) | instskip(NEXT) | instid1(VALU_DEP_1)
	v_ashrrev_i32_e32 v2, 31, v1
	v_lshlrev_b64 v[1:2], 2, v[1:2]
	s_delay_alu instid0(VALU_DEP_1) | instskip(NEXT) | instid1(VALU_DEP_2)
	v_add_co_u32 v1, vcc_lo, s18, v1
	v_add_co_ci_u32_e32 v2, vcc_lo, s19, v2, vcc_lo
	s_waitcnt lgkmcnt(0)
	global_store_b32 v[1:2], v7, off
.LBB11_110:                             ;   in Loop: Header=BB11_111 Depth=1
	s_or_b32 exec_lo, exec_lo, s5
	v_add_nc_u32_e32 v6, 2, v6
	v_add_nc_u32_e32 v4, 8, v4
	s_delay_alu instid0(VALU_DEP_2) | instskip(SKIP_1) | instid1(SALU_CYCLE_1)
	v_cmp_le_i32_e32 vcc_lo, s3, v6
	s_or_b32 s2, vcc_lo, s2
	s_and_not1_b32 exec_lo, exec_lo, s2
	s_cbranch_execz .LBB11_116
.LBB11_111:                             ; =>This Inner Loop Header: Depth=1
	s_and_saveexec_b32 s5, s0
	s_cbranch_execz .LBB11_110
; %bb.112:                              ;   in Loop: Header=BB11_111 Depth=1
	ds_load_b32 v7, v4
	s_and_b32 vcc_lo, exec_lo, s4
	s_cbranch_vccz .LBB11_114
; %bb.113:                              ;   in Loop: Header=BB11_111 Depth=1
	v_add_nc_u32_e32 v8, s28, v6
	s_delay_alu instid0(VALU_DEP_1)
	v_mad_u64_u32 v[1:2], null, v8, s3, v[0:1]
	s_cbranch_execnz .LBB11_109
	s_branch .LBB11_115
.LBB11_114:                             ;   in Loop: Header=BB11_111 Depth=1
                                        ; implicit-def: $vgpr1
.LBB11_115:                             ;   in Loop: Header=BB11_111 Depth=1
	v_add_nc_u32_e32 v1, v3, v6
	s_branch .LBB11_109
.LBB11_116:
	s_set_inst_prefetch_distance 0x2
	s_or_b32 exec_lo, exec_lo, s1
	v_or_b32_e32 v1, v5, v0
	s_delay_alu instid0(VALU_DEP_1)
	v_cmp_eq_u32_e64 s3, 0, v1
.LBB11_117:
	s_delay_alu instid0(VALU_DEP_1)
	s_and_saveexec_b32 s0, s3
	s_cbranch_execnz .LBB11_125
.LBB11_118:
	s_nop 0
	s_sendmsg sendmsg(MSG_DEALLOC_VGPRS)
	s_endpgm
.LBB11_119:
	s_cbranch_execz .LBB11_117
; %bb.120:
	v_or_b32_e32 v0, v5, v0
	s_mov_b32 s0, exec_lo
	s_delay_alu instid0(VALU_DEP_1)
	v_cmpx_eq_u32_e32 0, v0
	s_cbranch_execz .LBB11_124
; %bb.121:
	v_mbcnt_lo_u32_b32 v0, exec_lo, 0
	s_mov_b32 s1, exec_lo
	s_delay_alu instid0(VALU_DEP_1)
	v_cmpx_eq_u32_e32 0, v0
	s_cbranch_execz .LBB11_123
; %bb.122:
	s_add_i32 s2, s16, s17
	s_delay_alu instid0(SALU_CYCLE_1)
	v_dual_mov_b32 v0, 0 :: v_dual_mov_b32 v1, s2
	global_atomic_min_i32 v0, v1, s[10:11]
.LBB11_123:
	s_or_b32 exec_lo, exec_lo, s1
	s_delay_alu instid0(SALU_CYCLE_1)
	s_or_b32 s3, s3, exec_lo
.LBB11_124:
	s_or_b32 exec_lo, exec_lo, s0
	s_and_saveexec_b32 s0, s3
	s_cbranch_execz .LBB11_118
.LBB11_125:
	v_dual_mov_b32 v0, 0 :: v_dual_mov_b32 v1, 1
	s_add_u32 s0, s6, s8
	s_addc_u32 s1, s7, s9
	s_waitcnt_vscnt null, 0x0
	global_store_b32 v0, v1, s[0:1]
	s_nop 0
	s_sendmsg sendmsg(MSG_DEALLOC_VGPRS)
	s_endpgm
	.section	.rodata,"a",@progbits
	.p2align	6, 0x0
	.amdhsa_kernel _ZN9rocsparseL19bsric0_17_32_kernelILi64ELi32ELi32EfEEv20rocsparse_direction_iiPKiS3_PT2_S3_PiS3_S6_21rocsparse_index_base_
		.amdhsa_group_segment_fixed_size 13056
		.amdhsa_private_segment_fixed_size 0
		.amdhsa_kernarg_size 76
		.amdhsa_user_sgpr_count 15
		.amdhsa_user_sgpr_dispatch_ptr 0
		.amdhsa_user_sgpr_queue_ptr 0
		.amdhsa_user_sgpr_kernarg_segment_ptr 1
		.amdhsa_user_sgpr_dispatch_id 0
		.amdhsa_user_sgpr_private_segment_size 0
		.amdhsa_wavefront_size32 1
		.amdhsa_uses_dynamic_stack 0
		.amdhsa_enable_private_segment 0
		.amdhsa_system_sgpr_workgroup_id_x 1
		.amdhsa_system_sgpr_workgroup_id_y 0
		.amdhsa_system_sgpr_workgroup_id_z 0
		.amdhsa_system_sgpr_workgroup_info 0
		.amdhsa_system_vgpr_workitem_id 1
		.amdhsa_next_free_vgpr 25
		.amdhsa_next_free_sgpr 45
		.amdhsa_reserve_vcc 1
		.amdhsa_float_round_mode_32 0
		.amdhsa_float_round_mode_16_64 0
		.amdhsa_float_denorm_mode_32 3
		.amdhsa_float_denorm_mode_16_64 3
		.amdhsa_dx10_clamp 1
		.amdhsa_ieee_mode 1
		.amdhsa_fp16_overflow 0
		.amdhsa_workgroup_processor_mode 1
		.amdhsa_memory_ordered 1
		.amdhsa_forward_progress 0
		.amdhsa_shared_vgpr_count 0
		.amdhsa_exception_fp_ieee_invalid_op 0
		.amdhsa_exception_fp_denorm_src 0
		.amdhsa_exception_fp_ieee_div_zero 0
		.amdhsa_exception_fp_ieee_overflow 0
		.amdhsa_exception_fp_ieee_underflow 0
		.amdhsa_exception_fp_ieee_inexact 0
		.amdhsa_exception_int_div_zero 0
	.end_amdhsa_kernel
	.section	.text._ZN9rocsparseL19bsric0_17_32_kernelILi64ELi32ELi32EfEEv20rocsparse_direction_iiPKiS3_PT2_S3_PiS3_S6_21rocsparse_index_base_,"axG",@progbits,_ZN9rocsparseL19bsric0_17_32_kernelILi64ELi32ELi32EfEEv20rocsparse_direction_iiPKiS3_PT2_S3_PiS3_S6_21rocsparse_index_base_,comdat
.Lfunc_end11:
	.size	_ZN9rocsparseL19bsric0_17_32_kernelILi64ELi32ELi32EfEEv20rocsparse_direction_iiPKiS3_PT2_S3_PiS3_S6_21rocsparse_index_base_, .Lfunc_end11-_ZN9rocsparseL19bsric0_17_32_kernelILi64ELi32ELi32EfEEv20rocsparse_direction_iiPKiS3_PT2_S3_PiS3_S6_21rocsparse_index_base_
                                        ; -- End function
	.section	.AMDGPU.csdata,"",@progbits
; Kernel info:
; codeLenInByte = 4004
; NumSgprs: 47
; NumVgprs: 25
; ScratchSize: 0
; MemoryBound: 0
; FloatMode: 240
; IeeeMode: 1
; LDSByteSize: 13056 bytes/workgroup (compile time only)
; SGPRBlocks: 5
; VGPRBlocks: 3
; NumSGPRsForWavesPerEU: 47
; NumVGPRsForWavesPerEU: 25
; Occupancy: 5
; WaveLimiterHint : 1
; COMPUTE_PGM_RSRC2:SCRATCH_EN: 0
; COMPUTE_PGM_RSRC2:USER_SGPR: 15
; COMPUTE_PGM_RSRC2:TRAP_HANDLER: 0
; COMPUTE_PGM_RSRC2:TGID_X_EN: 1
; COMPUTE_PGM_RSRC2:TGID_Y_EN: 0
; COMPUTE_PGM_RSRC2:TGID_Z_EN: 0
; COMPUTE_PGM_RSRC2:TIDIG_COMP_CNT: 1
	.section	.text._ZN9rocsparseL23bsric0_binsearch_kernelILj64ELj64ELb0EfEEv20rocsparse_direction_iiPKiS3_PT2_S3_PiS3_S6_21rocsparse_index_base_,"axG",@progbits,_ZN9rocsparseL23bsric0_binsearch_kernelILj64ELj64ELb0EfEEv20rocsparse_direction_iiPKiS3_PT2_S3_PiS3_S6_21rocsparse_index_base_,comdat
	.globl	_ZN9rocsparseL23bsric0_binsearch_kernelILj64ELj64ELb0EfEEv20rocsparse_direction_iiPKiS3_PT2_S3_PiS3_S6_21rocsparse_index_base_ ; -- Begin function _ZN9rocsparseL23bsric0_binsearch_kernelILj64ELj64ELb0EfEEv20rocsparse_direction_iiPKiS3_PT2_S3_PiS3_S6_21rocsparse_index_base_
	.p2align	8
	.type	_ZN9rocsparseL23bsric0_binsearch_kernelILj64ELj64ELb0EfEEv20rocsparse_direction_iiPKiS3_PT2_S3_PiS3_S6_21rocsparse_index_base_,@function
_ZN9rocsparseL23bsric0_binsearch_kernelILj64ELj64ELb0EfEEv20rocsparse_direction_iiPKiS3_PT2_S3_PiS3_S6_21rocsparse_index_base_: ; @_ZN9rocsparseL23bsric0_binsearch_kernelILj64ELj64ELb0EfEEv20rocsparse_direction_iiPKiS3_PT2_S3_PiS3_S6_21rocsparse_index_base_
; %bb.0:
	s_mov_b32 s2, s15
	s_load_b256 s[8:15], s[0:1], 0x28
	s_ashr_i32 s3, s2, 31
	s_delay_alu instid0(SALU_CYCLE_1)
	s_lshl_b64 s[2:3], s[2:3], 2
	s_waitcnt lgkmcnt(0)
	s_add_u32 s2, s12, s2
	s_addc_u32 s3, s13, s3
	s_load_b32 s12, s[2:3], 0x0
	s_waitcnt lgkmcnt(0)
	s_ashr_i32 s13, s12, 31
	s_delay_alu instid0(SALU_CYCLE_1) | instskip(SKIP_1) | instid1(SALU_CYCLE_1)
	v_dual_mov_b32 v2, s12 :: v_dual_mov_b32 v3, s13
	s_lshl_b64 s[2:3], s[12:13], 2
	s_add_u32 s2, s8, s2
	s_addc_u32 s3, s9, s3
	s_load_b32 s24, s[2:3], 0x0
	s_load_b32 s7, s[0:1], 0x48
	s_mov_b32 s2, 0
	s_waitcnt lgkmcnt(0)
	s_cmp_lg_u32 s24, -1
	s_cselect_b32 s3, -1, 0
	s_delay_alu instid0(SALU_CYCLE_1) | instskip(NEXT) | instid1(SALU_CYCLE_1)
	s_and_saveexec_b32 s4, s3
	s_xor_b32 s23, exec_lo, s4
	s_cbranch_execnz .LBB12_4
; %bb.1:
	s_and_not1_saveexec_b32 s0, s23
	s_cbranch_execnz .LBB12_70
.LBB12_2:
	s_or_b32 exec_lo, exec_lo, s0
	s_and_saveexec_b32 s0, s2
	s_cbranch_execnz .LBB12_77
.LBB12_3:
	s_nop 0
	s_sendmsg sendmsg(MSG_DEALLOC_VGPRS)
	s_endpgm
.LBB12_4:
	s_load_b32 s25, s[0:1], 0x8
	s_mov_b32 s26, exec_lo
	s_waitcnt lgkmcnt(0)
	v_cmpx_gt_i32_e64 s25, v0
	s_cbranch_execz .LBB12_69
; %bb.5:
	s_clause 0x1
	s_load_b128 s[16:19], s[0:1], 0x10
	s_load_b32 s5, s[0:1], 0x0
	v_lshlrev_b64 v[3:4], 2, s[12:13]
	s_load_b64 s[20:21], s[0:1], 0x20
	v_dual_mov_b32 v20, v0 :: v_dual_add_nc_u32 v15, s7, v2
	s_mul_i32 s27, s25, s25
	v_cmp_ne_u32_e64 s0, 0, v0
	v_mul_lo_u32 v18, s24, s27
	s_mov_b32 s28, 0
	v_mov_b32_e32 v16, 0
	s_waitcnt lgkmcnt(0)
	v_add_co_u32 v3, vcc_lo, s16, v3
	v_add_co_ci_u32_e32 v4, vcc_lo, s17, v4, vcc_lo
	s_cmp_eq_u32 s5, 0
	s_cselect_b32 s1, -1, 0
	global_load_b64 v[3:4], v[3:4], off
	s_cmp_lg_u32 s5, 0
	s_cselect_b32 s29, -1, 0
	s_waitcnt vmcnt(0)
	v_subrev_nc_u32_e32 v13, s7, v3
	v_xad_u32 v14, s7, -1, v4
	s_delay_alu instid0(VALU_DEP_2) | instskip(NEXT) | instid1(VALU_DEP_2)
	v_mul_lo_u32 v17, s27, v13
	v_add_nc_u32_e32 v1, v14, v13
	v_cmp_gt_i32_e64 s2, s24, v13
	v_cmp_le_i32_e64 s3, s24, v13
	v_cmp_lt_i32_e64 s4, v13, v14
	s_delay_alu instid0(VALU_DEP_4) | instskip(SKIP_1) | instid1(VALU_DEP_2)
	v_ashrrev_i32_e32 v1, 1, v1
	v_add_nc_u32_e32 v19, v17, v0
	v_ashrrev_i32_e32 v2, 31, v1
	s_delay_alu instid0(VALU_DEP_1) | instskip(NEXT) | instid1(VALU_DEP_1)
	v_lshlrev_b64 v[2:3], 2, v[1:2]
	v_add_co_u32 v2, vcc_lo, s18, v2
	s_delay_alu instid0(VALU_DEP_2)
	v_add_co_ci_u32_e32 v3, vcc_lo, s19, v3, vcc_lo
	s_branch .LBB12_7
.LBB12_6:                               ;   in Loop: Header=BB12_7 Depth=1
	v_add_nc_u32_e32 v20, 64, v20
	v_add_nc_u32_e32 v19, 64, v19
	s_delay_alu instid0(VALU_DEP_2) | instskip(SKIP_1) | instid1(SALU_CYCLE_1)
	v_cmp_le_i32_e32 vcc_lo, s25, v20
	s_or_b32 s28, vcc_lo, s28
	s_and_not1_b32 exec_lo, exec_lo, s28
	s_cbranch_execz .LBB12_69
.LBB12_7:                               ; =>This Loop Header: Depth=1
                                        ;     Child Loop BB12_12 Depth 2
                                        ;       Child Loop BB12_15 Depth 3
                                        ;       Child Loop BB12_19 Depth 3
                                        ;         Child Loop BB12_21 Depth 4
                                        ;         Child Loop BB12_28 Depth 4
                                        ;           Child Loop BB12_30 Depth 5
                                        ;           Child Loop BB12_36 Depth 5
                                        ;     Child Loop BB12_43 Depth 2
                                        ;       Child Loop BB12_47 Depth 3
                                        ;       Child Loop BB12_55 Depth 3
                                        ;         Child Loop BB12_57 Depth 4
                                        ;       Child Loop BB12_65 Depth 3
	v_mul_lo_u32 v21, v20, s25
                                        ; implicit-def: $sgpr5
	s_and_saveexec_b32 s6, s3
	s_delay_alu instid0(SALU_CYCLE_1)
	s_xor_b32 s6, exec_lo, s6
; %bb.8:                                ;   in Loop: Header=BB12_7 Depth=1
	v_mul_lo_u32 v21, v20, s25
	s_mov_b32 s5, 0
; %bb.9:                                ;   in Loop: Header=BB12_7 Depth=1
	s_or_saveexec_b32 s30, s6
	v_mov_b32_e32 v22, s5
	s_xor_b32 exec_lo, exec_lo, s30
	s_cbranch_execz .LBB12_40
; %bb.10:                               ;   in Loop: Header=BB12_7 Depth=1
	v_mov_b32_e32 v22, 0
	v_mov_b32_e32 v4, v13
	s_mov_b32 s31, 0
	s_branch .LBB12_12
.LBB12_11:                              ;   in Loop: Header=BB12_12 Depth=2
	s_or_b32 exec_lo, exec_lo, s33
	v_add_nc_u32_e32 v4, 1, v4
	s_xor_b32 s5, s5, -1
	s_delay_alu instid0(VALU_DEP_1) | instskip(SKIP_1) | instid1(SALU_CYCLE_1)
	v_cmp_le_i32_e32 vcc_lo, s24, v4
	s_or_b32 s5, s5, vcc_lo
	s_and_b32 s5, exec_lo, s5
	s_delay_alu instid0(SALU_CYCLE_1) | instskip(NEXT) | instid1(SALU_CYCLE_1)
	s_or_b32 s31, s5, s31
	s_and_not1_b32 exec_lo, exec_lo, s31
	s_cbranch_execz .LBB12_39
.LBB12_12:                              ;   Parent Loop BB12_7 Depth=1
                                        ; =>  This Loop Header: Depth=2
                                        ;       Child Loop BB12_15 Depth 3
                                        ;       Child Loop BB12_19 Depth 3
                                        ;         Child Loop BB12_21 Depth 4
                                        ;         Child Loop BB12_28 Depth 4
                                        ;           Child Loop BB12_30 Depth 5
                                        ;           Child Loop BB12_36 Depth 5
	s_delay_alu instid0(VALU_DEP_1) | instskip(NEXT) | instid1(VALU_DEP_1)
	v_ashrrev_i32_e32 v5, 31, v4
	v_lshlrev_b64 v[5:6], 2, v[4:5]
	s_delay_alu instid0(VALU_DEP_1) | instskip(NEXT) | instid1(VALU_DEP_2)
	v_add_co_u32 v5, vcc_lo, s18, v5
	v_add_co_ci_u32_e32 v6, vcc_lo, s19, v6, vcc_lo
	global_load_b32 v23, v[5:6], off
	s_waitcnt vmcnt(0)
	v_subrev_nc_u32_e32 v5, s7, v23
	s_delay_alu instid0(VALU_DEP_1) | instskip(NEXT) | instid1(VALU_DEP_1)
	v_ashrrev_i32_e32 v6, 31, v5
	v_lshlrev_b64 v[6:7], 2, v[5:6]
	s_delay_alu instid0(VALU_DEP_1) | instskip(NEXT) | instid1(VALU_DEP_2)
	v_add_co_u32 v8, vcc_lo, s8, v6
	v_add_co_ci_u32_e32 v9, vcc_lo, s9, v7, vcc_lo
	global_load_b32 v24, v[8:9], off
	s_waitcnt vmcnt(0)
	v_cmp_ne_u32_e64 s5, -1, v24
	s_delay_alu instid0(VALU_DEP_1)
	s_and_saveexec_b32 s33, s5
	s_cbranch_execz .LBB12_11
; %bb.13:                               ;   in Loop: Header=BB12_12 Depth=2
	v_add_co_u32 v8, vcc_lo, s16, v6
	v_add_co_ci_u32_e32 v9, vcc_lo, s17, v7, vcc_lo
	v_add_co_u32 v6, vcc_lo, s10, v6
	v_add_co_ci_u32_e32 v7, vcc_lo, s11, v7, vcc_lo
	s_mov_b32 s6, exec_lo
	global_load_b32 v8, v[8:9], off
	global_load_b32 v9, v[6:7], off glc
	s_waitcnt vmcnt(0)
	v_cmpx_eq_u32_e32 0, v9
	s_cbranch_execz .LBB12_16
; %bb.14:                               ;   in Loop: Header=BB12_12 Depth=2
	s_mov_b32 s22, 0
.LBB12_15:                              ;   Parent Loop BB12_7 Depth=1
                                        ;     Parent Loop BB12_12 Depth=2
                                        ; =>    This Inner Loop Header: Depth=3
	global_load_b32 v9, v[6:7], off glc
	s_waitcnt vmcnt(0)
	v_cmp_ne_u32_e32 vcc_lo, 0, v9
	s_or_b32 s22, vcc_lo, s22
	s_delay_alu instid0(SALU_CYCLE_1)
	s_and_not1_b32 exec_lo, exec_lo, s22
	s_cbranch_execnz .LBB12_15
.LBB12_16:                              ;   in Loop: Header=BB12_12 Depth=2
	s_or_b32 exec_lo, exec_lo, s6
	v_mul_lo_u32 v6, v4, s27
	v_subrev_nc_u32_e32 v25, s7, v8
	v_mul_lo_u32 v26, v5, s25
	v_mul_lo_u32 v27, v24, s27
	s_mov_b32 s34, 0
	buffer_gl1_inv
	buffer_gl0_inv
	v_mul_lo_u32 v28, s27, v25
	v_cmp_le_i32_e64 s6, v25, v24
	v_add_nc_u32_e32 v29, v6, v20
	v_add_nc_u32_e32 v30, v6, v21
	s_branch .LBB12_19
.LBB12_17:                              ;   in Loop: Header=BB12_19 Depth=3
	s_or_b32 exec_lo, exec_lo, s36
.LBB12_18:                              ;   in Loop: Header=BB12_19 Depth=3
	s_delay_alu instid0(SALU_CYCLE_1) | instskip(SKIP_3) | instid1(SALU_CYCLE_1)
	s_or_b32 exec_lo, exec_lo, s35
	s_waitcnt vmcnt(0)
	v_dual_sub_f32 v7, v32, v33 :: v_dual_add_nc_u32 v28, 1, v28
	s_add_i32 s34, s34, 1
	s_cmp_eq_u32 s34, s25
	s_delay_alu instid0(VALU_DEP_1) | instskip(SKIP_1) | instid1(VALU_DEP_2)
	v_div_scale_f32 v8, null, v31, v31, v7
	v_div_scale_f32 v11, vcc_lo, v7, v31, v7
	v_rcp_f32_e32 v9, v8
	s_waitcnt_depctr 0xfff
	v_fma_f32 v10, -v8, v9, 1.0
	s_delay_alu instid0(VALU_DEP_1) | instskip(NEXT) | instid1(VALU_DEP_1)
	v_fmac_f32_e32 v9, v10, v9
	v_mul_f32_e32 v10, v11, v9
	s_delay_alu instid0(VALU_DEP_1) | instskip(NEXT) | instid1(VALU_DEP_1)
	v_fma_f32 v12, -v8, v10, v11
	v_fmac_f32_e32 v10, v12, v9
	s_delay_alu instid0(VALU_DEP_1) | instskip(NEXT) | instid1(VALU_DEP_1)
	v_fma_f32 v8, -v8, v10, v11
	v_div_fmas_f32 v8, v8, v9, v10
	s_delay_alu instid0(VALU_DEP_1) | instskip(NEXT) | instid1(VALU_DEP_1)
	v_div_fixup_f32 v7, v8, v31, v7
	v_fmac_f32_e32 v22, v7, v7
	global_store_b32 v[5:6], v7, off
	s_cbranch_scc1 .LBB12_11
.LBB12_19:                              ;   Parent Loop BB12_7 Depth=1
                                        ;     Parent Loop BB12_12 Depth=2
                                        ; =>    This Loop Header: Depth=3
                                        ;         Child Loop BB12_21 Depth 4
                                        ;         Child Loop BB12_28 Depth 4
                                        ;           Child Loop BB12_30 Depth 5
                                        ;           Child Loop BB12_36 Depth 5
	s_mul_i32 s22, s34, s25
	s_delay_alu instid0(SALU_CYCLE_1) | instskip(NEXT) | instid1(VALU_DEP_1)
	v_add3_u32 v5, s22, s34, v27
	v_ashrrev_i32_e32 v6, 31, v5
	s_delay_alu instid0(VALU_DEP_1) | instskip(NEXT) | instid1(VALU_DEP_1)
	v_lshlrev_b64 v[5:6], 2, v[5:6]
	v_add_co_u32 v5, vcc_lo, s20, v5
	s_delay_alu instid0(VALU_DEP_2)
	v_add_co_ci_u32_e32 v6, vcc_lo, s21, v6, vcc_lo
	global_load_b32 v5, v[5:6], off
	s_waitcnt vmcnt(0)
	v_cmp_neq_f32_e32 vcc_lo, 0, v5
	v_cndmask_b32_e32 v31, 1.0, v5, vcc_lo
	s_or_b32 s35, vcc_lo, s0
	s_delay_alu instid0(SALU_CYCLE_1) | instskip(NEXT) | instid1(SALU_CYCLE_1)
	s_xor_b32 s36, s35, -1
	s_and_saveexec_b32 s35, s36
	s_cbranch_execz .LBB12_25
; %bb.20:                               ;   in Loop: Header=BB12_19 Depth=3
	s_mov_b32 s37, exec_lo
	s_brev_b32 s36, -2
.LBB12_21:                              ;   Parent Loop BB12_7 Depth=1
                                        ;     Parent Loop BB12_12 Depth=2
                                        ;       Parent Loop BB12_19 Depth=3
                                        ; =>      This Inner Loop Header: Depth=4
	s_ctz_i32_b32 s38, s37
	s_delay_alu instid0(SALU_CYCLE_1) | instskip(SKIP_1) | instid1(SALU_CYCLE_1)
	v_readlane_b32 s39, v23, s38
	s_lshl_b32 s38, 1, s38
	s_and_not1_b32 s37, s37, s38
	s_delay_alu instid0(VALU_DEP_1)
	s_min_i32 s36, s36, s39
	s_cmp_lg_u32 s37, 0
	s_cbranch_scc1 .LBB12_21
; %bb.22:                               ;   in Loop: Header=BB12_19 Depth=3
	v_mbcnt_lo_u32_b32 v5, exec_lo, 0
	s_mov_b32 s37, exec_lo
	s_delay_alu instid0(VALU_DEP_1)
	v_cmpx_eq_u32_e32 0, v5
	s_xor_b32 s37, exec_lo, s37
	s_cbranch_execz .LBB12_24
; %bb.23:                               ;   in Loop: Header=BB12_19 Depth=3
	v_mov_b32_e32 v5, s36
	global_atomic_min_i32 v16, v5, s[14:15]
.LBB12_24:                              ;   in Loop: Header=BB12_19 Depth=3
	s_or_b32 exec_lo, exec_lo, s37
	v_mov_b32_e32 v31, 1.0
.LBB12_25:                              ;   in Loop: Header=BB12_19 Depth=3
	s_or_b32 exec_lo, exec_lo, s35
	v_add_nc_u32_e32 v5, s22, v29
	v_dual_mov_b32 v33, 0 :: v_dual_add_nc_u32 v6, s34, v30
	s_delay_alu instid0(VALU_DEP_1) | instskip(NEXT) | instid1(VALU_DEP_1)
	v_cndmask_b32_e64 v5, v5, v6, s1
	v_ashrrev_i32_e32 v6, 31, v5
	s_delay_alu instid0(VALU_DEP_1) | instskip(NEXT) | instid1(VALU_DEP_1)
	v_lshlrev_b64 v[5:6], 2, v[5:6]
	v_add_co_u32 v5, vcc_lo, s20, v5
	s_delay_alu instid0(VALU_DEP_2)
	v_add_co_ci_u32_e32 v6, vcc_lo, s21, v6, vcc_lo
	global_load_b32 v32, v[5:6], off
	s_and_saveexec_b32 s35, s6
	s_cbranch_execz .LBB12_18
; %bb.26:                               ;   in Loop: Header=BB12_19 Depth=3
	global_load_b32 v34, v[2:3], off
	v_dual_mov_b32 v36, v28 :: v_dual_add_nc_u32 v35, s34, v26
	v_mov_b32_e32 v33, 0
	v_mov_b32_e32 v7, v25
	s_mov_b32 s36, 0
	s_branch .LBB12_28
.LBB12_27:                              ;   in Loop: Header=BB12_28 Depth=4
	s_set_inst_prefetch_distance 0x2
	s_or_b32 exec_lo, exec_lo, s37
	v_add_nc_u32_e32 v8, 1, v7
	v_cmp_ge_i32_e32 vcc_lo, v7, v24
	s_delay_alu instid0(VALU_DEP_2) | instskip(SKIP_1) | instid1(SALU_CYCLE_1)
	v_dual_mov_b32 v7, v8 :: v_dual_add_nc_u32 v36, s27, v36
	s_or_b32 s36, vcc_lo, s36
	s_and_not1_b32 exec_lo, exec_lo, s36
	s_cbranch_execz .LBB12_17
.LBB12_28:                              ;   Parent Loop BB12_7 Depth=1
                                        ;     Parent Loop BB12_12 Depth=2
                                        ;       Parent Loop BB12_19 Depth=3
                                        ; =>      This Loop Header: Depth=4
                                        ;           Child Loop BB12_30 Depth 5
                                        ;           Child Loop BB12_36 Depth 5
	s_delay_alu instid0(VALU_DEP_1) | instskip(NEXT) | instid1(VALU_DEP_1)
	v_ashrrev_i32_e32 v8, 31, v7
	v_lshlrev_b64 v[8:9], 2, v[7:8]
	s_delay_alu instid0(VALU_DEP_1) | instskip(NEXT) | instid1(VALU_DEP_2)
	v_add_co_u32 v8, vcc_lo, s18, v8
	v_add_co_ci_u32_e32 v9, vcc_lo, s19, v9, vcc_lo
	global_load_b32 v10, v[8:9], off
	s_waitcnt vmcnt(1)
	v_dual_mov_b32 v9, v34 :: v_dual_mov_b32 v8, v1
	s_and_saveexec_b32 s37, s4
	s_cbranch_execz .LBB12_32
; %bb.29:                               ;   in Loop: Header=BB12_28 Depth=4
	v_dual_mov_b32 v9, v34 :: v_dual_mov_b32 v8, v1
	v_dual_mov_b32 v11, v14 :: v_dual_mov_b32 v12, v13
	s_mov_b32 s38, 0
	.p2align	6
.LBB12_30:                              ;   Parent Loop BB12_7 Depth=1
                                        ;     Parent Loop BB12_12 Depth=2
                                        ;       Parent Loop BB12_19 Depth=3
                                        ;         Parent Loop BB12_28 Depth=4
                                        ; =>        This Inner Loop Header: Depth=5
	s_delay_alu instid0(VALU_DEP_2) | instskip(SKIP_2) | instid1(VALU_DEP_2)
	v_add_nc_u32_e32 v37, 1, v8
	s_waitcnt vmcnt(0)
	v_cmp_lt_i32_e32 vcc_lo, v9, v10
	v_cndmask_b32_e32 v12, v12, v37, vcc_lo
	v_cndmask_b32_e32 v11, v8, v11, vcc_lo
	s_delay_alu instid0(VALU_DEP_1) | instskip(NEXT) | instid1(VALU_DEP_1)
	v_add_nc_u32_e32 v8, v11, v12
	v_ashrrev_i32_e32 v8, 1, v8
	s_delay_alu instid0(VALU_DEP_1) | instskip(NEXT) | instid1(VALU_DEP_1)
	v_ashrrev_i32_e32 v9, 31, v8
	v_lshlrev_b64 v[37:38], 2, v[8:9]
	s_delay_alu instid0(VALU_DEP_1) | instskip(NEXT) | instid1(VALU_DEP_2)
	v_add_co_u32 v37, vcc_lo, s18, v37
	v_add_co_ci_u32_e32 v38, vcc_lo, s19, v38, vcc_lo
	v_cmp_ge_i32_e32 vcc_lo, v12, v11
	global_load_b32 v9, v[37:38], off
	s_or_b32 s38, vcc_lo, s38
	s_delay_alu instid0(SALU_CYCLE_1)
	s_and_not1_b32 exec_lo, exec_lo, s38
	s_cbranch_execnz .LBB12_30
; %bb.31:                               ;   in Loop: Header=BB12_28 Depth=4
	s_or_b32 exec_lo, exec_lo, s38
.LBB12_32:                              ;   in Loop: Header=BB12_28 Depth=4
	s_delay_alu instid0(SALU_CYCLE_1) | instskip(NEXT) | instid1(SALU_CYCLE_1)
	s_or_b32 exec_lo, exec_lo, s37
	s_mov_b32 s37, exec_lo
	s_waitcnt vmcnt(0)
	v_cmpx_eq_u32_e64 v9, v10
	s_cbranch_execz .LBB12_27
; %bb.33:                               ;   in Loop: Header=BB12_28 Depth=4
	v_mul_lo_u32 v11, v8, s27
	v_subrev_nc_u32_e32 v10, s7, v10
	v_mad_u64_u32 v[8:9], null, v7, s27, s[22:23]
	v_mov_b32_e32 v40, v36
	s_mov_b32 s38, 0
	s_delay_alu instid0(VALU_DEP_3)
	v_mul_lo_u32 v37, v10, s25
	v_add_nc_u32_e32 v38, v11, v21
	v_add_nc_u32_e32 v39, v20, v11
	s_set_inst_prefetch_distance 0x1
	s_branch .LBB12_36
	.p2align	6
.LBB12_34:                              ;   in Loop: Header=BB12_36 Depth=5
	s_delay_alu instid0(VALU_DEP_1) | instskip(NEXT) | instid1(VALU_DEP_2)
	v_ashrrev_i32_e32 v12, 31, v11
	v_ashrrev_i32_e32 v10, 31, v9
	s_delay_alu instid0(VALU_DEP_2) | instskip(NEXT) | instid1(VALU_DEP_2)
	v_lshlrev_b64 v[11:12], 2, v[11:12]
	v_lshlrev_b64 v[9:10], 2, v[9:10]
	s_delay_alu instid0(VALU_DEP_2) | instskip(NEXT) | instid1(VALU_DEP_3)
	v_add_co_u32 v11, vcc_lo, s20, v11
	v_add_co_ci_u32_e32 v12, vcc_lo, s21, v12, vcc_lo
	s_delay_alu instid0(VALU_DEP_3) | instskip(NEXT) | instid1(VALU_DEP_4)
	v_add_co_u32 v9, vcc_lo, s20, v9
	v_add_co_ci_u32_e32 v10, vcc_lo, s21, v10, vcc_lo
	s_clause 0x1
	global_load_b32 v11, v[11:12], off
	global_load_b32 v9, v[9:10], off
	s_waitcnt vmcnt(0)
	v_fmac_f32_e32 v33, v11, v9
.LBB12_35:                              ;   in Loop: Header=BB12_36 Depth=5
	s_or_b32 exec_lo, exec_lo, s39
	v_add_nc_u32_e32 v39, s25, v39
	v_add_nc_u32_e32 v40, s25, v40
	s_add_i32 s38, s38, 1
	s_delay_alu instid0(SALU_CYCLE_1)
	s_cmp_lg_u32 s25, s38
	s_cbranch_scc0 .LBB12_27
.LBB12_36:                              ;   Parent Loop BB12_7 Depth=1
                                        ;     Parent Loop BB12_12 Depth=2
                                        ;       Parent Loop BB12_19 Depth=3
                                        ;         Parent Loop BB12_28 Depth=4
                                        ; =>        This Inner Loop Header: Depth=5
	s_delay_alu instid0(VALU_DEP_3) | instskip(SKIP_1) | instid1(VALU_DEP_1)
	v_add_nc_u32_e32 v9, s38, v37
	s_mov_b32 s39, exec_lo
	v_cmpx_lt_i32_e64 v9, v35
	s_cbranch_execz .LBB12_35
; %bb.37:                               ;   in Loop: Header=BB12_36 Depth=5
	v_mov_b32_e32 v9, v39
	v_mov_b32_e32 v11, v40
	s_and_not1_b32 vcc_lo, exec_lo, s1
	s_cbranch_vccnz .LBB12_34
; %bb.38:                               ;   in Loop: Header=BB12_36 Depth=5
	v_add_nc_u32_e32 v11, s38, v8
	v_add_nc_u32_e32 v9, s38, v38
	s_branch .LBB12_34
.LBB12_39:                              ;   in Loop: Header=BB12_7 Depth=1
	s_or_b32 exec_lo, exec_lo, s31
.LBB12_40:                              ;   in Loop: Header=BB12_7 Depth=1
	s_delay_alu instid0(SALU_CYCLE_1) | instskip(NEXT) | instid1(VALU_DEP_2)
	s_or_b32 exec_lo, exec_lo, s30
	v_add_nc_u32_e32 v10, v21, v18
	v_mov_b32_e32 v11, v17
	s_mov_b32 s6, 0
	s_branch .LBB12_43
.LBB12_41:                              ;   in Loop: Header=BB12_43 Depth=2
	s_set_inst_prefetch_distance 0x2
	s_waitcnt vmcnt(0)
	s_delay_alu instid0(VALU_DEP_1) | instskip(NEXT) | instid1(VALU_DEP_1)
	v_sub_f32_e32 v6, v24, v25
	v_div_scale_f32 v7, null, v23, v23, v6
	s_delay_alu instid0(VALU_DEP_1) | instskip(SKIP_2) | instid1(VALU_DEP_1)
	v_rcp_f32_e32 v8, v7
	s_waitcnt_depctr 0xfff
	v_fma_f32 v9, -v7, v8, 1.0
	v_fmac_f32_e32 v8, v9, v8
	v_div_scale_f32 v9, vcc_lo, v6, v23, v6
	s_delay_alu instid0(VALU_DEP_1) | instskip(NEXT) | instid1(VALU_DEP_1)
	v_mul_f32_e32 v12, v9, v8
	v_fma_f32 v24, -v7, v12, v9
	s_delay_alu instid0(VALU_DEP_1) | instskip(NEXT) | instid1(VALU_DEP_1)
	v_fmac_f32_e32 v12, v24, v8
	v_fma_f32 v7, -v7, v12, v9
	s_delay_alu instid0(VALU_DEP_1) | instskip(NEXT) | instid1(VALU_DEP_1)
	v_div_fmas_f32 v7, v7, v8, v12
	v_div_fixup_f32 v6, v7, v23, v6
	s_delay_alu instid0(VALU_DEP_1)
	v_fmac_f32_e32 v22, v6, v6
	global_store_b32 v[4:5], v6, off
.LBB12_42:                              ;   in Loop: Header=BB12_43 Depth=2
	s_or_b32 exec_lo, exec_lo, s5
	v_add_nc_u32_e32 v11, 1, v11
	s_add_i32 s6, s6, 1
	s_waitcnt_vscnt null, 0x0
	buffer_gl1_inv
	buffer_gl0_inv
	s_cmp_eq_u32 s6, s25
	s_cbranch_scc1 .LBB12_6
.LBB12_43:                              ;   Parent Loop BB12_7 Depth=1
                                        ; =>  This Loop Header: Depth=2
                                        ;       Child Loop BB12_47 Depth 3
                                        ;       Child Loop BB12_55 Depth 3
                                        ;         Child Loop BB12_57 Depth 4
                                        ;       Child Loop BB12_65 Depth 3
	s_mul_i32 s22, s6, s25
	s_mov_b32 s30, exec_lo
	v_add_nc_u32_e32 v12, s22, v18
	s_delay_alu instid0(VALU_DEP_1) | instskip(NEXT) | instid1(VALU_DEP_1)
	v_add_nc_u32_e32 v4, s6, v12
	v_ashrrev_i32_e32 v5, 31, v4
	s_delay_alu instid0(VALU_DEP_1)
	v_lshlrev_b64 v[4:5], 2, v[4:5]
	v_cmpx_eq_u32_e64 s6, v20
	s_cbranch_execz .LBB12_45
; %bb.44:                               ;   in Loop: Header=BB12_43 Depth=2
	s_delay_alu instid0(VALU_DEP_2) | instskip(NEXT) | instid1(VALU_DEP_3)
	v_add_co_u32 v6, vcc_lo, s20, v4
	v_add_co_ci_u32_e32 v7, vcc_lo, s21, v5, vcc_lo
	global_load_b32 v8, v[6:7], off
	s_waitcnt vmcnt(0)
	v_sub_f32_e32 v8, v8, v22
	s_delay_alu instid0(VALU_DEP_1) | instskip(SKIP_1) | instid1(VALU_DEP_1)
	v_cmp_gt_f32_e32 vcc_lo, 0, v8
	v_cndmask_b32_e64 v8, v8, -v8, vcc_lo
	v_mul_f32_e32 v9, 0x4f800000, v8
	v_cmp_gt_f32_e32 vcc_lo, 0xf800000, v8
	s_delay_alu instid0(VALU_DEP_2) | instskip(NEXT) | instid1(VALU_DEP_1)
	v_cndmask_b32_e32 v8, v8, v9, vcc_lo
	v_sqrt_f32_e32 v9, v8
	s_waitcnt_depctr 0xfff
	v_add_nc_u32_e32 v23, -1, v9
	v_add_nc_u32_e32 v24, 1, v9
	s_delay_alu instid0(VALU_DEP_2) | instskip(NEXT) | instid1(VALU_DEP_2)
	v_fma_f32 v25, -v23, v9, v8
	v_fma_f32 v26, -v24, v9, v8
	s_delay_alu instid0(VALU_DEP_2) | instskip(NEXT) | instid1(VALU_DEP_1)
	v_cmp_ge_f32_e64 s5, 0, v25
	v_cndmask_b32_e64 v9, v9, v23, s5
	s_delay_alu instid0(VALU_DEP_3) | instskip(NEXT) | instid1(VALU_DEP_1)
	v_cmp_lt_f32_e64 s5, 0, v26
	v_cndmask_b32_e64 v9, v9, v24, s5
	s_delay_alu instid0(VALU_DEP_1) | instskip(NEXT) | instid1(VALU_DEP_1)
	v_mul_f32_e32 v23, 0x37800000, v9
	v_cndmask_b32_e32 v9, v9, v23, vcc_lo
	v_cmp_class_f32_e64 vcc_lo, v8, 0x260
	s_delay_alu instid0(VALU_DEP_2)
	v_cndmask_b32_e32 v8, v9, v8, vcc_lo
	global_store_b32 v[6:7], v8, off
.LBB12_45:                              ;   in Loop: Header=BB12_43 Depth=2
	s_or_b32 exec_lo, exec_lo, s30
	s_delay_alu instid0(VALU_DEP_2) | instskip(NEXT) | instid1(VALU_DEP_3)
	v_add_co_u32 v4, vcc_lo, s20, v4
	v_add_co_ci_u32_e32 v5, vcc_lo, s21, v5, vcc_lo
	s_waitcnt_vscnt null, 0x0
	buffer_gl1_inv
	buffer_gl0_inv
	global_load_b32 v4, v[4:5], off
	s_waitcnt vmcnt(0)
	v_cmp_neq_f32_e32 vcc_lo, 0, v4
	v_cndmask_b32_e32 v23, 1.0, v4, vcc_lo
	s_or_b32 s5, vcc_lo, s0
	s_delay_alu instid0(SALU_CYCLE_1) | instskip(NEXT) | instid1(SALU_CYCLE_1)
	s_xor_b32 s30, s5, -1
	s_and_saveexec_b32 s5, s30
	s_cbranch_execz .LBB12_51
; %bb.46:                               ;   in Loop: Header=BB12_43 Depth=2
	s_mov_b32 s31, exec_lo
	s_brev_b32 s30, -2
.LBB12_47:                              ;   Parent Loop BB12_7 Depth=1
                                        ;     Parent Loop BB12_43 Depth=2
                                        ; =>    This Inner Loop Header: Depth=3
	s_ctz_i32_b32 s33, s31
	s_delay_alu instid0(SALU_CYCLE_1) | instskip(SKIP_1) | instid1(SALU_CYCLE_1)
	v_readlane_b32 s34, v15, s33
	s_lshl_b32 s33, 1, s33
	s_and_not1_b32 s31, s31, s33
	s_delay_alu instid0(VALU_DEP_1)
	s_min_i32 s30, s30, s34
	s_cmp_lg_u32 s31, 0
	s_cbranch_scc1 .LBB12_47
; %bb.48:                               ;   in Loop: Header=BB12_43 Depth=2
	v_mbcnt_lo_u32_b32 v4, exec_lo, 0
	s_mov_b32 s31, exec_lo
	s_delay_alu instid0(VALU_DEP_1)
	v_cmpx_eq_u32_e32 0, v4
	s_xor_b32 s31, exec_lo, s31
	s_cbranch_execz .LBB12_50
; %bb.49:                               ;   in Loop: Header=BB12_43 Depth=2
	v_mov_b32_e32 v4, s30
	global_atomic_min_i32 v16, v4, s[14:15]
.LBB12_50:                              ;   in Loop: Header=BB12_43 Depth=2
	s_or_b32 exec_lo, exec_lo, s31
	v_mov_b32_e32 v23, 1.0
.LBB12_51:                              ;   in Loop: Header=BB12_43 Depth=2
	s_or_b32 exec_lo, exec_lo, s5
	s_delay_alu instid0(SALU_CYCLE_1)
	s_mov_b32 s5, exec_lo
	v_cmpx_lt_i32_e64 s6, v20
	s_cbranch_execz .LBB12_42
; %bb.52:                               ;   in Loop: Header=BB12_43 Depth=2
	v_dual_mov_b32 v25, 0 :: v_dual_add_nc_u32 v4, v12, v20
	v_add_nc_u32_e32 v5, s6, v10
	s_delay_alu instid0(VALU_DEP_1) | instskip(NEXT) | instid1(VALU_DEP_1)
	v_cndmask_b32_e64 v4, v4, v5, s1
	v_ashrrev_i32_e32 v5, 31, v4
	s_delay_alu instid0(VALU_DEP_1) | instskip(NEXT) | instid1(VALU_DEP_1)
	v_lshlrev_b64 v[4:5], 2, v[4:5]
	v_add_co_u32 v4, vcc_lo, s20, v4
	s_delay_alu instid0(VALU_DEP_2)
	v_add_co_ci_u32_e32 v5, vcc_lo, s21, v5, vcc_lo
	global_load_b32 v24, v[4:5], off
	s_and_saveexec_b32 s30, s2
	s_cbranch_execz .LBB12_62
; %bb.53:                               ;   in Loop: Header=BB12_43 Depth=2
	v_dual_mov_b32 v25, 0 :: v_dual_mov_b32 v26, v11
	v_dual_mov_b32 v27, v19 :: v_dual_mov_b32 v28, v13
	s_mov_b32 s31, 0
	s_branch .LBB12_55
.LBB12_54:                              ;   in Loop: Header=BB12_55 Depth=3
	s_set_inst_prefetch_distance 0x2
	v_add_nc_u32_e32 v28, 1, v28
	v_add_nc_u32_e32 v27, s27, v27
	;; [unrolled: 1-line block ×3, first 2 shown]
	s_delay_alu instid0(VALU_DEP_3) | instskip(SKIP_1) | instid1(SALU_CYCLE_1)
	v_cmp_le_i32_e32 vcc_lo, s24, v28
	s_or_b32 s31, vcc_lo, s31
	s_and_not1_b32 exec_lo, exec_lo, s31
	s_cbranch_execz .LBB12_61
.LBB12_55:                              ;   Parent Loop BB12_7 Depth=1
                                        ;     Parent Loop BB12_43 Depth=2
                                        ; =>    This Loop Header: Depth=3
                                        ;         Child Loop BB12_57 Depth 4
	s_delay_alu instid0(VALU_DEP_1) | instskip(SKIP_3) | instid1(VALU_DEP_1)
	v_mul_lo_u32 v6, v28, s27
	s_mov_b32 s33, s25
	s_mov_b32 s34, 0
	;; [unrolled: 1-line block ×3, first 2 shown]
	v_add_nc_u32_e32 v29, s22, v6
	v_add_nc_u32_e32 v30, v6, v21
	s_set_inst_prefetch_distance 0x1
	s_branch .LBB12_57
	.p2align	6
.LBB12_56:                              ;   in Loop: Header=BB12_57 Depth=4
	s_delay_alu instid0(VALU_DEP_2) | instskip(NEXT) | instid1(VALU_DEP_2)
	v_ashrrev_i32_e32 v7, 31, v6
	v_ashrrev_i32_e32 v9, 31, v8
	s_add_i32 s33, s33, -1
	s_add_i32 s35, s35, 1
	s_add_i32 s34, s34, s25
	v_lshlrev_b64 v[6:7], 2, v[6:7]
	v_lshlrev_b64 v[8:9], 2, v[8:9]
	s_cmp_eq_u32 s33, 0
	s_delay_alu instid0(VALU_DEP_2) | instskip(NEXT) | instid1(VALU_DEP_3)
	v_add_co_u32 v6, vcc_lo, s20, v6
	v_add_co_ci_u32_e32 v7, vcc_lo, s21, v7, vcc_lo
	s_delay_alu instid0(VALU_DEP_3) | instskip(NEXT) | instid1(VALU_DEP_4)
	v_add_co_u32 v8, vcc_lo, s20, v8
	v_add_co_ci_u32_e32 v9, vcc_lo, s21, v9, vcc_lo
	s_clause 0x1
	global_load_b32 v6, v[6:7], off
	global_load_b32 v7, v[8:9], off
	s_waitcnt vmcnt(0)
	v_fmac_f32_e32 v25, v6, v7
	s_cbranch_scc1 .LBB12_54
.LBB12_57:                              ;   Parent Loop BB12_7 Depth=1
                                        ;     Parent Loop BB12_43 Depth=2
                                        ;       Parent Loop BB12_55 Depth=3
                                        ; =>      This Inner Loop Header: Depth=4
	s_and_b32 vcc_lo, exec_lo, s29
	s_cbranch_vccz .LBB12_59
; %bb.58:                               ;   in Loop: Header=BB12_57 Depth=4
	v_add_nc_u32_e32 v6, s34, v26
	v_add_nc_u32_e32 v8, s34, v27
	s_cbranch_execnz .LBB12_56
	s_branch .LBB12_60
	.p2align	6
.LBB12_59:                              ;   in Loop: Header=BB12_57 Depth=4
                                        ; implicit-def: $vgpr6
                                        ; implicit-def: $vgpr8
.LBB12_60:                              ;   in Loop: Header=BB12_57 Depth=4
	v_add_nc_u32_e32 v6, s35, v29
	v_add_nc_u32_e32 v8, s35, v30
	s_branch .LBB12_56
.LBB12_61:                              ;   in Loop: Header=BB12_43 Depth=2
	s_or_b32 exec_lo, exec_lo, s31
.LBB12_62:                              ;   in Loop: Header=BB12_43 Depth=2
	s_delay_alu instid0(SALU_CYCLE_1)
	s_or_b32 exec_lo, exec_lo, s30
	s_cmp_eq_u32 s6, 0
	s_cbranch_scc1 .LBB12_41
; %bb.63:                               ;   in Loop: Header=BB12_43 Depth=2
	v_mov_b32_e32 v26, v18
	s_mov_b32 s22, 0
	s_set_inst_prefetch_distance 0x1
	s_branch .LBB12_65
	.p2align	6
.LBB12_64:                              ;   in Loop: Header=BB12_65 Depth=3
	s_delay_alu instid0(VALU_DEP_2) | instskip(NEXT) | instid1(VALU_DEP_2)
	v_ashrrev_i32_e32 v7, 31, v6
	v_ashrrev_i32_e32 v9, 31, v8
	s_add_i32 s22, s22, 1
	v_add_nc_u32_e32 v26, s25, v26
	s_cmp_ge_u32 s22, s6
	v_lshlrev_b64 v[6:7], 2, v[6:7]
	v_lshlrev_b64 v[8:9], 2, v[8:9]
	s_delay_alu instid0(VALU_DEP_2) | instskip(NEXT) | instid1(VALU_DEP_3)
	v_add_co_u32 v6, vcc_lo, s20, v6
	v_add_co_ci_u32_e32 v7, vcc_lo, s21, v7, vcc_lo
	s_delay_alu instid0(VALU_DEP_3) | instskip(NEXT) | instid1(VALU_DEP_4)
	v_add_co_u32 v8, vcc_lo, s20, v8
	v_add_co_ci_u32_e32 v9, vcc_lo, s21, v9, vcc_lo
	s_clause 0x1
	global_load_b32 v6, v[6:7], off
	global_load_b32 v7, v[8:9], off
	s_waitcnt vmcnt(0)
	v_fmac_f32_e32 v25, v6, v7
	s_cbranch_scc1 .LBB12_41
.LBB12_65:                              ;   Parent Loop BB12_7 Depth=1
                                        ;     Parent Loop BB12_43 Depth=2
                                        ; =>    This Inner Loop Header: Depth=3
	s_and_b32 vcc_lo, exec_lo, s29
	s_cbranch_vccz .LBB12_67
; %bb.66:                               ;   in Loop: Header=BB12_65 Depth=3
	v_add_nc_u32_e32 v6, s6, v26
	v_add_nc_u32_e32 v8, v20, v26
	s_cbranch_execnz .LBB12_64
	s_branch .LBB12_68
	.p2align	6
.LBB12_67:                              ;   in Loop: Header=BB12_65 Depth=3
                                        ; implicit-def: $vgpr6
                                        ; implicit-def: $vgpr8
.LBB12_68:                              ;   in Loop: Header=BB12_65 Depth=3
	v_add_nc_u32_e32 v6, s22, v12
	v_add_nc_u32_e32 v8, s22, v10
	s_branch .LBB12_64
.LBB12_69:
	s_or_b32 exec_lo, exec_lo, s26
	v_cmp_eq_u32_e32 vcc_lo, 63, v0
                                        ; implicit-def: $vgpr0
                                        ; implicit-def: $vgpr2_vgpr3
	s_and_b32 s2, vcc_lo, exec_lo
	s_and_not1_saveexec_b32 s0, s23
	s_cbranch_execz .LBB12_2
.LBB12_70:
	s_mov_b32 s3, s2
	s_mov_b32 s1, exec_lo
	v_cmpx_eq_u32_e32 63, v0
	s_cbranch_execz .LBB12_76
; %bb.71:
	v_add_nc_u32_e32 v0, s7, v2
	s_mov_b32 s4, exec_lo
	s_brev_b32 s3, -2
.LBB12_72:                              ; =>This Inner Loop Header: Depth=1
	s_ctz_i32_b32 s5, s4
	s_delay_alu instid0(VALU_DEP_1) | instid1(SALU_CYCLE_1)
	v_readlane_b32 s6, v0, s5
	s_lshl_b32 s5, 1, s5
	s_delay_alu instid0(SALU_CYCLE_1) | instskip(NEXT) | instid1(VALU_DEP_1)
	s_and_not1_b32 s4, s4, s5
	s_min_i32 s3, s3, s6
	s_cmp_lg_u32 s4, 0
	s_cbranch_scc1 .LBB12_72
; %bb.73:
	v_mbcnt_lo_u32_b32 v0, exec_lo, 0
	s_mov_b32 s4, exec_lo
	s_delay_alu instid0(VALU_DEP_1)
	v_cmpx_eq_u32_e32 0, v0
	s_xor_b32 s4, exec_lo, s4
	s_cbranch_execz .LBB12_75
; %bb.74:
	v_dual_mov_b32 v0, 0 :: v_dual_mov_b32 v1, s3
	global_atomic_min_i32 v0, v1, s[14:15]
.LBB12_75:
	s_or_b32 exec_lo, exec_lo, s4
	s_delay_alu instid0(SALU_CYCLE_1)
	s_or_b32 s3, s2, exec_lo
.LBB12_76:
	s_or_b32 exec_lo, exec_lo, s1
	s_delay_alu instid0(SALU_CYCLE_1) | instskip(SKIP_1) | instid1(SALU_CYCLE_1)
	s_and_not1_b32 s1, s2, exec_lo
	s_and_b32 s2, s3, exec_lo
	s_or_b32 s2, s1, s2
	s_or_b32 exec_lo, exec_lo, s0
	s_and_saveexec_b32 s0, s2
	s_cbranch_execz .LBB12_3
.LBB12_77:
	v_lshlrev_b64 v[0:1], 2, s[12:13]
	v_mov_b32_e32 v2, 1
	s_delay_alu instid0(VALU_DEP_2) | instskip(NEXT) | instid1(VALU_DEP_3)
	v_add_co_u32 v0, vcc_lo, s10, v0
	v_add_co_ci_u32_e32 v1, vcc_lo, s11, v1, vcc_lo
	s_waitcnt_vscnt null, 0x0
	global_store_b32 v[0:1], v2, off
	s_nop 0
	s_sendmsg sendmsg(MSG_DEALLOC_VGPRS)
	s_endpgm
	.section	.rodata,"a",@progbits
	.p2align	6, 0x0
	.amdhsa_kernel _ZN9rocsparseL23bsric0_binsearch_kernelILj64ELj64ELb0EfEEv20rocsparse_direction_iiPKiS3_PT2_S3_PiS3_S6_21rocsparse_index_base_
		.amdhsa_group_segment_fixed_size 0
		.amdhsa_private_segment_fixed_size 0
		.amdhsa_kernarg_size 76
		.amdhsa_user_sgpr_count 15
		.amdhsa_user_sgpr_dispatch_ptr 0
		.amdhsa_user_sgpr_queue_ptr 0
		.amdhsa_user_sgpr_kernarg_segment_ptr 1
		.amdhsa_user_sgpr_dispatch_id 0
		.amdhsa_user_sgpr_private_segment_size 0
		.amdhsa_wavefront_size32 1
		.amdhsa_uses_dynamic_stack 0
		.amdhsa_enable_private_segment 0
		.amdhsa_system_sgpr_workgroup_id_x 1
		.amdhsa_system_sgpr_workgroup_id_y 0
		.amdhsa_system_sgpr_workgroup_id_z 0
		.amdhsa_system_sgpr_workgroup_info 0
		.amdhsa_system_vgpr_workitem_id 0
		.amdhsa_next_free_vgpr 41
		.amdhsa_next_free_sgpr 40
		.amdhsa_reserve_vcc 1
		.amdhsa_float_round_mode_32 0
		.amdhsa_float_round_mode_16_64 0
		.amdhsa_float_denorm_mode_32 3
		.amdhsa_float_denorm_mode_16_64 3
		.amdhsa_dx10_clamp 1
		.amdhsa_ieee_mode 1
		.amdhsa_fp16_overflow 0
		.amdhsa_workgroup_processor_mode 1
		.amdhsa_memory_ordered 1
		.amdhsa_forward_progress 0
		.amdhsa_shared_vgpr_count 0
		.amdhsa_exception_fp_ieee_invalid_op 0
		.amdhsa_exception_fp_denorm_src 0
		.amdhsa_exception_fp_ieee_div_zero 0
		.amdhsa_exception_fp_ieee_overflow 0
		.amdhsa_exception_fp_ieee_underflow 0
		.amdhsa_exception_fp_ieee_inexact 0
		.amdhsa_exception_int_div_zero 0
	.end_amdhsa_kernel
	.section	.text._ZN9rocsparseL23bsric0_binsearch_kernelILj64ELj64ELb0EfEEv20rocsparse_direction_iiPKiS3_PT2_S3_PiS3_S6_21rocsparse_index_base_,"axG",@progbits,_ZN9rocsparseL23bsric0_binsearch_kernelILj64ELj64ELb0EfEEv20rocsparse_direction_iiPKiS3_PT2_S3_PiS3_S6_21rocsparse_index_base_,comdat
.Lfunc_end12:
	.size	_ZN9rocsparseL23bsric0_binsearch_kernelILj64ELj64ELb0EfEEv20rocsparse_direction_iiPKiS3_PT2_S3_PiS3_S6_21rocsparse_index_base_, .Lfunc_end12-_ZN9rocsparseL23bsric0_binsearch_kernelILj64ELj64ELb0EfEEv20rocsparse_direction_iiPKiS3_PT2_S3_PiS3_S6_21rocsparse_index_base_
                                        ; -- End function
	.section	.AMDGPU.csdata,"",@progbits
; Kernel info:
; codeLenInByte = 3084
; NumSgprs: 42
; NumVgprs: 41
; ScratchSize: 0
; MemoryBound: 0
; FloatMode: 240
; IeeeMode: 1
; LDSByteSize: 0 bytes/workgroup (compile time only)
; SGPRBlocks: 5
; VGPRBlocks: 5
; NumSGPRsForWavesPerEU: 42
; NumVGPRsForWavesPerEU: 41
; Occupancy: 16
; WaveLimiterHint : 1
; COMPUTE_PGM_RSRC2:SCRATCH_EN: 0
; COMPUTE_PGM_RSRC2:USER_SGPR: 15
; COMPUTE_PGM_RSRC2:TRAP_HANDLER: 0
; COMPUTE_PGM_RSRC2:TGID_X_EN: 1
; COMPUTE_PGM_RSRC2:TGID_Y_EN: 0
; COMPUTE_PGM_RSRC2:TGID_Z_EN: 0
; COMPUTE_PGM_RSRC2:TIDIG_COMP_CNT: 0
	.section	.text._ZN9rocsparseL17bsric0_2_8_kernelILi64ELi64ELi8EfEEv20rocsparse_direction_iiPKiS3_PT2_S3_PiS3_S6_21rocsparse_index_base_,"axG",@progbits,_ZN9rocsparseL17bsric0_2_8_kernelILi64ELi64ELi8EfEEv20rocsparse_direction_iiPKiS3_PT2_S3_PiS3_S6_21rocsparse_index_base_,comdat
	.globl	_ZN9rocsparseL17bsric0_2_8_kernelILi64ELi64ELi8EfEEv20rocsparse_direction_iiPKiS3_PT2_S3_PiS3_S6_21rocsparse_index_base_ ; -- Begin function _ZN9rocsparseL17bsric0_2_8_kernelILi64ELi64ELi8EfEEv20rocsparse_direction_iiPKiS3_PT2_S3_PiS3_S6_21rocsparse_index_base_
	.p2align	8
	.type	_ZN9rocsparseL17bsric0_2_8_kernelILi64ELi64ELi8EfEEv20rocsparse_direction_iiPKiS3_PT2_S3_PiS3_S6_21rocsparse_index_base_,@function
_ZN9rocsparseL17bsric0_2_8_kernelILi64ELi64ELi8EfEEv20rocsparse_direction_iiPKiS3_PT2_S3_PiS3_S6_21rocsparse_index_base_: ; @_ZN9rocsparseL17bsric0_2_8_kernelILi64ELi64ELi8EfEEv20rocsparse_direction_iiPKiS3_PT2_S3_PiS3_S6_21rocsparse_index_base_
; %bb.0:
	s_load_b256 s[4:11], s[0:1], 0x28
	s_mov_b32 s2, s15
	s_mov_b32 s3, 0
	v_and_b32_e32 v6, 0x3ff, v0
	s_lshl_b64 s[12:13], s[2:3], 2
	v_bfe_u32 v7, v0, 10, 10
	s_waitcnt lgkmcnt(0)
	s_add_u32 s8, s8, s12
	s_addc_u32 s9, s9, s13
	s_load_b32 s16, s[8:9], 0x0
	s_waitcnt lgkmcnt(0)
	s_ashr_i32 s17, s16, 31
	s_delay_alu instid0(SALU_CYCLE_1) | instskip(NEXT) | instid1(SALU_CYCLE_1)
	s_lshl_b64 s[8:9], s[16:17], 2
	s_add_u32 s12, s4, s8
	s_addc_u32 s13, s5, s9
	s_load_b32 s28, s[12:13], 0x0
	s_load_b32 s17, s[0:1], 0x48
	s_waitcnt lgkmcnt(0)
	s_cmp_lg_u32 s28, -1
	s_cbranch_scc0 .LBB13_96
; %bb.1:
	s_clause 0x1
	s_load_b128 s[12:15], s[0:1], 0x10
	s_load_b64 s[18:19], s[0:1], 0x20
	v_lshlrev_b32_e32 v0, 3, v7
	v_lshlrev_b32_e32 v3, 2, v6
	s_mov_b32 s20, exec_lo
	s_waitcnt lgkmcnt(0)
	s_add_u32 s2, s12, s8
	s_addc_u32 s3, s13, s9
	s_load_b32 s2, s[2:3], 0x0
	s_waitcnt lgkmcnt(0)
	s_sub_i32 s3, s2, s17
	s_delay_alu instid0(SALU_CYCLE_1) | instskip(NEXT) | instid1(VALU_DEP_1)
	v_add3_u32 v0, v0, v6, s3
	v_cmpx_ge_i32_e64 s28, v0
	s_cbranch_execz .LBB13_4
; %bb.2:
	v_ashrrev_i32_e32 v1, 31, v0
	v_lshlrev_b32_e32 v4, 5, v7
	s_mov_b32 s21, 0
	s_delay_alu instid0(VALU_DEP_2) | instskip(NEXT) | instid1(VALU_DEP_2)
	v_lshlrev_b64 v[1:2], 2, v[0:1]
	v_add3_u32 v4, v4, v3, 0x680
	s_delay_alu instid0(VALU_DEP_2) | instskip(NEXT) | instid1(VALU_DEP_3)
	v_add_co_u32 v1, vcc_lo, s14, v1
	v_add_co_ci_u32_e32 v2, vcc_lo, s15, v2, vcc_lo
	.p2align	6
.LBB13_3:                               ; =>This Inner Loop Header: Depth=1
	global_load_b32 v5, v[1:2], off
	v_add_nc_u32_e32 v0, 64, v0
	v_add_co_u32 v1, vcc_lo, 0x100, v1
	v_add_co_ci_u32_e32 v2, vcc_lo, 0, v2, vcc_lo
	s_delay_alu instid0(VALU_DEP_3) | instskip(NEXT) | instid1(VALU_DEP_1)
	v_cmp_lt_i32_e64 s2, s28, v0
	s_or_b32 s21, s2, s21
	s_waitcnt vmcnt(0)
	v_subrev_nc_u32_e32 v5, s17, v5
	ds_store_b32 v4, v5
	v_add_nc_u32_e32 v4, 0x100, v4
	s_and_not1_b32 exec_lo, exec_lo, s21
	s_cbranch_execnz .LBB13_3
.LBB13_4:
	s_or_b32 exec_lo, exec_lo, s20
	s_clause 0x1
	s_load_b32 s30, s[0:1], 0x0
	s_load_b32 s29, s[0:1], 0x8
	v_mad_u32_u24 v8, v7, 36, v3
	v_mov_b32_e32 v10, 0
	s_cmp_ge_i32 s3, s28
	s_delay_alu instid0(VALU_DEP_2)
	v_add_nc_u32_e32 v9, 0x360, v8
	ds_store_b32 v8, v10 offset:864
	s_waitcnt lgkmcnt(0)
	buffer_gl0_inv
	s_cbranch_scc1 .LBB13_74
; %bb.5:
	v_cmp_gt_i32_e64 s0, s29, v6
	v_cmp_gt_i32_e64 s1, s29, v7
	s_cmp_eq_u32 s30, 0
	v_mad_u32_u24 v11, v7, 36, 0x240
	s_cselect_b32 vcc_lo, -1, 0
	s_cmp_lg_u32 s30, 0
	v_or_b32_e32 v0, v6, v7
	s_cselect_b32 s31, -1, 0
	s_and_b32 s33, s0, s1
	s_cmp_gt_i32 s29, 0
	v_mul_lo_u32 v13, v6, s29
	v_mul_lo_u32 v14, v7, s29
	s_cselect_b32 s34, -1, 0
	s_cmp_lg_u32 s29, 1
	v_add_nc_u32_e32 v12, v11, v3
	v_add_nc_u32_e32 v15, 0x120, v8
	v_cmp_ne_u32_e64 s2, 0, v0
	v_dual_cndmask_b32 v0, v7, v6 :: v_dual_cndmask_b32 v1, v6, v7
	v_mov_b32_e32 v16, 0
	s_cselect_b32 s35, -1, 0
	s_and_b32 s36, s29, 0x7ffffffe
	v_mul_u32_u24_e32 v17, 36, v7
	v_mul_u32_u24_e32 v18, 36, v6
	s_bitcmp1_b32 s29, 0
	s_mul_i32 s37, s29, s29
	s_cselect_b32 s38, -1, 0
	s_mov_b32 s20, s3
	s_branch .LBB13_8
.LBB13_6:                               ;   in Loop: Header=BB13_8 Depth=1
	s_or_b32 exec_lo, exec_lo, s21
	s_add_i32 s20, s20, 1
	s_waitcnt_vscnt null, 0x0
	buffer_gl1_inv
	buffer_gl0_inv
	s_cmp_ge_i32 s20, s28
	s_cselect_b32 s26, -1, 0
.LBB13_7:                               ;   in Loop: Header=BB13_8 Depth=1
	s_delay_alu instid0(SALU_CYCLE_1)
	s_and_b32 vcc_lo, exec_lo, s26
	s_cbranch_vccnz .LBB13_74
.LBB13_8:                               ; =>This Loop Header: Depth=1
                                        ;     Child Loop BB13_13 Depth 2
                                        ;     Child Loop BB13_24 Depth 2
	;; [unrolled: 1-line block ×3, first 2 shown]
                                        ;       Child Loop BB13_55 Depth 3
                                        ;       Child Loop BB13_61 Depth 3
                                        ;     Child Loop BB13_70 Depth 2
	s_ashr_i32 s21, s20, 31
	s_delay_alu instid0(SALU_CYCLE_1) | instskip(NEXT) | instid1(SALU_CYCLE_1)
	s_lshl_b64 s[22:23], s[20:21], 2
	s_add_u32 s22, s14, s22
	s_addc_u32 s23, s15, s23
	s_load_b32 s21, s[22:23], 0x0
	s_waitcnt lgkmcnt(0)
	s_sub_i32 s24, s21, s17
	s_delay_alu instid0(SALU_CYCLE_1) | instskip(NEXT) | instid1(SALU_CYCLE_1)
	s_ashr_i32 s25, s24, 31
	s_lshl_b64 s[22:23], s[24:25], 2
	s_delay_alu instid0(SALU_CYCLE_1)
	s_add_u32 s26, s4, s22
	s_addc_u32 s27, s5, s23
	s_load_b32 s25, s[26:27], 0x0
	s_mov_b32 s26, -1
	s_waitcnt lgkmcnt(0)
	s_cmp_eq_u32 s25, -1
	s_cbranch_scc1 .LBB13_7
; %bb.9:                                ;   in Loop: Header=BB13_8 Depth=1
	v_mov_b32_e32 v2, 0
	s_add_u32 s26, s12, s22
	s_addc_u32 s27, s13, s23
	s_and_saveexec_b32 s39, s33
	s_cbranch_execz .LBB13_11
; %bb.10:                               ;   in Loop: Header=BB13_8 Depth=1
	v_mad_u64_u32 v[2:3], null, s20, s29, v[1:2]
	s_delay_alu instid0(VALU_DEP_1) | instskip(NEXT) | instid1(VALU_DEP_1)
	v_mad_u64_u32 v[3:4], null, v2, s29, v[0:1]
	v_ashrrev_i32_e32 v4, 31, v3
	s_delay_alu instid0(VALU_DEP_1) | instskip(NEXT) | instid1(VALU_DEP_1)
	v_lshlrev_b64 v[2:3], 2, v[3:4]
	v_add_co_u32 v2, vcc_lo, s18, v2
	s_delay_alu instid0(VALU_DEP_2)
	v_add_co_ci_u32_e32 v3, vcc_lo, s19, v3, vcc_lo
	global_load_b32 v2, v[2:3], off
.LBB13_11:                              ;   in Loop: Header=BB13_8 Depth=1
	s_or_b32 exec_lo, exec_lo, s39
	s_load_b32 s26, s[26:27], 0x0
	ds_load_b32 v3, v16 offset:1664
	s_waitcnt vmcnt(0)
	ds_store_b32 v12, v2
	s_waitcnt lgkmcnt(0)
	s_sub_i32 s26, s26, s17
	v_cmp_ge_i32_e32 vcc_lo, s24, v3
	s_cmp_le_i32 s26, s25
	s_cselect_b32 s27, -1, 0
	s_delay_alu instid0(SALU_CYCLE_1) | instskip(NEXT) | instid1(SALU_CYCLE_1)
	s_and_b32 s27, s27, vcc_lo
	s_and_not1_b32 vcc_lo, exec_lo, s27
	s_mov_b32 s27, 0
	s_cbranch_vccnz .LBB13_23
; %bb.12:                               ;   in Loop: Header=BB13_8 Depth=1
	s_mov_b32 s39, 0
	s_mov_b32 s40, 0
.LBB13_13:                              ;   Parent Loop BB13_8 Depth=1
                                        ; =>  This Inner Loop Header: Depth=2
	s_ashr_i32 s27, s26, 31
	s_mov_b32 s44, -1
	s_lshl_b64 s[42:43], s[26:27], 2
	s_delay_alu instid0(SALU_CYCLE_1) | instskip(SKIP_2) | instid1(SALU_CYCLE_1)
	s_add_u32 s42, s14, s42
	s_addc_u32 s43, s15, s43
	s_lshl_b32 s27, s40, 2
	v_mov_b32_e32 v2, s27
	s_load_b32 s27, s[42:43], 0x0
                                        ; implicit-def: $sgpr43
                                        ; implicit-def: $sgpr42
	ds_load_b32 v2, v2 offset:1664
	s_waitcnt lgkmcnt(0)
	s_sub_i32 s45, s27, s17
                                        ; implicit-def: $sgpr27
	s_delay_alu instid0(SALU_CYCLE_1)
	v_cmp_ge_i32_e32 vcc_lo, s45, v2
	v_readfirstlane_b32 s41, v2
	s_cbranch_vccz .LBB13_19
; %bb.14:                               ;   in Loop: Header=BB13_13 Depth=2
	s_delay_alu instid0(VALU_DEP_1)
	s_cmp_le_i32 s45, s41
                                        ; implicit-def: $sgpr27
                                        ; implicit-def: $sgpr43
                                        ; implicit-def: $sgpr42
	s_cbranch_scc0 .LBB13_16
; %bb.15:                               ;   in Loop: Header=BB13_13 Depth=2
	s_add_i32 s27, s40, s3
	s_lshl_b32 s42, s39, 2
	s_mul_i32 s27, s27, s37
	s_mul_i32 s43, s26, s37
	s_delay_alu instid0(SALU_CYCLE_1)
	v_dual_mov_b32 v2, s27 :: v_dual_mov_b32 v3, s43
	v_add_nc_u32_e64 v4, 0x80, s42
	s_add_i32 s42, s40, 1
	s_add_i32 s43, s26, 1
	;; [unrolled: 1-line block ×3, first 2 shown]
	s_mov_b32 s44, 0
	ds_store_2addr_stride64_b32 v4, v3, v2 offset0:4 offset1:5
.LBB13_16:                              ;   in Loop: Header=BB13_13 Depth=2
	s_and_not1_b32 vcc_lo, exec_lo, s44
	s_cbranch_vccnz .LBB13_18
; %bb.17:                               ;   in Loop: Header=BB13_13 Depth=2
	s_add_i32 s42, s40, 1
	s_mov_b32 s27, s39
	s_mov_b32 s43, s26
.LBB13_18:                              ;   in Loop: Header=BB13_13 Depth=2
	s_mov_b32 s44, 0
.LBB13_19:                              ;   in Loop: Header=BB13_13 Depth=2
	s_delay_alu instid0(SALU_CYCLE_1)
	s_and_not1_b32 vcc_lo, exec_lo, s44
	s_cbranch_vccnz .LBB13_21
; %bb.20:                               ;   in Loop: Header=BB13_13 Depth=2
	s_add_i32 s43, s26, 1
	s_mov_b32 s42, s40
	s_mov_b32 s27, s39
.LBB13_21:                              ;   in Loop: Header=BB13_13 Depth=2
	s_cmp_le_i32 s43, s25
	s_cselect_b32 s26, -1, 0
	s_cmp_le_i32 s41, s24
	s_cselect_b32 s39, -1, 0
	s_delay_alu instid0(SALU_CYCLE_1) | instskip(NEXT) | instid1(SALU_CYCLE_1)
	s_and_b32 s26, s26, s39
	s_and_b32 vcc_lo, exec_lo, s26
	s_cbranch_vccz .LBB13_23
; %bb.22:                               ;   in Loop: Header=BB13_13 Depth=2
	s_mov_b32 s39, s27
	s_mov_b32 s26, s43
	;; [unrolled: 1-line block ×3, first 2 shown]
	s_branch .LBB13_13
.LBB13_23:                              ;   in Loop: Header=BB13_8 Depth=1
	s_add_u32 s22, s6, s22
	s_addc_u32 s23, s7, s23
	s_waitcnt lgkmcnt(0)
	buffer_gl0_inv
.LBB13_24:                              ;   Parent Loop BB13_8 Depth=1
                                        ; =>  This Inner Loop Header: Depth=2
	global_load_b32 v2, v16, s[22:23] glc
	s_waitcnt vmcnt(0)
	v_cmp_eq_u32_e32 vcc_lo, 0, v2
	s_cbranch_vccnz .LBB13_24
; %bb.25:                               ;   in Loop: Header=BB13_8 Depth=1
	v_dual_mov_b32 v3, 0 :: v_dual_mov_b32 v2, 0
	buffer_gl1_inv
	buffer_gl0_inv
	s_and_saveexec_b32 s22, s33
	s_cbranch_execz .LBB13_27
; %bb.26:                               ;   in Loop: Header=BB13_8 Depth=1
	v_mad_u64_u32 v[4:5], null, s25, s29, v[1:2]
	s_delay_alu instid0(VALU_DEP_1) | instskip(NEXT) | instid1(VALU_DEP_1)
	v_mad_u64_u32 v[19:20], null, v4, s29, v[0:1]
	v_ashrrev_i32_e32 v20, 31, v19
	s_delay_alu instid0(VALU_DEP_1) | instskip(NEXT) | instid1(VALU_DEP_1)
	v_lshlrev_b64 v[4:5], 2, v[19:20]
	v_add_co_u32 v4, vcc_lo, s18, v4
	s_delay_alu instid0(VALU_DEP_2)
	v_add_co_ci_u32_e32 v5, vcc_lo, s19, v5, vcc_lo
	global_load_b32 v2, v[4:5], off
.LBB13_27:                              ;   in Loop: Header=BB13_8 Depth=1
	s_or_b32 exec_lo, exec_lo, s22
	s_cmp_lt_i32 s27, 2
	s_waitcnt vmcnt(0)
	ds_store_b32 v8, v2
	s_waitcnt lgkmcnt(0)
	buffer_gl0_inv
	s_cbranch_scc1 .LBB13_46
; %bb.28:                               ;   in Loop: Header=BB13_8 Depth=1
	v_mov_b32_e32 v19, 0
	s_add_i32 s22, s27, -2
	s_mov_b32 s23, 0
	s_and_not1_b32 vcc_lo, exec_lo, s34
	s_cbranch_vccnz .LBB13_43
.LBB13_29:                              ;   in Loop: Header=BB13_8 Depth=1
	s_lshl_b32 s24, s23, 2
	s_delay_alu instid0(SALU_CYCLE_1)
	v_add_nc_u32_e64 v2, 0x80, s24
	s_mov_b32 s24, 0
	ds_load_2addr_stride64_b32 v[3:4], v2 offset0:4 offset1:5
	s_waitcnt lgkmcnt(0)
	v_add_nc_u32_e32 v20, v3, v13
	v_add_nc_u32_e32 v21, v4, v14
	;; [unrolled: 1-line block ×4, first 2 shown]
	s_and_b32 vcc_lo, exec_lo, s31
	s_cbranch_vccz .LBB13_35
.LBB13_30:                              ;   in Loop: Header=BB13_8 Depth=1
	v_mov_b32_e32 v3, 0
	v_mov_b32_e32 v5, 0
	s_and_saveexec_b32 s25, s0
	s_cbranch_execz .LBB13_32
; %bb.31:                               ;   in Loop: Header=BB13_8 Depth=1
	v_ashrrev_i32_e32 v5, 31, v4
	s_delay_alu instid0(VALU_DEP_1) | instskip(NEXT) | instid1(VALU_DEP_1)
	v_lshlrev_b64 v[22:23], 2, v[4:5]
	v_add_co_u32 v22, vcc_lo, s18, v22
	s_delay_alu instid0(VALU_DEP_2)
	v_add_co_ci_u32_e32 v23, vcc_lo, s19, v23, vcc_lo
	global_load_b32 v5, v[22:23], off
.LBB13_32:                              ;   in Loop: Header=BB13_8 Depth=1
	s_or_b32 exec_lo, exec_lo, s25
	s_and_saveexec_b32 s25, s1
	s_cbranch_execz .LBB13_34
; %bb.33:                               ;   in Loop: Header=BB13_8 Depth=1
	v_ashrrev_i32_e32 v3, 31, v2
	s_delay_alu instid0(VALU_DEP_1) | instskip(NEXT) | instid1(VALU_DEP_1)
	v_lshlrev_b64 v[22:23], 2, v[2:3]
	v_add_co_u32 v22, vcc_lo, s18, v22
	s_delay_alu instid0(VALU_DEP_2)
	v_add_co_ci_u32_e32 v23, vcc_lo, s19, v23, vcc_lo
	global_load_b32 v3, v[22:23], off
.LBB13_34:                              ;   in Loop: Header=BB13_8 Depth=1
	s_or_b32 exec_lo, exec_lo, s25
	s_waitcnt vmcnt(0)
	v_fma_f32 v3, v5, v3, v19
	s_branch .LBB13_41
.LBB13_35:                              ;   in Loop: Header=BB13_8 Depth=1
                                        ; implicit-def: $vgpr3
	s_cbranch_execz .LBB13_41
; %bb.36:                               ;   in Loop: Header=BB13_8 Depth=1
	v_mov_b32_e32 v3, 0
	v_mov_b32_e32 v5, 0
	s_and_saveexec_b32 s25, s0
	s_cbranch_execz .LBB13_38
; %bb.37:                               ;   in Loop: Header=BB13_8 Depth=1
	v_add_nc_u32_e32 v22, s24, v20
	s_delay_alu instid0(VALU_DEP_1) | instskip(NEXT) | instid1(VALU_DEP_1)
	v_ashrrev_i32_e32 v23, 31, v22
	v_lshlrev_b64 v[22:23], 2, v[22:23]
	s_delay_alu instid0(VALU_DEP_1) | instskip(NEXT) | instid1(VALU_DEP_2)
	v_add_co_u32 v22, vcc_lo, s18, v22
	v_add_co_ci_u32_e32 v23, vcc_lo, s19, v23, vcc_lo
	global_load_b32 v5, v[22:23], off
.LBB13_38:                              ;   in Loop: Header=BB13_8 Depth=1
	s_or_b32 exec_lo, exec_lo, s25
	s_and_saveexec_b32 s25, s1
	s_cbranch_execz .LBB13_40
; %bb.39:                               ;   in Loop: Header=BB13_8 Depth=1
	v_add_nc_u32_e32 v22, s24, v21
	s_delay_alu instid0(VALU_DEP_1) | instskip(NEXT) | instid1(VALU_DEP_1)
	v_ashrrev_i32_e32 v23, 31, v22
	v_lshlrev_b64 v[22:23], 2, v[22:23]
	s_delay_alu instid0(VALU_DEP_1) | instskip(NEXT) | instid1(VALU_DEP_2)
	v_add_co_u32 v22, vcc_lo, s18, v22
	v_add_co_ci_u32_e32 v23, vcc_lo, s19, v23, vcc_lo
	global_load_b32 v3, v[22:23], off
.LBB13_40:                              ;   in Loop: Header=BB13_8 Depth=1
	s_or_b32 exec_lo, exec_lo, s25
	s_waitcnt vmcnt(0)
	v_fmac_f32_e32 v19, v5, v3
	s_delay_alu instid0(VALU_DEP_1)
	v_mov_b32_e32 v3, v19
.LBB13_41:                              ;   in Loop: Header=BB13_8 Depth=1
	v_add_nc_u32_e32 v2, s29, v2
	v_add_nc_u32_e32 v4, s29, v4
	s_add_i32 s24, s24, 1
	s_delay_alu instid0(SALU_CYCLE_1)
	s_cmp_eq_u32 s29, s24
	s_cbranch_scc1 .LBB13_44
; %bb.42:                               ;   in Loop: Header=BB13_8 Depth=1
	v_mov_b32_e32 v19, v3
	s_and_b32 vcc_lo, exec_lo, s31
	s_cbranch_vccz .LBB13_35
	s_branch .LBB13_30
.LBB13_43:                              ;   in Loop: Header=BB13_8 Depth=1
	v_mov_b32_e32 v3, v19
.LBB13_44:                              ;   in Loop: Header=BB13_8 Depth=1
	s_add_i32 s24, s23, 1
	s_cmp_eq_u32 s23, s22
	s_cbranch_scc1 .LBB13_46
; %bb.45:                               ;   in Loop: Header=BB13_8 Depth=1
	s_delay_alu instid0(VALU_DEP_1)
	v_mov_b32_e32 v19, v3
	s_mov_b32 s23, s24
	s_and_not1_b32 vcc_lo, exec_lo, s34
	s_cbranch_vccz .LBB13_29
	s_branch .LBB13_43
.LBB13_46:                              ;   in Loop: Header=BB13_8 Depth=1
	s_and_not1_b32 vcc_lo, exec_lo, s34
	ds_store_b32 v15, v3
	s_waitcnt lgkmcnt(0)
	buffer_gl0_inv
	s_cbranch_vccnz .LBB13_72
; %bb.47:                               ;   in Loop: Header=BB13_8 Depth=1
	s_and_not1_b32 vcc_lo, exec_lo, s35
	s_mov_b32 s24, 0
	s_cbranch_vccnz .LBB13_63
; %bb.48:                               ;   in Loop: Header=BB13_8 Depth=1
	s_mov_b32 s22, 0
	s_mov_b32 s23, 0
.LBB13_49:                              ;   Parent Loop BB13_8 Depth=1
                                        ; =>  This Loop Header: Depth=2
                                        ;       Child Loop BB13_55 Depth 3
                                        ;       Child Loop BB13_61 Depth 3
	s_delay_alu instid0(SALU_CYCLE_1) | instskip(SKIP_1) | instid1(SALU_CYCLE_1)
	s_lshl_b32 s25, s23, 2
	s_mul_i32 s24, s23, 36
	s_add_i32 s24, s25, s24
	s_delay_alu instid0(SALU_CYCLE_1)
	v_mov_b32_e32 v2, s24
	ds_load_b32 v4, v2
	v_mad_u32_u24 v2, v7, 36, s25
	ds_load_b32 v3, v2 offset:576
	s_waitcnt lgkmcnt(1)
	v_cmp_neq_f32_e32 vcc_lo, 0, v4
	v_cndmask_b32_e32 v4, 1.0, v4, vcc_lo
	s_or_b32 s25, vcc_lo, s2
	s_delay_alu instid0(SALU_CYCLE_1) | instskip(NEXT) | instid1(SALU_CYCLE_1)
	s_xor_b32 s26, s25, -1
	s_and_saveexec_b32 s25, s26
	s_cbranch_execz .LBB13_53
; %bb.50:                               ;   in Loop: Header=BB13_49 Depth=2
	v_mbcnt_lo_u32_b32 v4, exec_lo, 0
	s_mov_b32 s26, exec_lo
	s_delay_alu instid0(VALU_DEP_1)
	v_cmpx_eq_u32_e32 0, v4
	s_cbranch_execz .LBB13_52
; %bb.51:                               ;   in Loop: Header=BB13_49 Depth=2
	v_mov_b32_e32 v4, s21
	global_atomic_min_i32 v16, v4, s[10:11]
.LBB13_52:                              ;   in Loop: Header=BB13_49 Depth=2
	s_or_b32 exec_lo, exec_lo, s26
	v_mov_b32_e32 v4, 1.0
.LBB13_53:                              ;   in Loop: Header=BB13_49 Depth=2
	s_or_b32 exec_lo, exec_lo, s25
	v_lshl_add_u32 v5, s23, 2, v17
	s_cmp_eq_u32 s23, 0
	ds_load_b32 v19, v5 offset:288
	s_cbranch_scc1 .LBB13_56
; %bb.54:                               ;   in Loop: Header=BB13_49 Depth=2
	v_mov_b32_e32 v20, v11
	s_mov_b32 s25, 0
	s_mov_b32 s26, s22
.LBB13_55:                              ;   Parent Loop BB13_8 Depth=1
                                        ;     Parent Loop BB13_49 Depth=2
                                        ; =>    This Inner Loop Header: Depth=3
	s_delay_alu instid0(SALU_CYCLE_1)
	v_mov_b32_e32 v21, s26
	s_add_i32 s25, s25, 1
	s_add_i32 s26, s26, 4
	s_cmp_ge_u32 s25, s23
	ds_load_b32 v22, v20
	ds_load_b32 v21, v21
	s_waitcnt lgkmcnt(0)
	v_dual_fmac_f32 v19, v21, v22 :: v_dual_add_nc_u32 v20, 4, v20
	s_cbranch_scc0 .LBB13_55
.LBB13_56:                              ;   in Loop: Header=BB13_49 Depth=2
	s_waitcnt lgkmcnt(0)
	s_delay_alu instid0(VALU_DEP_1) | instskip(NEXT) | instid1(VALU_DEP_1)
	v_dual_sub_f32 v3, v3, v19 :: v_dual_add_nc_u32 v2, 0x240, v2
	v_div_scale_f32 v19, null, v4, v4, v3
	v_div_scale_f32 v22, vcc_lo, v3, v4, v3
	s_delay_alu instid0(VALU_DEP_2) | instskip(SKIP_2) | instid1(VALU_DEP_1)
	v_rcp_f32_e32 v20, v19
	s_waitcnt_depctr 0xfff
	v_fma_f32 v21, -v19, v20, 1.0
	v_dual_fmac_f32 v20, v21, v20 :: v_dual_add_nc_u32 v5, 0x120, v5
	s_delay_alu instid0(VALU_DEP_1) | instskip(NEXT) | instid1(VALU_DEP_1)
	v_mul_f32_e32 v21, v22, v20
	v_fma_f32 v23, -v19, v21, v22
	s_delay_alu instid0(VALU_DEP_1) | instskip(NEXT) | instid1(VALU_DEP_1)
	v_fmac_f32_e32 v21, v23, v20
	v_fma_f32 v19, -v19, v21, v22
	s_delay_alu instid0(VALU_DEP_1) | instskip(NEXT) | instid1(VALU_DEP_1)
	v_div_fmas_f32 v19, v19, v20, v21
	v_div_fixup_f32 v3, v19, v4, v3
	v_lshl_add_u32 v19, s23, 2, v18
	ds_store_b32 v2, v3
	s_waitcnt lgkmcnt(0)
	s_waitcnt_vscnt null, 0x0
	buffer_gl0_inv
	ds_load_b32 v4, v19 offset:576
	ds_load_b32 v20, v9
	s_waitcnt lgkmcnt(0)
	v_dual_fmac_f32 v20, v3, v4 :: v_dual_mov_b32 v3, s24
	ds_store_b32 v9, v20
	s_waitcnt lgkmcnt(0)
	buffer_gl0_inv
	ds_load_b32 v4, v3 offset:40
	ds_load_b32 v3, v2 offset:4
	s_waitcnt lgkmcnt(1)
	v_cmp_neq_f32_e32 vcc_lo, 0, v4
	v_cndmask_b32_e32 v4, 1.0, v4, vcc_lo
	s_or_b32 s24, vcc_lo, s2
	s_delay_alu instid0(SALU_CYCLE_1) | instskip(NEXT) | instid1(SALU_CYCLE_1)
	s_xor_b32 s25, s24, -1
	s_and_saveexec_b32 s24, s25
	s_cbranch_execz .LBB13_60
; %bb.57:                               ;   in Loop: Header=BB13_49 Depth=2
	v_mbcnt_lo_u32_b32 v4, exec_lo, 0
	s_mov_b32 s25, exec_lo
	s_delay_alu instid0(VALU_DEP_1)
	v_cmpx_eq_u32_e32 0, v4
	s_cbranch_execz .LBB13_59
; %bb.58:                               ;   in Loop: Header=BB13_49 Depth=2
	v_mov_b32_e32 v4, s21
	global_atomic_min_i32 v16, v4, s[10:11]
.LBB13_59:                              ;   in Loop: Header=BB13_49 Depth=2
	s_or_b32 exec_lo, exec_lo, s25
	v_mov_b32_e32 v4, 1.0
.LBB13_60:                              ;   in Loop: Header=BB13_49 Depth=2
	s_or_b32 exec_lo, exec_lo, s24
	ds_load_b32 v20, v5 offset:4
	v_add_nc_u32_e32 v5, 0x240, v19
	s_mov_b32 s24, 0
	s_mov_b32 s25, -1
.LBB13_61:                              ;   Parent Loop BB13_8 Depth=1
                                        ;     Parent Loop BB13_49 Depth=2
                                        ; =>    This Inner Loop Header: Depth=3
	s_add_i32 s26, s22, s24
	v_add_nc_u32_e32 v19, s24, v11
	v_mov_b32_e32 v21, s26
	s_add_i32 s25, s25, 1
	s_add_i32 s24, s24, 4
	s_cmp_lt_u32 s25, s23
	ds_load_b32 v19, v19
	ds_load_b32 v21, v21 offset:36
	s_waitcnt lgkmcnt(0)
	v_fmac_f32_e32 v20, v21, v19
	s_cbranch_scc1 .LBB13_61
; %bb.62:                               ;   in Loop: Header=BB13_49 Depth=2
	s_delay_alu instid0(VALU_DEP_1)
	v_sub_f32_e32 v3, v3, v20
	s_add_i32 s23, s23, 2
	s_addk_i32 s22, 0x48
	s_mov_b32 s24, s36
	s_cmp_eq_u32 s23, s36
	v_div_scale_f32 v19, null, v4, v4, v3
	v_div_scale_f32 v22, vcc_lo, v3, v4, v3
	s_delay_alu instid0(VALU_DEP_2) | instskip(SKIP_2) | instid1(VALU_DEP_1)
	v_rcp_f32_e32 v20, v19
	s_waitcnt_depctr 0xfff
	v_fma_f32 v21, -v19, v20, 1.0
	v_fmac_f32_e32 v20, v21, v20
	s_delay_alu instid0(VALU_DEP_1) | instskip(NEXT) | instid1(VALU_DEP_1)
	v_mul_f32_e32 v21, v22, v20
	v_fma_f32 v23, -v19, v21, v22
	s_delay_alu instid0(VALU_DEP_1) | instskip(NEXT) | instid1(VALU_DEP_1)
	v_fmac_f32_e32 v21, v23, v20
	v_fma_f32 v19, -v19, v21, v22
	s_delay_alu instid0(VALU_DEP_1) | instskip(NEXT) | instid1(VALU_DEP_1)
	v_div_fmas_f32 v19, v19, v20, v21
	v_div_fixup_f32 v3, v19, v4, v3
	ds_store_b32 v2, v3 offset:4
	s_waitcnt lgkmcnt(0)
	s_waitcnt_vscnt null, 0x0
	buffer_gl0_inv
	ds_load_b32 v2, v5 offset:4
	ds_load_b32 v4, v9
	s_waitcnt lgkmcnt(0)
	v_fmac_f32_e32 v4, v3, v2
	ds_store_b32 v9, v4
	s_waitcnt lgkmcnt(0)
	buffer_gl0_inv
	s_cbranch_scc0 .LBB13_49
.LBB13_63:                              ;   in Loop: Header=BB13_8 Depth=1
	s_and_not1_b32 vcc_lo, exec_lo, s38
	s_cbranch_vccnz .LBB13_72
; %bb.64:                               ;   in Loop: Header=BB13_8 Depth=1
	s_lshl_b32 s23, s24, 2
	s_mul_i32 s22, s24, 36
	v_mad_u32_u24 v3, v7, 36, s23
	s_add_i32 s25, s23, s22
	s_delay_alu instid0(SALU_CYCLE_1)
	v_mov_b32_e32 v2, s25
	ds_load_b32 v4, v2
	ds_load_b32 v2, v3 offset:576
	s_waitcnt lgkmcnt(1)
	v_cmp_neq_f32_e32 vcc_lo, 0, v4
	v_cndmask_b32_e32 v4, 1.0, v4, vcc_lo
	s_or_b32 s23, vcc_lo, s2
	s_delay_alu instid0(SALU_CYCLE_1) | instskip(NEXT) | instid1(SALU_CYCLE_1)
	s_xor_b32 s25, s23, -1
	s_and_saveexec_b32 s23, s25
	s_cbranch_execz .LBB13_68
; %bb.65:                               ;   in Loop: Header=BB13_8 Depth=1
	v_mbcnt_lo_u32_b32 v4, exec_lo, 0
	s_mov_b32 s25, exec_lo
	s_delay_alu instid0(VALU_DEP_1)
	v_cmpx_eq_u32_e32 0, v4
	s_cbranch_execz .LBB13_67
; %bb.66:                               ;   in Loop: Header=BB13_8 Depth=1
	v_mov_b32_e32 v4, s21
	global_atomic_min_i32 v16, v4, s[10:11]
.LBB13_67:                              ;   in Loop: Header=BB13_8 Depth=1
	s_or_b32 exec_lo, exec_lo, s25
	v_mov_b32_e32 v4, 1.0
.LBB13_68:                              ;   in Loop: Header=BB13_8 Depth=1
	s_or_b32 exec_lo, exec_lo, s23
	v_lshl_add_u32 v5, s24, 2, v17
	s_cmp_eq_u32 s24, 0
	ds_load_b32 v5, v5 offset:288
	s_cbranch_scc1 .LBB13_71
; %bb.69:                               ;   in Loop: Header=BB13_8 Depth=1
	v_mov_b32_e32 v19, v11
	s_mov_b32 s21, 0
.LBB13_70:                              ;   Parent Loop BB13_8 Depth=1
                                        ; =>  This Inner Loop Header: Depth=2
	v_mov_b32_e32 v20, s22
	s_add_i32 s21, s21, 1
	s_add_i32 s22, s22, 4
	s_cmp_lt_u32 s21, s24
	ds_load_b32 v21, v19
	ds_load_b32 v20, v20
	v_add_nc_u32_e32 v19, 4, v19
	s_waitcnt lgkmcnt(0)
	v_fmac_f32_e32 v5, v20, v21
	s_cbranch_scc1 .LBB13_70
.LBB13_71:                              ;   in Loop: Header=BB13_8 Depth=1
	s_waitcnt lgkmcnt(0)
	s_delay_alu instid0(VALU_DEP_1) | instskip(NEXT) | instid1(VALU_DEP_1)
	v_dual_sub_f32 v2, v2, v5 :: v_dual_add_nc_u32 v3, 0x240, v3
	v_div_scale_f32 v5, null, v4, v4, v2
	v_div_scale_f32 v21, vcc_lo, v2, v4, v2
	s_delay_alu instid0(VALU_DEP_2) | instskip(SKIP_2) | instid1(VALU_DEP_1)
	v_rcp_f32_e32 v19, v5
	s_waitcnt_depctr 0xfff
	v_fma_f32 v20, -v5, v19, 1.0
	v_fmac_f32_e32 v19, v20, v19
	s_delay_alu instid0(VALU_DEP_1) | instskip(NEXT) | instid1(VALU_DEP_1)
	v_mul_f32_e32 v20, v21, v19
	v_fma_f32 v22, -v5, v20, v21
	s_delay_alu instid0(VALU_DEP_1) | instskip(NEXT) | instid1(VALU_DEP_1)
	v_fmac_f32_e32 v20, v22, v19
	v_fma_f32 v5, -v5, v20, v21
	s_delay_alu instid0(VALU_DEP_1) | instskip(NEXT) | instid1(VALU_DEP_1)
	v_div_fmas_f32 v5, v5, v19, v20
	v_div_fixup_f32 v2, v5, v4, v2
	v_lshl_add_u32 v4, s24, 2, v18
	ds_store_b32 v3, v2
	s_waitcnt lgkmcnt(0)
	s_waitcnt_vscnt null, 0x0
	buffer_gl0_inv
	ds_load_b32 v3, v4 offset:576
	ds_load_b32 v4, v9
	s_waitcnt lgkmcnt(0)
	v_fmac_f32_e32 v4, v2, v3
	ds_store_b32 v9, v4
	s_waitcnt lgkmcnt(0)
	buffer_gl0_inv
.LBB13_72:                              ;   in Loop: Header=BB13_8 Depth=1
	s_and_saveexec_b32 s21, s33
	s_cbranch_execz .LBB13_6
; %bb.73:                               ;   in Loop: Header=BB13_8 Depth=1
	v_mad_u64_u32 v[2:3], null, s20, s29, v[1:2]
	ds_load_b32 v5, v12
	v_mad_u64_u32 v[3:4], null, v2, s29, v[0:1]
	s_delay_alu instid0(VALU_DEP_1) | instskip(NEXT) | instid1(VALU_DEP_1)
	v_ashrrev_i32_e32 v4, 31, v3
	v_lshlrev_b64 v[2:3], 2, v[3:4]
	s_delay_alu instid0(VALU_DEP_1) | instskip(NEXT) | instid1(VALU_DEP_2)
	v_add_co_u32 v2, vcc_lo, s18, v2
	v_add_co_ci_u32_e32 v3, vcc_lo, s19, v3, vcc_lo
	s_waitcnt lgkmcnt(0)
	global_store_b32 v[2:3], v5, off
	s_branch .LBB13_6
.LBB13_74:
	v_max_i32_e32 v0, v6, v7
	s_cmp_eq_u32 s30, 0
	s_cselect_b32 s0, -1, 0
	s_delay_alu instid0(VALU_DEP_1) | instskip(NEXT) | instid1(VALU_DEP_1)
	v_cmp_gt_i32_e64 s1, s29, v0
	s_and_saveexec_b32 s2, s1
	s_cbranch_execz .LBB13_76
; %bb.75:
	v_cndmask_b32_e64 v0, v6, v7, s0
	s_delay_alu instid0(VALU_DEP_1) | instskip(SKIP_1) | instid1(VALU_DEP_1)
	v_mad_u64_u32 v[1:2], null, s28, s29, v[0:1]
	v_cndmask_b32_e64 v0, v7, v6, s0
	v_mad_u64_u32 v[2:3], null, v1, s29, v[0:1]
	s_delay_alu instid0(VALU_DEP_1) | instskip(NEXT) | instid1(VALU_DEP_1)
	v_ashrrev_i32_e32 v3, 31, v2
	v_lshlrev_b64 v[0:1], 2, v[2:3]
	s_delay_alu instid0(VALU_DEP_1) | instskip(NEXT) | instid1(VALU_DEP_2)
	v_add_co_u32 v0, vcc_lo, s18, v0
	v_add_co_ci_u32_e32 v1, vcc_lo, s19, v1, vcc_lo
	global_load_b32 v10, v[0:1], off
.LBB13_76:
	s_or_b32 exec_lo, exec_lo, s2
	s_cmp_lt_i32 s29, 1
	s_waitcnt vmcnt(0)
	ds_store_b32 v8, v10 offset:576
	s_waitcnt lgkmcnt(0)
	buffer_gl0_inv
	s_cbranch_scc1 .LBB13_108
; %bb.77:
	v_lshlrev_b32_e32 v0, 2, v7
	v_or_b32_e32 v1, v6, v7
	s_add_i32 s4, s16, s17
	s_cmp_eq_u32 s29, 1
	s_mov_b32 s5, 0
	v_mad_u32_u24 v2, v7, 36, v0
	v_cmp_ne_u32_e64 s2, 0, v1
	s_delay_alu instid0(VALU_DEP_2)
	v_add_nc_u32_e32 v0, 0x240, v2
	v_add_nc_u32_e32 v1, 0x360, v2
	s_cbranch_scc1 .LBB13_98
; %bb.78:
	v_mad_u32_u24 v2, v6, 36, 0x240
	v_mad_u32_u24 v3, v7, 36, 0x240
	v_mov_b32_e32 v4, 0
	s_and_b32 s5, s29, 0x7ffffffe
	s_movk_i32 s12, 0x240
	s_mov_b32 s3, 0
	s_branch .LBB13_80
.LBB13_79:                              ;   in Loop: Header=BB13_80 Depth=1
	s_or_b32 exec_lo, exec_lo, s3
	v_add_nc_u32_e32 v2, 8, v2
	v_add_nc_u32_e32 v3, 8, v3
	s_add_i32 s3, s14, 1
	s_addk_i32 s12, 0x50
	s_cmp_eq_u32 s3, s5
	s_waitcnt lgkmcnt(0)
	s_waitcnt_vscnt null, 0x0
	buffer_gl0_inv
	s_cbranch_scc1 .LBB13_97
.LBB13_80:                              ; =>This Inner Loop Header: Depth=1
	s_mov_b32 s13, s3
	s_mov_b32 s14, exec_lo
	v_cmpx_eq_u32_e64 s13, v7
	s_cbranch_execz .LBB13_82
; %bb.81:                               ;   in Loop: Header=BB13_80 Depth=1
	ds_load_b32 v5, v0
	ds_load_b32 v10, v1
	s_waitcnt lgkmcnt(0)
	v_sub_f32_e32 v5, v5, v10
	s_delay_alu instid0(VALU_DEP_1) | instskip(SKIP_1) | instid1(VALU_DEP_1)
	v_cmp_gt_f32_e32 vcc_lo, 0, v5
	v_cndmask_b32_e64 v5, v5, -v5, vcc_lo
	v_mul_f32_e32 v10, 0x4f800000, v5
	v_cmp_gt_f32_e32 vcc_lo, 0xf800000, v5
	s_delay_alu instid0(VALU_DEP_2) | instskip(NEXT) | instid1(VALU_DEP_1)
	v_cndmask_b32_e32 v5, v5, v10, vcc_lo
	v_sqrt_f32_e32 v10, v5
	s_waitcnt_depctr 0xfff
	v_add_nc_u32_e32 v11, -1, v10
	v_add_nc_u32_e32 v12, 1, v10
	s_delay_alu instid0(VALU_DEP_2) | instskip(NEXT) | instid1(VALU_DEP_2)
	v_fma_f32 v13, -v11, v10, v5
	v_fma_f32 v14, -v12, v10, v5
	s_delay_alu instid0(VALU_DEP_2) | instskip(NEXT) | instid1(VALU_DEP_1)
	v_cmp_ge_f32_e64 s3, 0, v13
	v_cndmask_b32_e64 v10, v10, v11, s3
	s_delay_alu instid0(VALU_DEP_3) | instskip(NEXT) | instid1(VALU_DEP_1)
	v_cmp_lt_f32_e64 s3, 0, v14
	v_cndmask_b32_e64 v10, v10, v12, s3
	s_delay_alu instid0(VALU_DEP_1) | instskip(NEXT) | instid1(VALU_DEP_1)
	v_mul_f32_e32 v11, 0x37800000, v10
	v_cndmask_b32_e32 v10, v10, v11, vcc_lo
	v_cmp_class_f32_e64 vcc_lo, v5, 0x260
	s_delay_alu instid0(VALU_DEP_2)
	v_cndmask_b32_e32 v5, v10, v5, vcc_lo
	ds_store_b32 v0, v5
.LBB13_82:                              ;   in Loop: Header=BB13_80 Depth=1
	s_or_b32 exec_lo, exec_lo, s14
	v_mov_b32_e32 v5, s12
	s_waitcnt lgkmcnt(0)
	buffer_gl0_inv
	ds_load_b32 v5, v5
	s_waitcnt lgkmcnt(0)
	v_cmp_neq_f32_e32 vcc_lo, 0, v5
	v_cndmask_b32_e32 v5, 1.0, v5, vcc_lo
	s_or_b32 s3, vcc_lo, s2
	s_delay_alu instid0(SALU_CYCLE_1) | instskip(NEXT) | instid1(SALU_CYCLE_1)
	s_xor_b32 s14, s3, -1
	s_and_saveexec_b32 s3, s14
	s_cbranch_execz .LBB13_86
; %bb.83:                               ;   in Loop: Header=BB13_80 Depth=1
	v_mbcnt_lo_u32_b32 v5, exec_lo, 0
	s_mov_b32 s14, exec_lo
	s_delay_alu instid0(VALU_DEP_1)
	v_cmpx_eq_u32_e32 0, v5
	s_cbranch_execz .LBB13_85
; %bb.84:                               ;   in Loop: Header=BB13_80 Depth=1
	v_mov_b32_e32 v5, s4
	global_atomic_min_i32 v4, v5, s[10:11]
.LBB13_85:                              ;   in Loop: Header=BB13_80 Depth=1
	s_or_b32 exec_lo, exec_lo, s14
	v_mov_b32_e32 v5, 1.0
.LBB13_86:                              ;   in Loop: Header=BB13_80 Depth=1
	s_or_b32 exec_lo, exec_lo, s3
	s_delay_alu instid0(SALU_CYCLE_1)
	s_mov_b32 s3, exec_lo
	v_cmpx_lt_u32_e64 s13, v7
	s_cbranch_execz .LBB13_88
; %bb.87:                               ;   in Loop: Header=BB13_80 Depth=1
	ds_load_2addr_b32 v[10:11], v3 offset1:72
	s_waitcnt lgkmcnt(0)
	v_sub_f32_e32 v10, v10, v11
	s_delay_alu instid0(VALU_DEP_1) | instskip(SKIP_1) | instid1(VALU_DEP_2)
	v_div_scale_f32 v11, null, v5, v5, v10
	v_div_scale_f32 v14, vcc_lo, v10, v5, v10
	v_rcp_f32_e32 v12, v11
	s_waitcnt_depctr 0xfff
	v_fma_f32 v13, -v11, v12, 1.0
	s_delay_alu instid0(VALU_DEP_1) | instskip(NEXT) | instid1(VALU_DEP_1)
	v_fmac_f32_e32 v12, v13, v12
	v_mul_f32_e32 v13, v14, v12
	s_delay_alu instid0(VALU_DEP_1) | instskip(NEXT) | instid1(VALU_DEP_1)
	v_fma_f32 v15, -v11, v13, v14
	v_fmac_f32_e32 v13, v15, v12
	s_delay_alu instid0(VALU_DEP_1) | instskip(NEXT) | instid1(VALU_DEP_1)
	v_fma_f32 v11, -v11, v13, v14
	v_div_fmas_f32 v11, v11, v12, v13
	s_delay_alu instid0(VALU_DEP_1)
	v_div_fixup_f32 v5, v11, v5, v10
	ds_store_b32 v3, v5
	s_waitcnt lgkmcnt(0)
	s_waitcnt_vscnt null, 0x0
	buffer_gl0_inv
	ds_load_b32 v10, v2
	ds_load_b32 v11, v9
	s_waitcnt lgkmcnt(0)
	v_fmac_f32_e32 v11, v5, v10
	ds_store_b32 v9, v11
.LBB13_88:                              ;   in Loop: Header=BB13_80 Depth=1
	s_or_b32 exec_lo, exec_lo, s3
	s_add_i32 s14, s13, 1
	s_mov_b32 s15, exec_lo
	s_waitcnt lgkmcnt(0)
	s_waitcnt_vscnt null, 0x0
	buffer_gl0_inv
	v_cmpx_eq_u32_e64 s14, v7
	s_cbranch_execz .LBB13_90
; %bb.89:                               ;   in Loop: Header=BB13_80 Depth=1
	ds_load_b32 v5, v0
	ds_load_b32 v10, v1
	s_waitcnt lgkmcnt(0)
	v_sub_f32_e32 v5, v5, v10
	s_delay_alu instid0(VALU_DEP_1) | instskip(SKIP_1) | instid1(VALU_DEP_1)
	v_cmp_gt_f32_e32 vcc_lo, 0, v5
	v_cndmask_b32_e64 v5, v5, -v5, vcc_lo
	v_mul_f32_e32 v10, 0x4f800000, v5
	v_cmp_gt_f32_e32 vcc_lo, 0xf800000, v5
	s_delay_alu instid0(VALU_DEP_2) | instskip(NEXT) | instid1(VALU_DEP_1)
	v_cndmask_b32_e32 v5, v5, v10, vcc_lo
	v_sqrt_f32_e32 v10, v5
	s_waitcnt_depctr 0xfff
	v_add_nc_u32_e32 v11, -1, v10
	v_add_nc_u32_e32 v12, 1, v10
	s_delay_alu instid0(VALU_DEP_2) | instskip(NEXT) | instid1(VALU_DEP_2)
	v_fma_f32 v13, -v11, v10, v5
	v_fma_f32 v14, -v12, v10, v5
	s_delay_alu instid0(VALU_DEP_2) | instskip(NEXT) | instid1(VALU_DEP_1)
	v_cmp_ge_f32_e64 s3, 0, v13
	v_cndmask_b32_e64 v10, v10, v11, s3
	s_delay_alu instid0(VALU_DEP_3) | instskip(NEXT) | instid1(VALU_DEP_1)
	v_cmp_lt_f32_e64 s3, 0, v14
	v_cndmask_b32_e64 v10, v10, v12, s3
	s_delay_alu instid0(VALU_DEP_1) | instskip(NEXT) | instid1(VALU_DEP_1)
	v_mul_f32_e32 v11, 0x37800000, v10
	v_cndmask_b32_e32 v10, v10, v11, vcc_lo
	v_cmp_class_f32_e64 vcc_lo, v5, 0x260
	s_delay_alu instid0(VALU_DEP_2)
	v_cndmask_b32_e32 v5, v10, v5, vcc_lo
	ds_store_b32 v0, v5
.LBB13_90:                              ;   in Loop: Header=BB13_80 Depth=1
	s_or_b32 exec_lo, exec_lo, s15
	v_mov_b32_e32 v5, s12
	s_waitcnt lgkmcnt(0)
	buffer_gl0_inv
	ds_load_b32 v5, v5 offset:40
	s_waitcnt lgkmcnt(0)
	v_cmp_neq_f32_e32 vcc_lo, 0, v5
	v_cndmask_b32_e32 v5, 1.0, v5, vcc_lo
	s_or_b32 s3, vcc_lo, s2
	s_delay_alu instid0(SALU_CYCLE_1) | instskip(NEXT) | instid1(SALU_CYCLE_1)
	s_xor_b32 s15, s3, -1
	s_and_saveexec_b32 s3, s15
	s_cbranch_execz .LBB13_94
; %bb.91:                               ;   in Loop: Header=BB13_80 Depth=1
	v_mbcnt_lo_u32_b32 v5, exec_lo, 0
	s_mov_b32 s15, exec_lo
	s_delay_alu instid0(VALU_DEP_1)
	v_cmpx_eq_u32_e32 0, v5
	s_cbranch_execz .LBB13_93
; %bb.92:                               ;   in Loop: Header=BB13_80 Depth=1
	v_mov_b32_e32 v5, s4
	global_atomic_min_i32 v4, v5, s[10:11]
.LBB13_93:                              ;   in Loop: Header=BB13_80 Depth=1
	s_or_b32 exec_lo, exec_lo, s15
	v_mov_b32_e32 v5, 1.0
.LBB13_94:                              ;   in Loop: Header=BB13_80 Depth=1
	s_or_b32 exec_lo, exec_lo, s3
	s_delay_alu instid0(SALU_CYCLE_1)
	s_mov_b32 s3, exec_lo
	v_cmpx_lt_u32_e64 s14, v7
	s_cbranch_execz .LBB13_79
; %bb.95:                               ;   in Loop: Header=BB13_80 Depth=1
	ds_load_2addr_b32 v[10:11], v3 offset0:1 offset1:73
	s_waitcnt lgkmcnt(0)
	v_sub_f32_e32 v10, v10, v11
	s_delay_alu instid0(VALU_DEP_1) | instskip(SKIP_1) | instid1(VALU_DEP_2)
	v_div_scale_f32 v11, null, v5, v5, v10
	v_div_scale_f32 v14, vcc_lo, v10, v5, v10
	v_rcp_f32_e32 v12, v11
	s_waitcnt_depctr 0xfff
	v_fma_f32 v13, -v11, v12, 1.0
	s_delay_alu instid0(VALU_DEP_1) | instskip(NEXT) | instid1(VALU_DEP_1)
	v_fmac_f32_e32 v12, v13, v12
	v_mul_f32_e32 v13, v14, v12
	s_delay_alu instid0(VALU_DEP_1) | instskip(NEXT) | instid1(VALU_DEP_1)
	v_fma_f32 v15, -v11, v13, v14
	v_fmac_f32_e32 v13, v15, v12
	s_delay_alu instid0(VALU_DEP_1) | instskip(NEXT) | instid1(VALU_DEP_1)
	v_fma_f32 v11, -v11, v13, v14
	v_div_fmas_f32 v11, v11, v12, v13
	s_delay_alu instid0(VALU_DEP_1)
	v_div_fixup_f32 v5, v11, v5, v10
	ds_store_b32 v3, v5 offset:4
	s_waitcnt lgkmcnt(0)
	s_waitcnt_vscnt null, 0x0
	buffer_gl0_inv
	ds_load_b32 v10, v2 offset:4
	ds_load_b32 v11, v9
	s_waitcnt lgkmcnt(0)
	v_fmac_f32_e32 v11, v5, v10
	ds_store_b32 v9, v11
	s_branch .LBB13_79
.LBB13_96:
	s_cbranch_execnz .LBB13_111
	s_branch .LBB13_116
.LBB13_97:
	s_add_i32 s5, s13, 2
.LBB13_98:
	s_bitcmp0_b32 s29, 0
	s_cbranch_scc1 .LBB13_108
; %bb.99:
	s_mov_b32 s12, exec_lo
	v_cmpx_eq_u32_e64 s5, v7
	s_cbranch_execz .LBB13_101
; %bb.100:
	ds_load_b32 v2, v0
	ds_load_b32 v1, v1
	s_waitcnt lgkmcnt(0)
	v_sub_f32_e32 v1, v2, v1
	s_delay_alu instid0(VALU_DEP_1) | instskip(SKIP_1) | instid1(VALU_DEP_1)
	v_cmp_gt_f32_e32 vcc_lo, 0, v1
	v_cndmask_b32_e64 v1, v1, -v1, vcc_lo
	v_mul_f32_e32 v2, 0x4f800000, v1
	v_cmp_gt_f32_e32 vcc_lo, 0xf800000, v1
	s_delay_alu instid0(VALU_DEP_2) | instskip(NEXT) | instid1(VALU_DEP_1)
	v_cndmask_b32_e32 v1, v1, v2, vcc_lo
	v_sqrt_f32_e32 v2, v1
	s_waitcnt_depctr 0xfff
	v_add_nc_u32_e32 v3, -1, v2
	v_add_nc_u32_e32 v4, 1, v2
	s_delay_alu instid0(VALU_DEP_2) | instskip(NEXT) | instid1(VALU_DEP_2)
	v_fma_f32 v5, -v3, v2, v1
	v_fma_f32 v10, -v4, v2, v1
	s_delay_alu instid0(VALU_DEP_2) | instskip(NEXT) | instid1(VALU_DEP_1)
	v_cmp_ge_f32_e64 s3, 0, v5
	v_cndmask_b32_e64 v2, v2, v3, s3
	s_delay_alu instid0(VALU_DEP_3) | instskip(NEXT) | instid1(VALU_DEP_1)
	v_cmp_lt_f32_e64 s3, 0, v10
	v_cndmask_b32_e64 v2, v2, v4, s3
	s_delay_alu instid0(VALU_DEP_1) | instskip(NEXT) | instid1(VALU_DEP_1)
	v_mul_f32_e32 v3, 0x37800000, v2
	v_cndmask_b32_e32 v2, v2, v3, vcc_lo
	v_cmp_class_f32_e64 vcc_lo, v1, 0x260
	s_delay_alu instid0(VALU_DEP_2)
	v_cndmask_b32_e32 v1, v2, v1, vcc_lo
	ds_store_b32 v0, v1
.LBB13_101:
	s_or_b32 exec_lo, exec_lo, s12
	s_lshl_b32 s3, s5, 2
	s_mul_i32 s12, s5, 36
	s_waitcnt lgkmcnt(0)
	buffer_gl0_inv
	s_add_i32 s12, s12, s3
	s_delay_alu instid0(SALU_CYCLE_1)
	v_mov_b32_e32 v0, s12
	ds_load_b32 v0, v0 offset:576
	s_waitcnt lgkmcnt(0)
	v_cmp_neq_f32_e32 vcc_lo, 0, v0
	v_cndmask_b32_e32 v0, 1.0, v0, vcc_lo
	s_or_b32 s2, vcc_lo, s2
	s_delay_alu instid0(SALU_CYCLE_1) | instskip(NEXT) | instid1(SALU_CYCLE_1)
	s_xor_b32 s12, s2, -1
	s_and_saveexec_b32 s2, s12
	s_cbranch_execz .LBB13_105
; %bb.102:
	v_mbcnt_lo_u32_b32 v0, exec_lo, 0
	s_mov_b32 s12, exec_lo
	s_delay_alu instid0(VALU_DEP_1)
	v_cmpx_eq_u32_e32 0, v0
	s_cbranch_execz .LBB13_104
; %bb.103:
	v_dual_mov_b32 v0, 0 :: v_dual_mov_b32 v1, s4
	global_atomic_min_i32 v0, v1, s[10:11]
.LBB13_104:
	s_or_b32 exec_lo, exec_lo, s12
	v_mov_b32_e32 v0, 1.0
.LBB13_105:
	s_or_b32 exec_lo, exec_lo, s2
	s_delay_alu instid0(SALU_CYCLE_1)
	s_mov_b32 s2, exec_lo
	v_cmpx_lt_u32_e64 s5, v7
	s_cbranch_execz .LBB13_107
; %bb.106:
	s_add_i32 s4, s3, 0x240
	v_mad_u32_u24 v2, v7, 36, s3
	v_mad_u32_u24 v1, v7, 36, s4
	ds_load_b32 v3, v1
	ds_load_b32 v2, v2 offset:864
	s_waitcnt lgkmcnt(0)
	v_sub_f32_e32 v2, v3, v2
	s_delay_alu instid0(VALU_DEP_1) | instskip(SKIP_1) | instid1(VALU_DEP_2)
	v_div_scale_f32 v3, null, v0, v0, v2
	v_div_scale_f32 v10, vcc_lo, v2, v0, v2
	v_rcp_f32_e32 v4, v3
	s_waitcnt_depctr 0xfff
	v_fma_f32 v5, -v3, v4, 1.0
	s_delay_alu instid0(VALU_DEP_1) | instskip(NEXT) | instid1(VALU_DEP_1)
	v_fmac_f32_e32 v4, v5, v4
	v_mul_f32_e32 v5, v10, v4
	s_delay_alu instid0(VALU_DEP_1) | instskip(NEXT) | instid1(VALU_DEP_1)
	v_fma_f32 v11, -v3, v5, v10
	v_fmac_f32_e32 v5, v11, v4
	s_delay_alu instid0(VALU_DEP_1) | instskip(NEXT) | instid1(VALU_DEP_1)
	v_fma_f32 v3, -v3, v5, v10
	v_div_fmas_f32 v3, v3, v4, v5
	s_delay_alu instid0(VALU_DEP_1)
	v_div_fixup_f32 v0, v3, v0, v2
	v_mad_u32_u24 v2, v6, 36, s4
	ds_store_b32 v1, v0
	s_waitcnt lgkmcnt(0)
	s_waitcnt_vscnt null, 0x0
	buffer_gl0_inv
	ds_load_b32 v1, v2
	ds_load_b32 v2, v9
	s_waitcnt lgkmcnt(0)
	v_fmac_f32_e32 v2, v0, v1
	ds_store_b32 v9, v2
.LBB13_107:
	s_or_b32 exec_lo, exec_lo, s2
	s_waitcnt lgkmcnt(0)
	s_waitcnt_vscnt null, 0x0
	buffer_gl0_inv
.LBB13_108:
	s_and_saveexec_b32 s2, s1
	s_cbranch_execz .LBB13_110
; %bb.109:
	v_cndmask_b32_e64 v0, v6, v7, s0
	s_delay_alu instid0(VALU_DEP_1) | instskip(SKIP_1) | instid1(VALU_DEP_1)
	v_mad_u64_u32 v[1:2], null, s28, s29, v[0:1]
	v_cndmask_b32_e64 v0, v7, v6, s0
	v_mad_u64_u32 v[2:3], null, v1, s29, v[0:1]
	v_add_nc_u32_e32 v0, 0x240, v8
	ds_load_b32 v4, v0
	v_ashrrev_i32_e32 v3, 31, v2
	s_delay_alu instid0(VALU_DEP_1) | instskip(NEXT) | instid1(VALU_DEP_1)
	v_lshlrev_b64 v[0:1], 2, v[2:3]
	v_add_co_u32 v0, vcc_lo, s18, v0
	s_delay_alu instid0(VALU_DEP_2)
	v_add_co_ci_u32_e32 v1, vcc_lo, s19, v1, vcc_lo
	s_waitcnt lgkmcnt(0)
	global_store_b32 v[0:1], v4, off
.LBB13_110:
	s_or_b32 exec_lo, exec_lo, s2
	v_or_b32_e32 v0, v6, v7
	s_delay_alu instid0(VALU_DEP_1)
	v_cmp_eq_u32_e64 s3, 0, v0
	s_branch .LBB13_116
.LBB13_111:
	v_or_b32_e32 v0, v6, v7
	s_mov_b32 s0, exec_lo
	s_delay_alu instid0(VALU_DEP_1)
	v_cmpx_eq_u32_e32 0, v0
	s_cbranch_execz .LBB13_115
; %bb.112:
	v_mbcnt_lo_u32_b32 v0, exec_lo, 0
	s_mov_b32 s1, exec_lo
	s_delay_alu instid0(VALU_DEP_1)
	v_cmpx_eq_u32_e32 0, v0
	s_cbranch_execz .LBB13_114
; %bb.113:
	s_add_i32 s2, s16, s17
	s_delay_alu instid0(SALU_CYCLE_1)
	v_dual_mov_b32 v0, 0 :: v_dual_mov_b32 v1, s2
	global_atomic_min_i32 v0, v1, s[10:11]
.LBB13_114:
	s_or_b32 exec_lo, exec_lo, s1
	s_delay_alu instid0(SALU_CYCLE_1)
	s_or_b32 s3, s3, exec_lo
.LBB13_115:
	s_or_b32 exec_lo, exec_lo, s0
.LBB13_116:
	s_delay_alu instid0(VALU_DEP_1)
	s_and_saveexec_b32 s0, s3
	s_cbranch_execnz .LBB13_118
; %bb.117:
	s_nop 0
	s_sendmsg sendmsg(MSG_DEALLOC_VGPRS)
	s_endpgm
.LBB13_118:
	v_dual_mov_b32 v0, 0 :: v_dual_mov_b32 v1, 1
	s_add_u32 s0, s6, s8
	s_addc_u32 s1, s7, s9
	s_waitcnt_vscnt null, 0x0
	global_store_b32 v0, v1, s[0:1]
	s_nop 0
	s_sendmsg sendmsg(MSG_DEALLOC_VGPRS)
	s_endpgm
	.section	.rodata,"a",@progbits
	.p2align	6, 0x0
	.amdhsa_kernel _ZN9rocsparseL17bsric0_2_8_kernelILi64ELi64ELi8EfEEv20rocsparse_direction_iiPKiS3_PT2_S3_PiS3_S6_21rocsparse_index_base_
		.amdhsa_group_segment_fixed_size 1920
		.amdhsa_private_segment_fixed_size 0
		.amdhsa_kernarg_size 76
		.amdhsa_user_sgpr_count 15
		.amdhsa_user_sgpr_dispatch_ptr 0
		.amdhsa_user_sgpr_queue_ptr 0
		.amdhsa_user_sgpr_kernarg_segment_ptr 1
		.amdhsa_user_sgpr_dispatch_id 0
		.amdhsa_user_sgpr_private_segment_size 0
		.amdhsa_wavefront_size32 1
		.amdhsa_uses_dynamic_stack 0
		.amdhsa_enable_private_segment 0
		.amdhsa_system_sgpr_workgroup_id_x 1
		.amdhsa_system_sgpr_workgroup_id_y 0
		.amdhsa_system_sgpr_workgroup_id_z 0
		.amdhsa_system_sgpr_workgroup_info 0
		.amdhsa_system_vgpr_workitem_id 1
		.amdhsa_next_free_vgpr 24
		.amdhsa_next_free_sgpr 46
		.amdhsa_reserve_vcc 1
		.amdhsa_float_round_mode_32 0
		.amdhsa_float_round_mode_16_64 0
		.amdhsa_float_denorm_mode_32 3
		.amdhsa_float_denorm_mode_16_64 3
		.amdhsa_dx10_clamp 1
		.amdhsa_ieee_mode 1
		.amdhsa_fp16_overflow 0
		.amdhsa_workgroup_processor_mode 1
		.amdhsa_memory_ordered 1
		.amdhsa_forward_progress 0
		.amdhsa_shared_vgpr_count 0
		.amdhsa_exception_fp_ieee_invalid_op 0
		.amdhsa_exception_fp_denorm_src 0
		.amdhsa_exception_fp_ieee_div_zero 0
		.amdhsa_exception_fp_ieee_overflow 0
		.amdhsa_exception_fp_ieee_underflow 0
		.amdhsa_exception_fp_ieee_inexact 0
		.amdhsa_exception_int_div_zero 0
	.end_amdhsa_kernel
	.section	.text._ZN9rocsparseL17bsric0_2_8_kernelILi64ELi64ELi8EfEEv20rocsparse_direction_iiPKiS3_PT2_S3_PiS3_S6_21rocsparse_index_base_,"axG",@progbits,_ZN9rocsparseL17bsric0_2_8_kernelILi64ELi64ELi8EfEEv20rocsparse_direction_iiPKiS3_PT2_S3_PiS3_S6_21rocsparse_index_base_,comdat
.Lfunc_end13:
	.size	_ZN9rocsparseL17bsric0_2_8_kernelILi64ELi64ELi8EfEEv20rocsparse_direction_iiPKiS3_PT2_S3_PiS3_S6_21rocsparse_index_base_, .Lfunc_end13-_ZN9rocsparseL17bsric0_2_8_kernelILi64ELi64ELi8EfEEv20rocsparse_direction_iiPKiS3_PT2_S3_PiS3_S6_21rocsparse_index_base_
                                        ; -- End function
	.section	.AMDGPU.csdata,"",@progbits
; Kernel info:
; codeLenInByte = 5176
; NumSgprs: 48
; NumVgprs: 24
; ScratchSize: 0
; MemoryBound: 0
; FloatMode: 240
; IeeeMode: 1
; LDSByteSize: 1920 bytes/workgroup (compile time only)
; SGPRBlocks: 5
; VGPRBlocks: 2
; NumSGPRsForWavesPerEU: 48
; NumVGPRsForWavesPerEU: 24
; Occupancy: 16
; WaveLimiterHint : 1
; COMPUTE_PGM_RSRC2:SCRATCH_EN: 0
; COMPUTE_PGM_RSRC2:USER_SGPR: 15
; COMPUTE_PGM_RSRC2:TRAP_HANDLER: 0
; COMPUTE_PGM_RSRC2:TGID_X_EN: 1
; COMPUTE_PGM_RSRC2:TGID_Y_EN: 0
; COMPUTE_PGM_RSRC2:TGID_Z_EN: 0
; COMPUTE_PGM_RSRC2:TIDIG_COMP_CNT: 1
	.section	.text._ZN9rocsparseL18bsric0_9_16_kernelILi64ELi64ELi16EfEEv20rocsparse_direction_iiPKiS3_PT2_S3_PiS3_S6_21rocsparse_index_base_,"axG",@progbits,_ZN9rocsparseL18bsric0_9_16_kernelILi64ELi64ELi16EfEEv20rocsparse_direction_iiPKiS3_PT2_S3_PiS3_S6_21rocsparse_index_base_,comdat
	.globl	_ZN9rocsparseL18bsric0_9_16_kernelILi64ELi64ELi16EfEEv20rocsparse_direction_iiPKiS3_PT2_S3_PiS3_S6_21rocsparse_index_base_ ; -- Begin function _ZN9rocsparseL18bsric0_9_16_kernelILi64ELi64ELi16EfEEv20rocsparse_direction_iiPKiS3_PT2_S3_PiS3_S6_21rocsparse_index_base_
	.p2align	8
	.type	_ZN9rocsparseL18bsric0_9_16_kernelILi64ELi64ELi16EfEEv20rocsparse_direction_iiPKiS3_PT2_S3_PiS3_S6_21rocsparse_index_base_,@function
_ZN9rocsparseL18bsric0_9_16_kernelILi64ELi64ELi16EfEEv20rocsparse_direction_iiPKiS3_PT2_S3_PiS3_S6_21rocsparse_index_base_: ; @_ZN9rocsparseL18bsric0_9_16_kernelILi64ELi64ELi16EfEEv20rocsparse_direction_iiPKiS3_PT2_S3_PiS3_S6_21rocsparse_index_base_
; %bb.0:
	s_load_b256 s[4:11], s[0:1], 0x28
	s_mov_b32 s2, s15
	s_mov_b32 s3, 0
	v_and_b32_e32 v5, 0x3ff, v0
	s_lshl_b64 s[12:13], s[2:3], 2
	v_bfe_u32 v0, v0, 10, 10
	s_waitcnt lgkmcnt(0)
	s_add_u32 s8, s8, s12
	s_addc_u32 s9, s9, s13
	s_load_b32 s16, s[8:9], 0x0
	s_waitcnt lgkmcnt(0)
	s_ashr_i32 s17, s16, 31
	s_delay_alu instid0(SALU_CYCLE_1) | instskip(NEXT) | instid1(SALU_CYCLE_1)
	s_lshl_b64 s[8:9], s[16:17], 2
	s_add_u32 s12, s4, s8
	s_addc_u32 s13, s5, s9
	s_load_b32 s28, s[12:13], 0x0
	s_load_b32 s17, s[0:1], 0x48
	s_waitcnt lgkmcnt(0)
	s_cmp_lg_u32 s28, -1
	s_cbranch_scc0 .LBB14_131
; %bb.1:
	s_clause 0x1
	s_load_b128 s[12:15], s[0:1], 0x10
	s_load_b64 s[18:19], s[0:1], 0x20
	v_lshlrev_b32_e32 v8, 2, v0
	v_lshlrev_b32_e32 v6, 2, v5
	s_waitcnt lgkmcnt(0)
	s_add_u32 s2, s12, s8
	s_addc_u32 s3, s13, s9
	s_load_b32 s2, s[2:3], 0x0
	s_waitcnt lgkmcnt(0)
	s_sub_i32 s30, s2, s17
	s_mov_b32 s2, exec_lo
	v_add3_u32 v1, v8, v5, s30
	s_delay_alu instid0(VALU_DEP_1)
	v_cmpx_ge_i32_e64 s28, v1
	s_cbranch_execz .LBB14_4
; %bb.2:
	v_lshlrev_b32_e32 v2, 4, v0
	s_mov_b32 s3, 0
	s_delay_alu instid0(VALU_DEP_1)
	v_add3_u32 v3, v2, v6, 0x1300
	.p2align	6
.LBB14_3:                               ; =>This Inner Loop Header: Depth=1
	v_ashrrev_i32_e32 v2, 31, v1
	s_delay_alu instid0(VALU_DEP_1) | instskip(SKIP_1) | instid1(VALU_DEP_2)
	v_lshlrev_b64 v[9:10], 2, v[1:2]
	v_add_nc_u32_e32 v1, 64, v1
	v_add_co_u32 v9, vcc_lo, s14, v9
	s_delay_alu instid0(VALU_DEP_3) | instskip(NEXT) | instid1(VALU_DEP_3)
	v_add_co_ci_u32_e32 v10, vcc_lo, s15, v10, vcc_lo
	v_cmp_lt_i32_e32 vcc_lo, s28, v1
	global_load_b32 v2, v[9:10], off
	s_or_b32 s3, vcc_lo, s3
	s_waitcnt vmcnt(0)
	v_subrev_nc_u32_e32 v2, s17, v2
	ds_store_b32 v3, v2
	v_add_nc_u32_e32 v3, 0x100, v3
	s_and_not1_b32 exec_lo, exec_lo, s3
	s_cbranch_execnz .LBB14_3
.LBB14_4:
	s_or_b32 exec_lo, exec_lo, s2
	v_mul_u32_u24_e32 v7, 0x44, v0
	s_mov_b32 s2, exec_lo
	v_cmpx_gt_u32_e32 16, v5
	s_cbranch_execz .LBB14_7
; %bb.5:
	v_add_nc_u32_e32 v1, -4, v5
	v_add3_u32 v2, v7, v6, 0xcc0
	v_mov_b32_e32 v3, 0
	s_mov_b32 s3, 0
.LBB14_6:                               ; =>This Inner Loop Header: Depth=1
	s_delay_alu instid0(VALU_DEP_3) | instskip(SKIP_4) | instid1(SALU_CYCLE_1)
	v_add_nc_u32_e32 v1, 4, v1
	ds_store_b32 v2, v3
	v_add_nc_u32_e32 v2, 16, v2
	v_cmp_lt_u32_e32 vcc_lo, 11, v1
	s_or_b32 s3, vcc_lo, s3
	s_and_not1_b32 exec_lo, exec_lo, s3
	s_cbranch_execnz .LBB14_6
.LBB14_7:
	s_or_b32 exec_lo, exec_lo, s2
	s_clause 0x1
	s_load_b32 s3, s[0:1], 0x8
	s_load_b32 s29, s[0:1], 0x0
	s_cmp_ge_i32 s30, s28
	s_waitcnt lgkmcnt(0)
	buffer_gl0_inv
	v_cmp_gt_i32_e64 s0, s3, v5
	s_cbranch_scc1 .LBB14_92
; %bb.8:
	v_mad_u64_u32 v[1:2], null, s3, s30, v[0:1]
	v_or_b32_e32 v2, v5, v0
	v_mad_u32_u24 v9, 0x44, v0, v6
	v_mul_lo_u32 v10, v0, s3
	v_mul_lo_u32 v12, v5, s3
	s_movk_i32 s20, 0x880
	s_cmp_lg_u32 s29, 0
	v_mul_lo_u32 v14, s3, v1
	v_cmp_gt_i32_e64 s1, s3, v0
	v_cmp_ne_u32_e64 s2, 0, v2
	v_dual_mov_b32 v18, 0 :: v_dual_add_nc_u32 v11, 0x440, v9
	v_mad_u32_u24 v13, 0x44, v0, s20
	v_mad_u32_u24 v15, 0x44, v5, s20
	v_add_nc_u32_e32 v16, 0xcc0, v9
	v_add_nc_u32_e32 v17, 0x880, v9
	s_cselect_b32 s31, -1, 0
	s_cmp_gt_i32 s3, 0
	s_mul_i32 s33, s3, s3
	s_cselect_b32 s34, -1, 0
	s_lshl_b32 s35, s3, 2
	s_mov_b32 s20, s30
	s_branch .LBB14_10
.LBB14_9:                               ;   in Loop: Header=BB14_10 Depth=1
	s_set_inst_prefetch_distance 0x2
	s_or_b32 exec_lo, exec_lo, s22
	s_add_i32 s20, s20, 1
	v_add_nc_u32_e32 v14, s33, v14
	s_cmp_ge_i32 s20, s28
	s_waitcnt_vscnt null, 0x0
	buffer_gl1_inv
	buffer_gl0_inv
	s_cselect_b32 s21, -1, 0
	s_delay_alu instid0(SALU_CYCLE_1)
	s_and_b32 vcc_lo, exec_lo, s21
	s_cbranch_vccnz .LBB14_92
.LBB14_10:                              ; =>This Loop Header: Depth=1
                                        ;     Child Loop BB14_14 Depth 2
                                        ;     Child Loop BB14_27 Depth 2
	;; [unrolled: 1-line block ×5, first 2 shown]
                                        ;       Child Loop BB14_59 Depth 3
                                        ;     Child Loop BB14_72 Depth 2
                                        ;       Child Loop BB14_78 Depth 3
                                        ;       Child Loop BB14_81 Depth 3
                                        ;     Child Loop BB14_86 Depth 2
	s_ashr_i32 s21, s20, 31
	s_delay_alu instid0(SALU_CYCLE_1) | instskip(NEXT) | instid1(SALU_CYCLE_1)
	s_lshl_b64 s[22:23], s[20:21], 2
	s_add_u32 s22, s14, s22
	s_addc_u32 s23, s15, s23
	s_load_b32 s36, s[22:23], 0x0
	s_waitcnt lgkmcnt(0)
	s_sub_i32 s24, s36, s17
	s_delay_alu instid0(SALU_CYCLE_1) | instskip(NEXT) | instid1(SALU_CYCLE_1)
	s_ashr_i32 s25, s24, 31
	s_lshl_b64 s[22:23], s[24:25], 2
	s_delay_alu instid0(SALU_CYCLE_1)
	s_add_u32 s26, s4, s22
	s_addc_u32 s27, s5, s23
	s_load_b32 s25, s[26:27], 0x0
	s_waitcnt lgkmcnt(0)
	s_cmp_eq_u32 s25, -1
	s_cbranch_scc1 .LBB14_91
; %bb.11:                               ;   in Loop: Header=BB14_10 Depth=1
	s_add_u32 s26, s12, s22
	s_addc_u32 s27, s13, s23
	s_mul_i32 s21, s20, s3
	s_load_b32 s26, s[26:27], 0x0
	s_and_saveexec_b32 s27, s0
	s_cbranch_execz .LBB14_24
; %bb.12:                               ;   in Loop: Header=BB14_10 Depth=1
	v_dual_mov_b32 v3, v11 :: v_dual_mov_b32 v4, v5
	s_mov_b32 s37, 0
	s_branch .LBB14_14
.LBB14_13:                              ;   in Loop: Header=BB14_14 Depth=2
	s_or_b32 exec_lo, exec_lo, s39
	v_add_nc_u32_e32 v4, 4, v4
	s_waitcnt vmcnt(0)
	ds_store_b32 v3, v2 offset:1088
	ds_store_b32 v3, v18
	v_add_nc_u32_e32 v3, 16, v3
	v_cmp_le_i32_e32 vcc_lo, s3, v4
	s_or_b32 s37, vcc_lo, s37
	s_delay_alu instid0(SALU_CYCLE_1)
	s_and_not1_b32 exec_lo, exec_lo, s37
	s_cbranch_execz .LBB14_24
.LBB14_14:                              ;   Parent Loop BB14_10 Depth=1
                                        ; =>  This Inner Loop Header: Depth=2
	s_and_b32 vcc_lo, exec_lo, s31
	s_cbranch_vccz .LBB14_19
; %bb.15:                               ;   in Loop: Header=BB14_14 Depth=2
	s_mov_b32 s39, 0
	s_mov_b32 s38, 0
                                        ; implicit-def: $vgpr1
	s_and_saveexec_b32 s40, s1
	s_delay_alu instid0(SALU_CYCLE_1)
	s_xor_b32 s40, exec_lo, s40
; %bb.16:                               ;   in Loop: Header=BB14_14 Depth=2
	v_add_nc_u32_e32 v19, s21, v4
	s_mov_b32 s38, exec_lo
	s_delay_alu instid0(VALU_DEP_1)
	v_mad_u64_u32 v[1:2], null, v19, s3, v[0:1]
; %bb.17:                               ;   in Loop: Header=BB14_14 Depth=2
	s_or_b32 exec_lo, exec_lo, s40
	s_delay_alu instid0(SALU_CYCLE_1)
	s_and_b32 vcc_lo, exec_lo, s39
	s_cbranch_vccnz .LBB14_20
.LBB14_18:                              ;   in Loop: Header=BB14_14 Depth=2
	v_mov_b32_e32 v2, s39
	s_and_saveexec_b32 s39, s38
	s_cbranch_execz .LBB14_13
	s_branch .LBB14_23
.LBB14_19:                              ;   in Loop: Header=BB14_14 Depth=2
	s_mov_b32 s39, -1
	s_mov_b32 s38, 0
                                        ; implicit-def: $vgpr1
	s_cbranch_execz .LBB14_18
.LBB14_20:                              ;   in Loop: Header=BB14_14 Depth=2
                                        ; implicit-def: $vgpr1
	s_and_saveexec_b32 s39, s1
; %bb.21:                               ;   in Loop: Header=BB14_14 Depth=2
	v_add_nc_u32_e32 v1, v14, v4
	s_or_b32 s38, s38, exec_lo
; %bb.22:                               ;   in Loop: Header=BB14_14 Depth=2
	s_or_b32 exec_lo, exec_lo, s39
	s_mov_b32 s39, 0
	s_delay_alu instid0(SALU_CYCLE_1)
	v_mov_b32_e32 v2, s39
	s_and_saveexec_b32 s39, s38
	s_cbranch_execz .LBB14_13
.LBB14_23:                              ;   in Loop: Header=BB14_14 Depth=2
	v_ashrrev_i32_e32 v2, 31, v1
	s_delay_alu instid0(VALU_DEP_1) | instskip(NEXT) | instid1(VALU_DEP_1)
	v_lshlrev_b64 v[1:2], 2, v[1:2]
	v_add_co_u32 v1, vcc_lo, s18, v1
	s_delay_alu instid0(VALU_DEP_2)
	v_add_co_ci_u32_e32 v2, vcc_lo, s19, v2, vcc_lo
	global_load_b32 v2, v[1:2], off
	s_branch .LBB14_13
.LBB14_24:                              ;   in Loop: Header=BB14_10 Depth=1
	s_or_b32 exec_lo, exec_lo, s27
; %bb.25:                               ;   in Loop: Header=BB14_10 Depth=1
	ds_load_b32 v1, v18 offset:4864
	s_waitcnt lgkmcnt(0)
	s_sub_i32 s26, s26, s17
	s_delay_alu instid0(SALU_CYCLE_1) | instskip(SKIP_3) | instid1(SALU_CYCLE_1)
	s_cmp_le_i32 s26, s25
	s_cselect_b32 s27, -1, 0
	v_cmp_ge_i32_e32 vcc_lo, s24, v1
	s_and_b32 s27, s27, vcc_lo
	s_and_not1_b32 vcc_lo, exec_lo, s27
	s_mov_b32 s27, 0
	s_cbranch_vccnz .LBB14_37
; %bb.26:                               ;   in Loop: Header=BB14_10 Depth=1
	s_mov_b32 s37, 0
	s_mov_b32 s38, 0
.LBB14_27:                              ;   Parent Loop BB14_10 Depth=1
                                        ; =>  This Inner Loop Header: Depth=2
	s_ashr_i32 s27, s26, 31
	s_mov_b32 s42, -1
	s_lshl_b64 s[40:41], s[26:27], 2
	s_delay_alu instid0(SALU_CYCLE_1) | instskip(SKIP_2) | instid1(SALU_CYCLE_1)
	s_add_u32 s40, s14, s40
	s_addc_u32 s41, s15, s41
	s_lshl_b32 s27, s38, 2
	v_mov_b32_e32 v1, s27
	s_load_b32 s27, s[40:41], 0x0
                                        ; implicit-def: $sgpr41
                                        ; implicit-def: $sgpr40
	ds_load_b32 v1, v1 offset:4864
	s_waitcnt lgkmcnt(0)
	s_sub_i32 s43, s27, s17
                                        ; implicit-def: $sgpr27
	s_delay_alu instid0(SALU_CYCLE_1)
	v_cmp_ge_i32_e32 vcc_lo, s43, v1
	v_readfirstlane_b32 s39, v1
	s_cbranch_vccz .LBB14_33
; %bb.28:                               ;   in Loop: Header=BB14_27 Depth=2
	s_delay_alu instid0(VALU_DEP_1)
	s_cmp_le_i32 s43, s39
                                        ; implicit-def: $sgpr27
                                        ; implicit-def: $sgpr41
                                        ; implicit-def: $sgpr40
	s_cbranch_scc0 .LBB14_30
; %bb.29:                               ;   in Loop: Header=BB14_27 Depth=2
	s_add_i32 s27, s38, s30
	s_lshl_b32 s40, s37, 2
	s_mul_i32 s27, s27, s33
	s_delay_alu instid0(SALU_CYCLE_1)
	v_dual_mov_b32 v1, s40 :: v_dual_mov_b32 v2, s27
	s_mul_i32 s40, s26, s33
	s_add_i32 s41, s26, 1
	v_mov_b32_e32 v3, s40
	s_add_i32 s40, s38, 1
	s_add_i32 s27, s37, 1
	s_mov_b32 s42, 0
	ds_store_2addr_stride64_b32 v1, v3, v2 offset0:17 offset1:18
.LBB14_30:                              ;   in Loop: Header=BB14_27 Depth=2
	s_and_not1_b32 vcc_lo, exec_lo, s42
	s_cbranch_vccnz .LBB14_32
; %bb.31:                               ;   in Loop: Header=BB14_27 Depth=2
	s_add_i32 s40, s38, 1
	s_mov_b32 s27, s37
	s_mov_b32 s41, s26
.LBB14_32:                              ;   in Loop: Header=BB14_27 Depth=2
	s_mov_b32 s42, 0
.LBB14_33:                              ;   in Loop: Header=BB14_27 Depth=2
	s_delay_alu instid0(SALU_CYCLE_1)
	s_and_not1_b32 vcc_lo, exec_lo, s42
	s_cbranch_vccnz .LBB14_35
; %bb.34:                               ;   in Loop: Header=BB14_27 Depth=2
	s_add_i32 s41, s26, 1
	s_mov_b32 s40, s38
	s_mov_b32 s27, s37
.LBB14_35:                              ;   in Loop: Header=BB14_27 Depth=2
	s_cmp_le_i32 s41, s25
	s_cselect_b32 s26, -1, 0
	s_cmp_le_i32 s39, s24
	s_cselect_b32 s37, -1, 0
	s_delay_alu instid0(SALU_CYCLE_1) | instskip(NEXT) | instid1(SALU_CYCLE_1)
	s_and_b32 s26, s26, s37
	s_and_b32 vcc_lo, exec_lo, s26
	s_cbranch_vccz .LBB14_37
; %bb.36:                               ;   in Loop: Header=BB14_27 Depth=2
	s_mov_b32 s37, s27
	s_mov_b32 s26, s41
	;; [unrolled: 1-line block ×3, first 2 shown]
	s_branch .LBB14_27
.LBB14_37:                              ;   in Loop: Header=BB14_10 Depth=1
	s_add_u32 s22, s6, s22
	s_addc_u32 s23, s7, s23
	s_waitcnt lgkmcnt(0)
	buffer_gl0_inv
.LBB14_38:                              ;   Parent Loop BB14_10 Depth=1
                                        ; =>  This Inner Loop Header: Depth=2
	global_load_b32 v1, v18, s[22:23] glc
	s_waitcnt vmcnt(0)
	v_cmp_eq_u32_e32 vcc_lo, 0, v1
	s_cbranch_vccnz .LBB14_38
; %bb.39:                               ;   in Loop: Header=BB14_10 Depth=1
	buffer_gl1_inv
	buffer_gl0_inv
	s_and_saveexec_b32 s22, s0
	s_cbranch_execz .LBB14_52
; %bb.40:                               ;   in Loop: Header=BB14_10 Depth=1
	s_mul_i32 s25, s25, s3
	v_mov_b32_e32 v19, v5
	v_dual_mov_b32 v4, v9 :: v_dual_add_nc_u32 v1, s25, v0
	s_mov_b32 s23, 0
	s_delay_alu instid0(VALU_DEP_1)
	v_mul_lo_u32 v3, v1, s3
	s_branch .LBB14_42
.LBB14_41:                              ;   in Loop: Header=BB14_42 Depth=2
	s_or_b32 exec_lo, exec_lo, s26
	v_add_nc_u32_e32 v19, 4, v19
	s_waitcnt vmcnt(0)
	ds_store_b32 v4, v2
	v_add_nc_u32_e32 v4, 16, v4
	v_cmp_le_i32_e32 vcc_lo, s3, v19
	s_or_b32 s23, vcc_lo, s23
	s_delay_alu instid0(SALU_CYCLE_1)
	s_and_not1_b32 exec_lo, exec_lo, s23
	s_cbranch_execz .LBB14_52
.LBB14_42:                              ;   Parent Loop BB14_10 Depth=1
                                        ; =>  This Inner Loop Header: Depth=2
	s_and_b32 vcc_lo, exec_lo, s31
	s_cbranch_vccz .LBB14_47
; %bb.43:                               ;   in Loop: Header=BB14_42 Depth=2
	s_mov_b32 s26, 0
	s_mov_b32 s24, 0
                                        ; implicit-def: $vgpr1
	s_and_saveexec_b32 s37, s1
	s_delay_alu instid0(SALU_CYCLE_1)
	s_xor_b32 s37, exec_lo, s37
; %bb.44:                               ;   in Loop: Header=BB14_42 Depth=2
	v_add_nc_u32_e32 v20, s25, v19
	s_mov_b32 s24, exec_lo
	s_delay_alu instid0(VALU_DEP_1)
	v_mad_u64_u32 v[1:2], null, v20, s3, v[0:1]
; %bb.45:                               ;   in Loop: Header=BB14_42 Depth=2
	s_or_b32 exec_lo, exec_lo, s37
	s_delay_alu instid0(SALU_CYCLE_1)
	s_and_b32 vcc_lo, exec_lo, s26
	s_cbranch_vccnz .LBB14_48
.LBB14_46:                              ;   in Loop: Header=BB14_42 Depth=2
	v_mov_b32_e32 v2, s26
	s_and_saveexec_b32 s26, s24
	s_cbranch_execz .LBB14_41
	s_branch .LBB14_51
.LBB14_47:                              ;   in Loop: Header=BB14_42 Depth=2
	s_mov_b32 s26, -1
	s_mov_b32 s24, 0
                                        ; implicit-def: $vgpr1
	s_cbranch_execz .LBB14_46
.LBB14_48:                              ;   in Loop: Header=BB14_42 Depth=2
                                        ; implicit-def: $vgpr1
	s_and_saveexec_b32 s26, s1
; %bb.49:                               ;   in Loop: Header=BB14_42 Depth=2
	v_add_nc_u32_e32 v1, v3, v19
	s_or_b32 s24, s24, exec_lo
; %bb.50:                               ;   in Loop: Header=BB14_42 Depth=2
	s_or_b32 exec_lo, exec_lo, s26
	s_mov_b32 s26, 0
	s_delay_alu instid0(SALU_CYCLE_1)
	v_mov_b32_e32 v2, s26
	s_and_saveexec_b32 s26, s24
	s_cbranch_execz .LBB14_41
.LBB14_51:                              ;   in Loop: Header=BB14_42 Depth=2
	v_ashrrev_i32_e32 v2, 31, v1
	s_delay_alu instid0(VALU_DEP_1) | instskip(NEXT) | instid1(VALU_DEP_1)
	v_lshlrev_b64 v[1:2], 2, v[1:2]
	v_add_co_u32 v1, vcc_lo, s18, v1
	s_delay_alu instid0(VALU_DEP_2)
	v_add_co_ci_u32_e32 v2, vcc_lo, s19, v2, vcc_lo
	global_load_b32 v2, v[1:2], off
	s_branch .LBB14_41
.LBB14_52:                              ;   in Loop: Header=BB14_10 Depth=1
	s_or_b32 exec_lo, exec_lo, s22
; %bb.53:                               ;   in Loop: Header=BB14_10 Depth=1
	s_cmp_lt_i32 s27, 2
	s_cbranch_scc1 .LBB14_69
; %bb.54:                               ;   in Loop: Header=BB14_10 Depth=1
	s_add_i32 s22, s27, -2
	s_mov_b32 s23, 0
	s_branch .LBB14_56
.LBB14_55:                              ;   in Loop: Header=BB14_56 Depth=2
	s_or_b32 exec_lo, exec_lo, s24
	s_add_i32 s24, s23, 1
	s_cmp_eq_u32 s23, s22
	s_mov_b32 s23, s24
	s_cbranch_scc1 .LBB14_69
.LBB14_56:                              ;   Parent Loop BB14_10 Depth=1
                                        ; =>  This Loop Header: Depth=2
                                        ;       Child Loop BB14_59 Depth 3
	s_and_saveexec_b32 s24, s0
	s_cbranch_execz .LBB14_55
; %bb.57:                               ;   in Loop: Header=BB14_56 Depth=2
	s_lshl_b32 s25, s23, 2
	v_mov_b32_e32 v23, v5
	v_mov_b32_e32 v1, s25
	s_mov_b32 s25, 0
	ds_load_2addr_stride64_b32 v[1:2], v1 offset0:17 offset1:18
	s_waitcnt lgkmcnt(0)
	v_add_nc_u32_e32 v20, v0, v2
	v_add_nc_u32_e32 v19, v2, v10
	;; [unrolled: 1-line block ×4, first 2 shown]
	s_branch .LBB14_59
.LBB14_58:                              ;   in Loop: Header=BB14_59 Depth=3
	v_lshlrev_b32_e32 v1, 2, v23
	v_add_nc_u32_e32 v23, 4, v23
	v_add_nc_u32_e32 v22, s35, v22
	;; [unrolled: 1-line block ×3, first 2 shown]
	s_delay_alu instid0(VALU_DEP_4) | instskip(NEXT) | instid1(VALU_DEP_4)
	v_mad_u32_u24 v1, 0x44, v0, v1
	v_cmp_le_i32_e32 vcc_lo, s3, v23
	ds_load_b32 v3, v1 offset:1088
	s_or_b32 s25, vcc_lo, s25
	s_waitcnt lgkmcnt(0)
	v_add_f32_e32 v2, v2, v3
	ds_store_b32 v1, v2 offset:1088
	s_and_not1_b32 exec_lo, exec_lo, s25
	s_cbranch_execz .LBB14_55
.LBB14_59:                              ;   Parent Loop BB14_10 Depth=1
                                        ;     Parent Loop BB14_56 Depth=2
                                        ; =>    This Inner Loop Header: Depth=3
	s_delay_alu instid0(VALU_DEP_2)
	v_dual_mov_b32 v24, 0 :: v_dual_mov_b32 v1, v21
	v_mov_b32_e32 v3, v20
	s_mov_b32 s26, 0
	s_and_b32 vcc_lo, exec_lo, s31
	s_cbranch_vccz .LBB14_63
.LBB14_60:                              ;   in Loop: Header=BB14_59 Depth=3
	v_ashrrev_i32_e32 v2, 31, v1
	v_mov_b32_e32 v4, 0
	s_delay_alu instid0(VALU_DEP_2) | instskip(NEXT) | instid1(VALU_DEP_1)
	v_lshlrev_b64 v[25:26], 2, v[1:2]
	v_add_co_u32 v25, vcc_lo, s18, v25
	s_delay_alu instid0(VALU_DEP_2)
	v_add_co_ci_u32_e32 v26, vcc_lo, s19, v26, vcc_lo
	global_load_b32 v2, v[25:26], off
	s_and_saveexec_b32 s27, s1
	s_cbranch_execz .LBB14_62
; %bb.61:                               ;   in Loop: Header=BB14_59 Depth=3
	v_ashrrev_i32_e32 v4, 31, v3
	s_delay_alu instid0(VALU_DEP_1) | instskip(NEXT) | instid1(VALU_DEP_1)
	v_lshlrev_b64 v[25:26], 2, v[3:4]
	v_add_co_u32 v25, vcc_lo, s18, v25
	s_delay_alu instid0(VALU_DEP_2)
	v_add_co_ci_u32_e32 v26, vcc_lo, s19, v26, vcc_lo
	global_load_b32 v4, v[25:26], off
.LBB14_62:                              ;   in Loop: Header=BB14_59 Depth=3
	s_or_b32 exec_lo, exec_lo, s27
	s_waitcnt vmcnt(0)
	v_fma_f32 v2, v2, v4, v24
	s_branch .LBB14_67
.LBB14_63:                              ;   in Loop: Header=BB14_59 Depth=3
                                        ; implicit-def: $vgpr2
	s_cbranch_execz .LBB14_67
; %bb.64:                               ;   in Loop: Header=BB14_59 Depth=3
	v_dual_mov_b32 v4, 0 :: v_dual_add_nc_u32 v25, s26, v22
	s_delay_alu instid0(VALU_DEP_1) | instskip(NEXT) | instid1(VALU_DEP_1)
	v_ashrrev_i32_e32 v26, 31, v25
	v_lshlrev_b64 v[25:26], 2, v[25:26]
	s_delay_alu instid0(VALU_DEP_1) | instskip(NEXT) | instid1(VALU_DEP_2)
	v_add_co_u32 v25, vcc_lo, s18, v25
	v_add_co_ci_u32_e32 v26, vcc_lo, s19, v26, vcc_lo
	global_load_b32 v2, v[25:26], off
	s_and_saveexec_b32 s27, s1
	s_cbranch_execz .LBB14_66
; %bb.65:                               ;   in Loop: Header=BB14_59 Depth=3
	v_add_nc_u32_e32 v25, s26, v19
	s_delay_alu instid0(VALU_DEP_1) | instskip(NEXT) | instid1(VALU_DEP_1)
	v_ashrrev_i32_e32 v26, 31, v25
	v_lshlrev_b64 v[25:26], 2, v[25:26]
	s_delay_alu instid0(VALU_DEP_1) | instskip(NEXT) | instid1(VALU_DEP_2)
	v_add_co_u32 v25, vcc_lo, s18, v25
	v_add_co_ci_u32_e32 v26, vcc_lo, s19, v26, vcc_lo
	global_load_b32 v4, v[25:26], off
.LBB14_66:                              ;   in Loop: Header=BB14_59 Depth=3
	s_or_b32 exec_lo, exec_lo, s27
	s_waitcnt vmcnt(0)
	v_fmac_f32_e32 v24, v2, v4
	s_delay_alu instid0(VALU_DEP_1)
	v_mov_b32_e32 v2, v24
.LBB14_67:                              ;   in Loop: Header=BB14_59 Depth=3
	v_add_nc_u32_e32 v3, s3, v3
	v_add_nc_u32_e32 v1, s3, v1
	s_add_i32 s26, s26, 1
	s_delay_alu instid0(SALU_CYCLE_1)
	s_cmp_eq_u32 s3, s26
	s_cbranch_scc1 .LBB14_58
; %bb.68:                               ;   in Loop: Header=BB14_59 Depth=3
	v_mov_b32_e32 v24, v2
	s_and_b32 vcc_lo, exec_lo, s31
	s_cbranch_vccnz .LBB14_60
	s_branch .LBB14_63
.LBB14_69:                              ;   in Loop: Header=BB14_10 Depth=1
	s_and_not1_b32 vcc_lo, exec_lo, s34
	s_waitcnt lgkmcnt(0)
	buffer_gl0_inv
	s_cbranch_vccnz .LBB14_82
; %bb.70:                               ;   in Loop: Header=BB14_10 Depth=1
	v_mov_b32_e32 v1, v15
	s_mov_b32 s22, 0
	s_mov_b32 s23, 0
	s_branch .LBB14_72
.LBB14_71:                              ;   in Loop: Header=BB14_72 Depth=2
	s_or_b32 exec_lo, exec_lo, s24
	v_add_nc_u32_e32 v1, 4, v1
	s_add_i32 s23, s23, 1
	s_addk_i32 s22, 0x44
	s_cmp_eq_u32 s23, s3
	s_waitcnt lgkmcnt(0)
	buffer_gl0_inv
	s_cbranch_scc1 .LBB14_82
.LBB14_72:                              ;   Parent Loop BB14_10 Depth=1
                                        ; =>  This Loop Header: Depth=2
                                        ;       Child Loop BB14_78 Depth 3
                                        ;       Child Loop BB14_81 Depth 3
	s_lshl_b32 s24, s23, 2
	s_mul_i32 s25, s23, 0x44
	v_mad_u32_u24 v3, 0x44, v0, s24
	s_add_i32 s25, s24, s25
	s_delay_alu instid0(SALU_CYCLE_1)
	v_mov_b32_e32 v2, s25
	ds_load_b32 v4, v2
	ds_load_b32 v2, v3 offset:2176
	s_waitcnt lgkmcnt(1)
	v_cmp_neq_f32_e32 vcc_lo, 0, v4
	v_cndmask_b32_e32 v4, 1.0, v4, vcc_lo
	s_or_b32 s24, vcc_lo, s2
	s_delay_alu instid0(SALU_CYCLE_1) | instskip(NEXT) | instid1(SALU_CYCLE_1)
	s_xor_b32 s25, s24, -1
	s_and_saveexec_b32 s24, s25
	s_cbranch_execz .LBB14_76
; %bb.73:                               ;   in Loop: Header=BB14_72 Depth=2
	v_mbcnt_lo_u32_b32 v4, exec_lo, 0
	s_mov_b32 s25, exec_lo
	s_delay_alu instid0(VALU_DEP_1)
	v_cmpx_eq_u32_e32 0, v4
	s_cbranch_execz .LBB14_75
; %bb.74:                               ;   in Loop: Header=BB14_72 Depth=2
	v_mov_b32_e32 v4, s36
	global_atomic_min_i32 v18, v4, s[10:11]
.LBB14_75:                              ;   in Loop: Header=BB14_72 Depth=2
	s_or_b32 exec_lo, exec_lo, s25
	v_mov_b32_e32 v4, 1.0
.LBB14_76:                              ;   in Loop: Header=BB14_72 Depth=2
	s_or_b32 exec_lo, exec_lo, s24
	v_lshl_add_u32 v19, s23, 2, v7
	s_cmp_eq_u32 s23, 0
	ds_load_b32 v19, v19 offset:1088
	s_cbranch_scc1 .LBB14_79
; %bb.77:                               ;   in Loop: Header=BB14_72 Depth=2
	v_mov_b32_e32 v20, v13
	s_mov_b32 s24, 0
	s_mov_b32 s25, s22
.LBB14_78:                              ;   Parent Loop BB14_10 Depth=1
                                        ;     Parent Loop BB14_72 Depth=2
                                        ; =>    This Inner Loop Header: Depth=3
	s_delay_alu instid0(SALU_CYCLE_1)
	v_mov_b32_e32 v21, s25
	s_add_i32 s24, s24, 1
	s_add_i32 s25, s25, 4
	s_cmp_ge_u32 s24, s23
	ds_load_b32 v22, v20
	ds_load_b32 v21, v21
	s_waitcnt lgkmcnt(0)
	v_dual_fmac_f32 v19, v21, v22 :: v_dual_add_nc_u32 v20, 4, v20
	s_cbranch_scc0 .LBB14_78
.LBB14_79:                              ;   in Loop: Header=BB14_72 Depth=2
	s_waitcnt lgkmcnt(0)
	s_delay_alu instid0(VALU_DEP_1) | instskip(NEXT) | instid1(VALU_DEP_1)
	v_sub_f32_e32 v2, v2, v19
	v_div_scale_f32 v19, null, v4, v4, v2
	v_div_scale_f32 v22, vcc_lo, v2, v4, v2
	s_delay_alu instid0(VALU_DEP_2) | instskip(SKIP_2) | instid1(VALU_DEP_1)
	v_rcp_f32_e32 v20, v19
	s_waitcnt_depctr 0xfff
	v_fma_f32 v21, -v19, v20, 1.0
	v_dual_fmac_f32 v20, v21, v20 :: v_dual_add_nc_u32 v3, 0x880, v3
	s_delay_alu instid0(VALU_DEP_1) | instskip(NEXT) | instid1(VALU_DEP_1)
	v_mul_f32_e32 v21, v22, v20
	v_fma_f32 v23, -v19, v21, v22
	s_delay_alu instid0(VALU_DEP_1) | instskip(NEXT) | instid1(VALU_DEP_1)
	v_fmac_f32_e32 v21, v23, v20
	v_fma_f32 v19, -v19, v21, v22
	s_delay_alu instid0(VALU_DEP_1) | instskip(NEXT) | instid1(VALU_DEP_1)
	v_div_fmas_f32 v19, v19, v20, v21
	v_div_fixup_f32 v2, v19, v4, v2
	ds_store_b32 v3, v2
	s_waitcnt lgkmcnt(0)
	s_waitcnt_vscnt null, 0x0
	buffer_gl0_inv
	s_and_saveexec_b32 s24, s0
	s_cbranch_execz .LBB14_71
; %bb.80:                               ;   in Loop: Header=BB14_72 Depth=2
	v_dual_mov_b32 v3, v16 :: v_dual_mov_b32 v4, v1
	v_mov_b32_e32 v19, v5
	s_mov_b32 s25, 0
.LBB14_81:                              ;   Parent Loop BB14_10 Depth=1
                                        ;     Parent Loop BB14_72 Depth=2
                                        ; =>    This Inner Loop Header: Depth=3
	ds_load_b32 v20, v4
	ds_load_b32 v21, v3
	v_add_nc_u32_e32 v19, 4, v19
	v_add_nc_u32_e32 v4, 0x110, v4
	s_delay_alu instid0(VALU_DEP_2)
	v_cmp_le_i32_e32 vcc_lo, s3, v19
	s_or_b32 s25, vcc_lo, s25
	s_waitcnt lgkmcnt(0)
	v_fmac_f32_e32 v21, v2, v20
	ds_store_b32 v3, v21
	v_add_nc_u32_e32 v3, 16, v3
	s_and_not1_b32 exec_lo, exec_lo, s25
	s_cbranch_execnz .LBB14_81
	s_branch .LBB14_71
.LBB14_82:                              ;   in Loop: Header=BB14_10 Depth=1
	s_and_saveexec_b32 s22, s0
	s_cbranch_execz .LBB14_9
; %bb.83:                               ;   in Loop: Header=BB14_10 Depth=1
	v_mov_b32_e32 v3, v17
	v_mov_b32_e32 v4, v5
	s_mov_b32 s23, 0
	s_set_inst_prefetch_distance 0x1
	s_branch .LBB14_86
	.p2align	6
.LBB14_84:                              ;   in Loop: Header=BB14_86 Depth=2
	s_delay_alu instid0(VALU_DEP_1) | instskip(NEXT) | instid1(VALU_DEP_1)
	v_ashrrev_i32_e32 v2, 31, v1
	v_lshlrev_b64 v[1:2], 2, v[1:2]
	s_delay_alu instid0(VALU_DEP_1) | instskip(NEXT) | instid1(VALU_DEP_2)
	v_add_co_u32 v1, vcc_lo, s18, v1
	v_add_co_ci_u32_e32 v2, vcc_lo, s19, v2, vcc_lo
	s_waitcnt lgkmcnt(0)
	global_store_b32 v[1:2], v19, off
.LBB14_85:                              ;   in Loop: Header=BB14_86 Depth=2
	s_or_b32 exec_lo, exec_lo, s24
	v_add_nc_u32_e32 v4, 4, v4
	v_add_nc_u32_e32 v3, 16, v3
	s_delay_alu instid0(VALU_DEP_2) | instskip(SKIP_1) | instid1(SALU_CYCLE_1)
	v_cmp_le_i32_e32 vcc_lo, s3, v4
	s_or_b32 s23, vcc_lo, s23
	s_and_not1_b32 exec_lo, exec_lo, s23
	s_cbranch_execz .LBB14_9
.LBB14_86:                              ;   Parent Loop BB14_10 Depth=1
                                        ; =>  This Inner Loop Header: Depth=2
	s_and_saveexec_b32 s24, s1
	s_cbranch_execz .LBB14_85
; %bb.87:                               ;   in Loop: Header=BB14_86 Depth=2
	ds_load_b32 v19, v3
	s_and_b32 vcc_lo, exec_lo, s31
	s_cbranch_vccz .LBB14_89
; %bb.88:                               ;   in Loop: Header=BB14_86 Depth=2
	v_add_nc_u32_e32 v20, s21, v4
	s_delay_alu instid0(VALU_DEP_1)
	v_mad_u64_u32 v[1:2], null, v20, s3, v[0:1]
	s_cbranch_execnz .LBB14_84
	s_branch .LBB14_90
.LBB14_89:                              ;   in Loop: Header=BB14_86 Depth=2
                                        ; implicit-def: $vgpr1
.LBB14_90:                              ;   in Loop: Header=BB14_86 Depth=2
	v_add_nc_u32_e32 v1, v14, v4
	s_branch .LBB14_84
.LBB14_91:                              ;   in Loop: Header=BB14_10 Depth=1
                                        ; implicit-def: $sgpr20
                                        ; implicit-def: $vgpr14
	s_cbranch_execz .LBB14_10
.LBB14_92:
	v_cmp_gt_i32_e64 s0, s3, v5
	s_delay_alu instid0(VALU_DEP_1)
	s_and_saveexec_b32 s2, s0
	s_cbranch_execz .LBB14_105
; %bb.93:
	s_mul_i32 s4, s28, s3
	v_cmp_gt_i32_e64 s1, s3, v0
	v_add_nc_u32_e32 v1, s4, v0
	v_add3_u32 v4, v7, v6, 0x880
	v_mov_b32_e32 v9, v5
	s_cmp_lg_u32 s29, 0
	s_mov_b32 s5, 0
	v_mul_lo_u32 v3, v1, s3
	s_cselect_b32 s12, -1, 0
	s_branch .LBB14_95
.LBB14_94:                              ;   in Loop: Header=BB14_95 Depth=1
	s_or_b32 exec_lo, exec_lo, s14
	v_add_nc_u32_e32 v9, 4, v9
	s_waitcnt vmcnt(0)
	ds_store_b32 v4, v2
	v_add_nc_u32_e32 v4, 16, v4
	v_cmp_le_i32_e32 vcc_lo, s3, v9
	s_or_b32 s5, vcc_lo, s5
	s_delay_alu instid0(SALU_CYCLE_1)
	s_and_not1_b32 exec_lo, exec_lo, s5
	s_cbranch_execz .LBB14_105
.LBB14_95:                              ; =>This Inner Loop Header: Depth=1
	s_and_b32 vcc_lo, exec_lo, s12
	s_cbranch_vccz .LBB14_100
; %bb.96:                               ;   in Loop: Header=BB14_95 Depth=1
	s_mov_b32 s14, 0
	s_mov_b32 s13, 0
                                        ; implicit-def: $vgpr1
	s_and_saveexec_b32 s15, s1
	s_delay_alu instid0(SALU_CYCLE_1)
	s_xor_b32 s15, exec_lo, s15
; %bb.97:                               ;   in Loop: Header=BB14_95 Depth=1
	v_add_nc_u32_e32 v10, s4, v9
	s_mov_b32 s13, exec_lo
	s_delay_alu instid0(VALU_DEP_1)
	v_mad_u64_u32 v[1:2], null, v10, s3, v[0:1]
; %bb.98:                               ;   in Loop: Header=BB14_95 Depth=1
	s_or_b32 exec_lo, exec_lo, s15
	s_delay_alu instid0(SALU_CYCLE_1)
	s_and_b32 vcc_lo, exec_lo, s14
	s_cbranch_vccnz .LBB14_101
.LBB14_99:                              ;   in Loop: Header=BB14_95 Depth=1
	v_mov_b32_e32 v2, s14
	s_and_saveexec_b32 s14, s13
	s_cbranch_execz .LBB14_94
	s_branch .LBB14_104
.LBB14_100:                             ;   in Loop: Header=BB14_95 Depth=1
	s_mov_b32 s14, -1
	s_mov_b32 s13, 0
                                        ; implicit-def: $vgpr1
	s_cbranch_execz .LBB14_99
.LBB14_101:                             ;   in Loop: Header=BB14_95 Depth=1
                                        ; implicit-def: $vgpr1
	s_and_saveexec_b32 s14, s1
; %bb.102:                              ;   in Loop: Header=BB14_95 Depth=1
	v_add_nc_u32_e32 v1, v3, v9
	s_or_b32 s13, s13, exec_lo
; %bb.103:                              ;   in Loop: Header=BB14_95 Depth=1
	s_or_b32 exec_lo, exec_lo, s14
	s_mov_b32 s14, 0
	s_delay_alu instid0(SALU_CYCLE_1)
	v_mov_b32_e32 v2, s14
	s_and_saveexec_b32 s14, s13
	s_cbranch_execz .LBB14_94
.LBB14_104:                             ;   in Loop: Header=BB14_95 Depth=1
	v_ashrrev_i32_e32 v2, 31, v1
	s_delay_alu instid0(VALU_DEP_1) | instskip(NEXT) | instid1(VALU_DEP_1)
	v_lshlrev_b64 v[1:2], 2, v[1:2]
	v_add_co_u32 v1, vcc_lo, s18, v1
	s_delay_alu instid0(VALU_DEP_2)
	v_add_co_ci_u32_e32 v2, vcc_lo, s19, v2, vcc_lo
	global_load_b32 v2, v[1:2], off
	s_branch .LBB14_94
.LBB14_105:
	s_or_b32 exec_lo, exec_lo, s2
; %bb.106:
	s_cmp_lt_i32 s3, 1
	s_waitcnt lgkmcnt(0)
	buffer_gl0_inv
	s_cbranch_scc1 .LBB14_119
; %bb.107:
	v_or_b32_e32 v1, v5, v0
	v_mad_u32_u24 v2, 0x44, v0, v8
	s_movk_i32 s2, 0x880
	v_add3_u32 v4, v7, v6, 0xcc0
	v_mad_u32_u24 v3, 0x44, v5, s2
	v_cmp_ne_u32_e64 s1, 0, v1
	v_dual_mov_b32 v8, 0 :: v_dual_add_nc_u32 v1, 0x880, v2
	v_add_nc_u32_e32 v2, 0xcc0, v2
	s_mov_b32 s4, 0
	s_add_i32 s5, s16, s17
	s_branch .LBB14_109
.LBB14_108:                             ;   in Loop: Header=BB14_109 Depth=1
	s_or_b32 exec_lo, exec_lo, s2
	v_add_nc_u32_e32 v3, 4, v3
	s_add_i32 s4, s4, 1
	s_waitcnt lgkmcnt(0)
	s_waitcnt_vscnt null, 0x0
	buffer_gl0_inv
	s_cmp_eq_u32 s4, s3
	s_cbranch_scc1 .LBB14_119
.LBB14_109:                             ; =>This Loop Header: Depth=1
                                        ;     Child Loop BB14_118 Depth 2
	s_mov_b32 s12, exec_lo
	v_cmpx_eq_u32_e64 s4, v0
	s_cbranch_execz .LBB14_111
; %bb.110:                              ;   in Loop: Header=BB14_109 Depth=1
	ds_load_b32 v9, v1
	ds_load_b32 v10, v2
	s_waitcnt lgkmcnt(0)
	v_sub_f32_e32 v9, v9, v10
	s_delay_alu instid0(VALU_DEP_1) | instskip(SKIP_1) | instid1(VALU_DEP_1)
	v_cmp_gt_f32_e32 vcc_lo, 0, v9
	v_cndmask_b32_e64 v9, v9, -v9, vcc_lo
	v_mul_f32_e32 v10, 0x4f800000, v9
	v_cmp_gt_f32_e32 vcc_lo, 0xf800000, v9
	s_delay_alu instid0(VALU_DEP_2) | instskip(NEXT) | instid1(VALU_DEP_1)
	v_cndmask_b32_e32 v9, v9, v10, vcc_lo
	v_sqrt_f32_e32 v10, v9
	s_waitcnt_depctr 0xfff
	v_add_nc_u32_e32 v11, -1, v10
	v_add_nc_u32_e32 v12, 1, v10
	s_delay_alu instid0(VALU_DEP_2) | instskip(NEXT) | instid1(VALU_DEP_2)
	v_fma_f32 v13, -v11, v10, v9
	v_fma_f32 v14, -v12, v10, v9
	s_delay_alu instid0(VALU_DEP_2) | instskip(NEXT) | instid1(VALU_DEP_1)
	v_cmp_ge_f32_e64 s2, 0, v13
	v_cndmask_b32_e64 v10, v10, v11, s2
	s_delay_alu instid0(VALU_DEP_3) | instskip(NEXT) | instid1(VALU_DEP_1)
	v_cmp_lt_f32_e64 s2, 0, v14
	v_cndmask_b32_e64 v10, v10, v12, s2
	s_delay_alu instid0(VALU_DEP_1) | instskip(NEXT) | instid1(VALU_DEP_1)
	v_mul_f32_e32 v11, 0x37800000, v10
	v_cndmask_b32_e32 v10, v10, v11, vcc_lo
	v_cmp_class_f32_e64 vcc_lo, v9, 0x260
	s_delay_alu instid0(VALU_DEP_2)
	v_cndmask_b32_e32 v9, v10, v9, vcc_lo
	ds_store_b32 v1, v9
.LBB14_111:                             ;   in Loop: Header=BB14_109 Depth=1
	s_or_b32 exec_lo, exec_lo, s12
	s_lshl_b32 s2, s4, 2
	s_mul_i32 s12, s4, 0x44
	s_waitcnt lgkmcnt(0)
	buffer_gl0_inv
	s_add_i32 s12, s12, s2
	s_delay_alu instid0(SALU_CYCLE_1)
	v_mov_b32_e32 v9, s12
	ds_load_b32 v11, v9 offset:2176
	v_mad_u32_u24 v9, 0x44, v0, s2
	ds_load_b32 v10, v9 offset:2176
	s_waitcnt lgkmcnt(1)
	v_cmp_neq_f32_e32 vcc_lo, 0, v11
	v_cndmask_b32_e32 v11, 1.0, v11, vcc_lo
	s_or_b32 s2, vcc_lo, s1
	s_delay_alu instid0(SALU_CYCLE_1) | instskip(NEXT) | instid1(SALU_CYCLE_1)
	s_xor_b32 s12, s2, -1
	s_and_saveexec_b32 s2, s12
	s_cbranch_execz .LBB14_115
; %bb.112:                              ;   in Loop: Header=BB14_109 Depth=1
	v_mbcnt_lo_u32_b32 v11, exec_lo, 0
	s_mov_b32 s12, exec_lo
	s_delay_alu instid0(VALU_DEP_1)
	v_cmpx_eq_u32_e32 0, v11
	s_cbranch_execz .LBB14_114
; %bb.113:                              ;   in Loop: Header=BB14_109 Depth=1
	v_mov_b32_e32 v11, s5
	global_atomic_min_i32 v8, v11, s[10:11]
.LBB14_114:                             ;   in Loop: Header=BB14_109 Depth=1
	s_or_b32 exec_lo, exec_lo, s12
	v_mov_b32_e32 v11, 1.0
.LBB14_115:                             ;   in Loop: Header=BB14_109 Depth=1
	s_or_b32 exec_lo, exec_lo, s2
	s_delay_alu instid0(SALU_CYCLE_1)
	s_mov_b32 s2, exec_lo
	v_cmpx_lt_u32_e64 s4, v0
	s_cbranch_execz .LBB14_108
; %bb.116:                              ;   in Loop: Header=BB14_109 Depth=1
	v_lshl_add_u32 v12, s4, 2, v7
	ds_load_b32 v12, v12 offset:3264
	s_waitcnt lgkmcnt(0)
	v_sub_f32_e32 v10, v10, v12
	s_delay_alu instid0(VALU_DEP_1) | instskip(SKIP_1) | instid1(VALU_DEP_2)
	v_div_scale_f32 v12, null, v11, v11, v10
	v_div_scale_f32 v15, vcc_lo, v10, v11, v10
	v_rcp_f32_e32 v13, v12
	s_waitcnt_depctr 0xfff
	v_fma_f32 v14, -v12, v13, 1.0
	s_delay_alu instid0(VALU_DEP_1) | instskip(NEXT) | instid1(VALU_DEP_1)
	v_fmac_f32_e32 v13, v14, v13
	v_mul_f32_e32 v14, v15, v13
	s_delay_alu instid0(VALU_DEP_1) | instskip(NEXT) | instid1(VALU_DEP_1)
	v_fma_f32 v16, -v12, v14, v15
	v_fmac_f32_e32 v14, v16, v13
	s_delay_alu instid0(VALU_DEP_1) | instskip(NEXT) | instid1(VALU_DEP_1)
	v_fma_f32 v12, -v12, v14, v15
	v_div_fmas_f32 v12, v12, v13, v14
	v_add_nc_u32_e32 v13, 0x880, v9
	s_delay_alu instid0(VALU_DEP_2)
	v_div_fixup_f32 v9, v12, v11, v10
	ds_store_b32 v13, v9
	s_waitcnt lgkmcnt(0)
	s_waitcnt_vscnt null, 0x0
	buffer_gl0_inv
	s_and_b32 exec_lo, exec_lo, s0
	s_cbranch_execz .LBB14_108
; %bb.117:                              ;   in Loop: Header=BB14_109 Depth=1
	v_dual_mov_b32 v10, v4 :: v_dual_mov_b32 v11, v3
	v_mov_b32_e32 v12, v5
	s_mov_b32 s12, 0
.LBB14_118:                             ;   Parent Loop BB14_109 Depth=1
                                        ; =>  This Inner Loop Header: Depth=2
	ds_load_b32 v13, v11
	ds_load_b32 v14, v10
	v_add_nc_u32_e32 v12, 4, v12
	v_add_nc_u32_e32 v11, 0x110, v11
	s_delay_alu instid0(VALU_DEP_2)
	v_cmp_le_i32_e32 vcc_lo, s3, v12
	s_or_b32 s12, vcc_lo, s12
	s_waitcnt lgkmcnt(0)
	v_fmac_f32_e32 v14, v9, v13
	ds_store_b32 v10, v14
	v_add_nc_u32_e32 v10, 16, v10
	s_and_not1_b32 exec_lo, exec_lo, s12
	s_cbranch_execnz .LBB14_118
	s_branch .LBB14_108
.LBB14_119:
	s_and_saveexec_b32 s1, s0
	s_cbranch_execz .LBB14_128
; %bb.120:
	s_mul_i32 s28, s28, s3
	v_add3_u32 v4, v7, v6, 0x880
	v_dual_mov_b32 v6, v5 :: v_dual_add_nc_u32 v1, s28, v0
	v_cmp_gt_i32_e64 s0, s3, v0
	s_cmp_lg_u32 s29, 0
	s_mov_b32 s2, 0
	s_delay_alu instid0(VALU_DEP_2)
	v_mul_lo_u32 v3, v1, s3
	s_cselect_b32 s4, -1, 0
	s_set_inst_prefetch_distance 0x1
	s_branch .LBB14_123
	.p2align	6
.LBB14_121:                             ;   in Loop: Header=BB14_123 Depth=1
	s_delay_alu instid0(VALU_DEP_1) | instskip(NEXT) | instid1(VALU_DEP_1)
	v_ashrrev_i32_e32 v2, 31, v1
	v_lshlrev_b64 v[1:2], 2, v[1:2]
	s_delay_alu instid0(VALU_DEP_1) | instskip(NEXT) | instid1(VALU_DEP_2)
	v_add_co_u32 v1, vcc_lo, s18, v1
	v_add_co_ci_u32_e32 v2, vcc_lo, s19, v2, vcc_lo
	s_waitcnt lgkmcnt(0)
	global_store_b32 v[1:2], v7, off
.LBB14_122:                             ;   in Loop: Header=BB14_123 Depth=1
	s_or_b32 exec_lo, exec_lo, s5
	v_add_nc_u32_e32 v6, 4, v6
	v_add_nc_u32_e32 v4, 16, v4
	s_delay_alu instid0(VALU_DEP_2) | instskip(SKIP_1) | instid1(SALU_CYCLE_1)
	v_cmp_le_i32_e32 vcc_lo, s3, v6
	s_or_b32 s2, vcc_lo, s2
	s_and_not1_b32 exec_lo, exec_lo, s2
	s_cbranch_execz .LBB14_128
.LBB14_123:                             ; =>This Inner Loop Header: Depth=1
	s_and_saveexec_b32 s5, s0
	s_cbranch_execz .LBB14_122
; %bb.124:                              ;   in Loop: Header=BB14_123 Depth=1
	ds_load_b32 v7, v4
	s_and_b32 vcc_lo, exec_lo, s4
	s_cbranch_vccz .LBB14_126
; %bb.125:                              ;   in Loop: Header=BB14_123 Depth=1
	v_add_nc_u32_e32 v8, s28, v6
	s_delay_alu instid0(VALU_DEP_1)
	v_mad_u64_u32 v[1:2], null, v8, s3, v[0:1]
	s_cbranch_execnz .LBB14_121
	s_branch .LBB14_127
.LBB14_126:                             ;   in Loop: Header=BB14_123 Depth=1
                                        ; implicit-def: $vgpr1
.LBB14_127:                             ;   in Loop: Header=BB14_123 Depth=1
	v_add_nc_u32_e32 v1, v3, v6
	s_branch .LBB14_121
.LBB14_128:
	s_set_inst_prefetch_distance 0x2
	s_or_b32 exec_lo, exec_lo, s1
	v_or_b32_e32 v1, v5, v0
	s_delay_alu instid0(VALU_DEP_1)
	v_cmp_eq_u32_e64 s3, 0, v1
.LBB14_129:
	s_delay_alu instid0(VALU_DEP_1)
	s_and_saveexec_b32 s0, s3
	s_cbranch_execnz .LBB14_137
.LBB14_130:
	s_nop 0
	s_sendmsg sendmsg(MSG_DEALLOC_VGPRS)
	s_endpgm
.LBB14_131:
	s_cbranch_execz .LBB14_129
; %bb.132:
	v_or_b32_e32 v0, v5, v0
	s_mov_b32 s0, exec_lo
	s_delay_alu instid0(VALU_DEP_1)
	v_cmpx_eq_u32_e32 0, v0
	s_cbranch_execz .LBB14_136
; %bb.133:
	v_mbcnt_lo_u32_b32 v0, exec_lo, 0
	s_mov_b32 s1, exec_lo
	s_delay_alu instid0(VALU_DEP_1)
	v_cmpx_eq_u32_e32 0, v0
	s_cbranch_execz .LBB14_135
; %bb.134:
	s_add_i32 s2, s16, s17
	s_delay_alu instid0(SALU_CYCLE_1)
	v_dual_mov_b32 v0, 0 :: v_dual_mov_b32 v1, s2
	global_atomic_min_i32 v0, v1, s[10:11]
.LBB14_135:
	s_or_b32 exec_lo, exec_lo, s1
	s_delay_alu instid0(SALU_CYCLE_1)
	s_or_b32 s3, s3, exec_lo
.LBB14_136:
	s_or_b32 exec_lo, exec_lo, s0
	s_and_saveexec_b32 s0, s3
	s_cbranch_execz .LBB14_130
.LBB14_137:
	v_dual_mov_b32 v0, 0 :: v_dual_mov_b32 v1, 1
	s_add_u32 s0, s6, s8
	s_addc_u32 s1, s7, s9
	s_waitcnt_vscnt null, 0x0
	global_store_b32 v0, v1, s[0:1]
	s_nop 0
	s_sendmsg sendmsg(MSG_DEALLOC_VGPRS)
	s_endpgm
	.section	.rodata,"a",@progbits
	.p2align	6, 0x0
	.amdhsa_kernel _ZN9rocsparseL18bsric0_9_16_kernelILi64ELi64ELi16EfEEv20rocsparse_direction_iiPKiS3_PT2_S3_PiS3_S6_21rocsparse_index_base_
		.amdhsa_group_segment_fixed_size 5120
		.amdhsa_private_segment_fixed_size 0
		.amdhsa_kernarg_size 76
		.amdhsa_user_sgpr_count 15
		.amdhsa_user_sgpr_dispatch_ptr 0
		.amdhsa_user_sgpr_queue_ptr 0
		.amdhsa_user_sgpr_kernarg_segment_ptr 1
		.amdhsa_user_sgpr_dispatch_id 0
		.amdhsa_user_sgpr_private_segment_size 0
		.amdhsa_wavefront_size32 1
		.amdhsa_uses_dynamic_stack 0
		.amdhsa_enable_private_segment 0
		.amdhsa_system_sgpr_workgroup_id_x 1
		.amdhsa_system_sgpr_workgroup_id_y 0
		.amdhsa_system_sgpr_workgroup_id_z 0
		.amdhsa_system_sgpr_workgroup_info 0
		.amdhsa_system_vgpr_workitem_id 1
		.amdhsa_next_free_vgpr 27
		.amdhsa_next_free_sgpr 44
		.amdhsa_reserve_vcc 1
		.amdhsa_float_round_mode_32 0
		.amdhsa_float_round_mode_16_64 0
		.amdhsa_float_denorm_mode_32 3
		.amdhsa_float_denorm_mode_16_64 3
		.amdhsa_dx10_clamp 1
		.amdhsa_ieee_mode 1
		.amdhsa_fp16_overflow 0
		.amdhsa_workgroup_processor_mode 1
		.amdhsa_memory_ordered 1
		.amdhsa_forward_progress 0
		.amdhsa_shared_vgpr_count 0
		.amdhsa_exception_fp_ieee_invalid_op 0
		.amdhsa_exception_fp_denorm_src 0
		.amdhsa_exception_fp_ieee_div_zero 0
		.amdhsa_exception_fp_ieee_overflow 0
		.amdhsa_exception_fp_ieee_underflow 0
		.amdhsa_exception_fp_ieee_inexact 0
		.amdhsa_exception_int_div_zero 0
	.end_amdhsa_kernel
	.section	.text._ZN9rocsparseL18bsric0_9_16_kernelILi64ELi64ELi16EfEEv20rocsparse_direction_iiPKiS3_PT2_S3_PiS3_S6_21rocsparse_index_base_,"axG",@progbits,_ZN9rocsparseL18bsric0_9_16_kernelILi64ELi64ELi16EfEEv20rocsparse_direction_iiPKiS3_PT2_S3_PiS3_S6_21rocsparse_index_base_,comdat
.Lfunc_end14:
	.size	_ZN9rocsparseL18bsric0_9_16_kernelILi64ELi64ELi16EfEEv20rocsparse_direction_iiPKiS3_PT2_S3_PiS3_S6_21rocsparse_index_base_, .Lfunc_end14-_ZN9rocsparseL18bsric0_9_16_kernelILi64ELi64ELi16EfEEv20rocsparse_direction_iiPKiS3_PT2_S3_PiS3_S6_21rocsparse_index_base_
                                        ; -- End function
	.section	.AMDGPU.csdata,"",@progbits
; Kernel info:
; codeLenInByte = 4208
; NumSgprs: 46
; NumVgprs: 27
; ScratchSize: 0
; MemoryBound: 0
; FloatMode: 240
; IeeeMode: 1
; LDSByteSize: 5120 bytes/workgroup (compile time only)
; SGPRBlocks: 5
; VGPRBlocks: 3
; NumSGPRsForWavesPerEU: 46
; NumVGPRsForWavesPerEU: 27
; Occupancy: 13
; WaveLimiterHint : 1
; COMPUTE_PGM_RSRC2:SCRATCH_EN: 0
; COMPUTE_PGM_RSRC2:USER_SGPR: 15
; COMPUTE_PGM_RSRC2:TRAP_HANDLER: 0
; COMPUTE_PGM_RSRC2:TGID_X_EN: 1
; COMPUTE_PGM_RSRC2:TGID_Y_EN: 0
; COMPUTE_PGM_RSRC2:TGID_Z_EN: 0
; COMPUTE_PGM_RSRC2:TIDIG_COMP_CNT: 1
	.section	.text._ZN9rocsparseL19bsric0_17_32_kernelILi64ELi64ELi32EfEEv20rocsparse_direction_iiPKiS3_PT2_S3_PiS3_S6_21rocsparse_index_base_,"axG",@progbits,_ZN9rocsparseL19bsric0_17_32_kernelILi64ELi64ELi32EfEEv20rocsparse_direction_iiPKiS3_PT2_S3_PiS3_S6_21rocsparse_index_base_,comdat
	.globl	_ZN9rocsparseL19bsric0_17_32_kernelILi64ELi64ELi32EfEEv20rocsparse_direction_iiPKiS3_PT2_S3_PiS3_S6_21rocsparse_index_base_ ; -- Begin function _ZN9rocsparseL19bsric0_17_32_kernelILi64ELi64ELi32EfEEv20rocsparse_direction_iiPKiS3_PT2_S3_PiS3_S6_21rocsparse_index_base_
	.p2align	8
	.type	_ZN9rocsparseL19bsric0_17_32_kernelILi64ELi64ELi32EfEEv20rocsparse_direction_iiPKiS3_PT2_S3_PiS3_S6_21rocsparse_index_base_,@function
_ZN9rocsparseL19bsric0_17_32_kernelILi64ELi64ELi32EfEEv20rocsparse_direction_iiPKiS3_PT2_S3_PiS3_S6_21rocsparse_index_base_: ; @_ZN9rocsparseL19bsric0_17_32_kernelILi64ELi64ELi32EfEEv20rocsparse_direction_iiPKiS3_PT2_S3_PiS3_S6_21rocsparse_index_base_
; %bb.0:
	s_load_b256 s[4:11], s[0:1], 0x28
	s_mov_b32 s2, s15
	s_mov_b32 s3, 0
	v_and_b32_e32 v5, 0x3ff, v0
	s_lshl_b64 s[12:13], s[2:3], 2
	v_bfe_u32 v0, v0, 10, 10
	s_waitcnt lgkmcnt(0)
	s_add_u32 s8, s8, s12
	s_addc_u32 s9, s9, s13
	s_load_b32 s16, s[8:9], 0x0
	s_waitcnt lgkmcnt(0)
	s_ashr_i32 s17, s16, 31
	s_delay_alu instid0(SALU_CYCLE_1) | instskip(NEXT) | instid1(SALU_CYCLE_1)
	s_lshl_b64 s[8:9], s[16:17], 2
	s_add_u32 s12, s4, s8
	s_addc_u32 s13, s5, s9
	s_load_b32 s28, s[12:13], 0x0
	s_load_b32 s17, s[0:1], 0x48
	s_waitcnt lgkmcnt(0)
	s_cmp_lg_u32 s28, -1
	s_cbranch_scc0 .LBB15_119
; %bb.1:
	s_clause 0x1
	s_load_b128 s[12:15], s[0:1], 0x10
	s_load_b64 s[18:19], s[0:1], 0x20
	v_lshlrev_b32_e32 v1, 1, v0
	v_lshlrev_b32_e32 v6, 2, v5
	s_waitcnt lgkmcnt(0)
	s_add_u32 s2, s12, s8
	s_addc_u32 s3, s13, s9
	s_load_b32 s2, s[2:3], 0x0
	s_waitcnt lgkmcnt(0)
	s_sub_i32 s30, s2, s17
	s_mov_b32 s2, exec_lo
	v_add3_u32 v1, v1, v5, s30
	s_delay_alu instid0(VALU_DEP_1)
	v_cmpx_ge_i32_e64 s28, v1
	s_cbranch_execz .LBB15_4
; %bb.2:
	v_lshlrev_b32_e32 v2, 3, v0
	s_mov_b32 s3, 0
	s_delay_alu instid0(VALU_DEP_1)
	v_add3_u32 v3, v2, v6, 0x3380
	.p2align	6
.LBB15_3:                               ; =>This Inner Loop Header: Depth=1
	v_ashrrev_i32_e32 v2, 31, v1
	s_delay_alu instid0(VALU_DEP_1) | instskip(SKIP_1) | instid1(VALU_DEP_2)
	v_lshlrev_b64 v[7:8], 2, v[1:2]
	v_add_nc_u32_e32 v1, 64, v1
	v_add_co_u32 v7, vcc_lo, s14, v7
	s_delay_alu instid0(VALU_DEP_3) | instskip(NEXT) | instid1(VALU_DEP_3)
	v_add_co_ci_u32_e32 v8, vcc_lo, s15, v8, vcc_lo
	v_cmp_lt_i32_e32 vcc_lo, s28, v1
	global_load_b32 v2, v[7:8], off
	s_or_b32 s3, vcc_lo, s3
	s_waitcnt vmcnt(0)
	v_subrev_nc_u32_e32 v2, s17, v2
	ds_store_b32 v3, v2
	v_add_nc_u32_e32 v3, 0x100, v3
	s_and_not1_b32 exec_lo, exec_lo, s3
	s_cbranch_execnz .LBB15_3
.LBB15_4:
	s_or_b32 exec_lo, exec_lo, s2
	v_mul_u32_u24_e32 v7, 0x84, v0
	s_mov_b32 s2, exec_lo
	v_cmpx_gt_u32_e32 32, v5
	s_cbranch_execz .LBB15_7
; %bb.5:
	v_add_nc_u32_e32 v1, -2, v5
	v_add3_u32 v2, v7, v6, 0x2100
	v_mov_b32_e32 v3, 0
	s_mov_b32 s3, 0
.LBB15_6:                               ; =>This Inner Loop Header: Depth=1
	s_delay_alu instid0(VALU_DEP_3) | instskip(SKIP_4) | instid1(SALU_CYCLE_1)
	v_add_nc_u32_e32 v1, 2, v1
	ds_store_b32 v2, v3
	v_add_nc_u32_e32 v2, 8, v2
	v_cmp_lt_u32_e32 vcc_lo, 29, v1
	s_or_b32 s3, vcc_lo, s3
	s_and_not1_b32 exec_lo, exec_lo, s3
	s_cbranch_execnz .LBB15_6
.LBB15_7:
	s_or_b32 exec_lo, exec_lo, s2
	s_clause 0x1
	s_load_b32 s3, s[0:1], 0x8
	s_load_b32 s29, s[0:1], 0x0
	s_cmp_ge_i32 s30, s28
	s_waitcnt lgkmcnt(0)
	buffer_gl0_inv
	v_cmp_gt_i32_e64 s0, s3, v5
	s_cbranch_scc1 .LBB15_80
; %bb.8:
	v_mad_u64_u32 v[1:2], null, s3, s30, v[0:1]
	v_or_b32_e32 v2, v5, v0
	v_mad_u32_u24 v9, 0x84, v0, v6
	s_cmp_eq_u32 s29, 0
	v_mul_lo_u32 v8, v0, s3
	v_mul_lo_u32 v10, v5, s3
	s_movk_i32 s20, 0x1080
	v_mul_lo_u32 v12, s3, v1
	s_cselect_b32 s31, -1, 0
	s_cmp_lg_u32 s29, 0
	v_cmp_gt_i32_e64 s1, s3, v0
	v_cmp_ne_u32_e64 s2, 0, v2
	v_mad_u32_u24 v11, 0x84, v0, s20
	v_mad_u32_u24 v13, 0x84, v5, s20
	v_add_nc_u32_e32 v14, 0x2100, v9
	v_dual_mov_b32 v16, 0 :: v_dual_add_nc_u32 v15, 0x1080, v9
	s_cselect_b32 s33, -1, 0
	s_cmp_gt_i32 s3, 0
	s_mul_i32 s35, s3, s3
	s_cselect_b32 s34, -1, 0
	s_lshl_b32 s36, s3, 1
	s_mov_b32 s20, s30
	s_branch .LBB15_10
.LBB15_9:                               ;   in Loop: Header=BB15_10 Depth=1
	s_set_inst_prefetch_distance 0x2
	s_or_b32 exec_lo, exec_lo, s22
	s_add_i32 s20, s20, 1
	v_add_nc_u32_e32 v12, s35, v12
	s_cmp_ge_i32 s20, s28
	s_waitcnt_vscnt null, 0x0
	buffer_gl1_inv
	buffer_gl0_inv
	s_cselect_b32 s21, -1, 0
	s_delay_alu instid0(SALU_CYCLE_1)
	s_and_b32 vcc_lo, exec_lo, s21
	s_cbranch_vccnz .LBB15_80
.LBB15_10:                              ; =>This Loop Header: Depth=1
                                        ;     Child Loop BB15_14 Depth 2
                                        ;     Child Loop BB15_27 Depth 2
	;; [unrolled: 1-line block ×4, first 2 shown]
                                        ;       Child Loop BB15_45 Depth 3
                                        ;     Child Loop BB15_58 Depth 2
                                        ;       Child Loop BB15_65 Depth 3
                                        ;       Child Loop BB15_69 Depth 3
                                        ;     Child Loop BB15_74 Depth 2
	s_ashr_i32 s21, s20, 31
	s_delay_alu instid0(SALU_CYCLE_1) | instskip(NEXT) | instid1(SALU_CYCLE_1)
	s_lshl_b64 s[22:23], s[20:21], 2
	s_add_u32 s22, s14, s22
	s_addc_u32 s23, s15, s23
	s_load_b32 s37, s[22:23], 0x0
	s_waitcnt lgkmcnt(0)
	s_sub_i32 s24, s37, s17
	s_delay_alu instid0(SALU_CYCLE_1) | instskip(NEXT) | instid1(SALU_CYCLE_1)
	s_ashr_i32 s25, s24, 31
	s_lshl_b64 s[22:23], s[24:25], 2
	s_delay_alu instid0(SALU_CYCLE_1)
	s_add_u32 s26, s4, s22
	s_addc_u32 s27, s5, s23
	s_load_b32 s25, s[26:27], 0x0
	s_waitcnt lgkmcnt(0)
	s_cmp_eq_u32 s25, -1
	s_cbranch_scc1 .LBB15_79
; %bb.11:                               ;   in Loop: Header=BB15_10 Depth=1
	s_add_u32 s26, s12, s22
	s_addc_u32 s27, s13, s23
	s_mul_i32 s21, s20, s3
	s_load_b32 s26, s[26:27], 0x0
	s_and_saveexec_b32 s27, s0
	s_cbranch_execz .LBB15_24
; %bb.12:                               ;   in Loop: Header=BB15_10 Depth=1
	v_mov_b32_e32 v3, v9
	v_mov_b32_e32 v4, v5
	s_mov_b32 s38, 0
	s_set_inst_prefetch_distance 0x1
	s_branch .LBB15_14
	.p2align	6
.LBB15_13:                              ;   in Loop: Header=BB15_14 Depth=2
	s_or_b32 exec_lo, exec_lo, s40
	v_add_nc_u32_e32 v4, 2, v4
	s_waitcnt vmcnt(0)
	ds_store_b32 v3, v2 offset:4224
	ds_store_b32 v3, v16
	v_add_nc_u32_e32 v3, 8, v3
	v_cmp_le_i32_e32 vcc_lo, s3, v4
	s_or_b32 s38, vcc_lo, s38
	s_delay_alu instid0(SALU_CYCLE_1)
	s_and_not1_b32 exec_lo, exec_lo, s38
	s_cbranch_execz .LBB15_24
.LBB15_14:                              ;   Parent Loop BB15_10 Depth=1
                                        ; =>  This Inner Loop Header: Depth=2
	s_and_b32 vcc_lo, exec_lo, s33
	s_cbranch_vccz .LBB15_18
; %bb.15:                               ;   in Loop: Header=BB15_14 Depth=2
	s_mov_b32 s40, 0
	s_mov_b32 s39, 0
                                        ; implicit-def: $vgpr1
	s_and_saveexec_b32 s41, s1
	s_delay_alu instid0(SALU_CYCLE_1)
	s_xor_b32 s41, exec_lo, s41
; %bb.16:                               ;   in Loop: Header=BB15_14 Depth=2
	v_add_nc_u32_e32 v17, s21, v4
	s_mov_b32 s39, exec_lo
	s_delay_alu instid0(VALU_DEP_1)
	v_mad_u64_u32 v[1:2], null, v17, s3, v[0:1]
; %bb.17:                               ;   in Loop: Header=BB15_14 Depth=2
	s_or_b32 exec_lo, exec_lo, s41
	s_delay_alu instid0(SALU_CYCLE_1)
	s_and_b32 vcc_lo, exec_lo, s40
	s_cbranch_vccnz .LBB15_19
	s_branch .LBB15_22
.LBB15_18:                              ;   in Loop: Header=BB15_14 Depth=2
	s_mov_b32 s40, -1
	s_mov_b32 s39, 0
                                        ; implicit-def: $vgpr1
	s_cbranch_execz .LBB15_22
.LBB15_19:                              ;   in Loop: Header=BB15_14 Depth=2
                                        ; implicit-def: $vgpr1
	s_and_saveexec_b32 s40, s1
; %bb.20:                               ;   in Loop: Header=BB15_14 Depth=2
	v_add_nc_u32_e32 v1, v12, v4
	s_or_b32 s39, s39, exec_lo
; %bb.21:                               ;   in Loop: Header=BB15_14 Depth=2
	s_or_b32 exec_lo, exec_lo, s40
	s_mov_b32 s40, 0
.LBB15_22:                              ;   in Loop: Header=BB15_14 Depth=2
	s_delay_alu instid0(SALU_CYCLE_1)
	v_mov_b32_e32 v2, s40
	s_and_saveexec_b32 s40, s39
	s_cbranch_execz .LBB15_13
; %bb.23:                               ;   in Loop: Header=BB15_14 Depth=2
	v_ashrrev_i32_e32 v2, 31, v1
	s_delay_alu instid0(VALU_DEP_1) | instskip(NEXT) | instid1(VALU_DEP_1)
	v_lshlrev_b64 v[1:2], 2, v[1:2]
	v_add_co_u32 v1, vcc_lo, s18, v1
	s_delay_alu instid0(VALU_DEP_2)
	v_add_co_ci_u32_e32 v2, vcc_lo, s19, v2, vcc_lo
	global_load_b32 v2, v[1:2], off
	s_branch .LBB15_13
.LBB15_24:                              ;   in Loop: Header=BB15_10 Depth=1
	s_set_inst_prefetch_distance 0x2
	s_or_b32 exec_lo, exec_lo, s27
; %bb.25:                               ;   in Loop: Header=BB15_10 Depth=1
	ds_load_b32 v1, v16 offset:13184
	s_waitcnt lgkmcnt(0)
	s_sub_i32 s26, s26, s17
	s_delay_alu instid0(SALU_CYCLE_1) | instskip(SKIP_3) | instid1(SALU_CYCLE_1)
	s_cmp_le_i32 s26, s25
	s_cselect_b32 s27, -1, 0
	v_cmp_ge_i32_e32 vcc_lo, s24, v1
	s_and_b32 s27, s27, vcc_lo
	s_and_not1_b32 vcc_lo, exec_lo, s27
	s_mov_b32 s27, 0
	s_cbranch_vccnz .LBB15_37
; %bb.26:                               ;   in Loop: Header=BB15_10 Depth=1
	s_mov_b32 s38, 0
	s_mov_b32 s39, 0
.LBB15_27:                              ;   Parent Loop BB15_10 Depth=1
                                        ; =>  This Inner Loop Header: Depth=2
	s_ashr_i32 s27, s26, 31
	s_mov_b32 s43, -1
	s_lshl_b64 s[40:41], s[26:27], 2
                                        ; implicit-def: $sgpr42
	s_delay_alu instid0(SALU_CYCLE_1) | instskip(SKIP_2) | instid1(SALU_CYCLE_1)
	s_add_u32 s40, s14, s40
	s_addc_u32 s41, s15, s41
	s_lshl_b32 s27, s39, 2
	v_mov_b32_e32 v1, s27
	s_load_b32 s27, s[40:41], 0x0
                                        ; implicit-def: $sgpr41
	ds_load_b32 v1, v1 offset:13184
	s_waitcnt lgkmcnt(0)
	s_sub_i32 s44, s27, s17
                                        ; implicit-def: $sgpr27
	s_delay_alu instid0(SALU_CYCLE_1)
	v_cmp_ge_i32_e32 vcc_lo, s44, v1
	v_readfirstlane_b32 s40, v1
	s_cbranch_vccz .LBB15_33
; %bb.28:                               ;   in Loop: Header=BB15_27 Depth=2
	s_delay_alu instid0(VALU_DEP_1)
	s_cmp_le_i32 s44, s40
                                        ; implicit-def: $sgpr27
                                        ; implicit-def: $sgpr42
                                        ; implicit-def: $sgpr41
	s_cbranch_scc0 .LBB15_30
; %bb.29:                               ;   in Loop: Header=BB15_27 Depth=2
	s_add_i32 s27, s39, s30
	s_lshl_b32 s41, s38, 2
	s_mul_i32 s27, s27, s35
	s_mul_i32 s42, s26, s35
	s_delay_alu instid0(SALU_CYCLE_1)
	v_dual_mov_b32 v1, s27 :: v_dual_mov_b32 v2, s42
	v_add_nc_u32_e64 v3, 0x80, s41
	s_add_i32 s41, s39, 1
	s_add_i32 s42, s26, 1
	;; [unrolled: 1-line block ×3, first 2 shown]
	s_mov_b32 s43, 0
	ds_store_2addr_stride64_b32 v3, v2, v1 offset0:49 offset1:50
.LBB15_30:                              ;   in Loop: Header=BB15_27 Depth=2
	s_and_not1_b32 vcc_lo, exec_lo, s43
	s_cbranch_vccnz .LBB15_32
; %bb.31:                               ;   in Loop: Header=BB15_27 Depth=2
	s_add_i32 s41, s39, 1
	s_mov_b32 s27, s38
	s_mov_b32 s42, s26
.LBB15_32:                              ;   in Loop: Header=BB15_27 Depth=2
	s_mov_b32 s43, 0
.LBB15_33:                              ;   in Loop: Header=BB15_27 Depth=2
	s_delay_alu instid0(SALU_CYCLE_1)
	s_and_not1_b32 vcc_lo, exec_lo, s43
	s_cbranch_vccnz .LBB15_35
; %bb.34:                               ;   in Loop: Header=BB15_27 Depth=2
	s_add_i32 s42, s26, 1
	s_mov_b32 s41, s39
	s_mov_b32 s27, s38
.LBB15_35:                              ;   in Loop: Header=BB15_27 Depth=2
	s_cmp_le_i32 s42, s25
	s_cselect_b32 s26, -1, 0
	s_cmp_le_i32 s40, s24
	s_cselect_b32 s38, -1, 0
	s_delay_alu instid0(SALU_CYCLE_1) | instskip(NEXT) | instid1(SALU_CYCLE_1)
	s_and_b32 s26, s26, s38
	s_and_b32 vcc_lo, exec_lo, s26
	s_cbranch_vccz .LBB15_37
; %bb.36:                               ;   in Loop: Header=BB15_27 Depth=2
	s_mov_b32 s38, s27
	s_mov_b32 s26, s42
	;; [unrolled: 1-line block ×3, first 2 shown]
	s_branch .LBB15_27
.LBB15_37:                              ;   in Loop: Header=BB15_10 Depth=1
	s_add_u32 s22, s6, s22
	s_addc_u32 s23, s7, s23
	s_waitcnt lgkmcnt(0)
	buffer_gl0_inv
.LBB15_38:                              ;   Parent Loop BB15_10 Depth=1
                                        ; =>  This Inner Loop Header: Depth=2
	global_load_b32 v1, v16, s[22:23] glc
	s_waitcnt vmcnt(0)
	v_cmp_eq_u32_e32 vcc_lo, 0, v1
	s_cbranch_vccnz .LBB15_38
; %bb.39:                               ;   in Loop: Header=BB15_10 Depth=1
	s_cmp_lt_i32 s27, 2
	buffer_gl1_inv
	buffer_gl0_inv
	s_cbranch_scc1 .LBB15_55
; %bb.40:                               ;   in Loop: Header=BB15_10 Depth=1
	s_add_i32 s22, s27, -2
	s_mov_b32 s23, 0
	s_branch .LBB15_42
.LBB15_41:                              ;   in Loop: Header=BB15_42 Depth=2
	s_or_b32 exec_lo, exec_lo, s24
	s_add_i32 s24, s23, 1
	s_cmp_eq_u32 s23, s22
	s_mov_b32 s23, s24
	s_cbranch_scc1 .LBB15_55
.LBB15_42:                              ;   Parent Loop BB15_10 Depth=1
                                        ; =>  This Loop Header: Depth=2
                                        ;       Child Loop BB15_45 Depth 3
	s_and_saveexec_b32 s24, s0
	s_cbranch_execz .LBB15_41
; %bb.43:                               ;   in Loop: Header=BB15_42 Depth=2
	s_lshl_b32 s26, s23, 2
	v_mov_b32_e32 v21, v5
	v_add_nc_u32_e64 v1, 0x80, s26
	s_mov_b32 s26, 0
	ds_load_2addr_stride64_b32 v[1:2], v1 offset0:49 offset1:50
	s_waitcnt lgkmcnt(0)
	v_add_nc_u32_e32 v17, v2, v8
	v_add_nc_u32_e32 v18, v0, v2
	;; [unrolled: 1-line block ×4, first 2 shown]
	s_branch .LBB15_45
.LBB15_44:                              ;   in Loop: Header=BB15_45 Depth=3
	v_lshlrev_b32_e32 v1, 2, v21
	v_add_nc_u32_e32 v21, 2, v21
	v_add_nc_u32_e32 v19, 2, v19
	;; [unrolled: 1-line block ×3, first 2 shown]
	s_delay_alu instid0(VALU_DEP_4) | instskip(NEXT) | instid1(VALU_DEP_4)
	v_mad_u32_u24 v1, 0x84, v0, v1
	v_cmp_le_i32_e32 vcc_lo, s3, v21
	ds_load_b32 v3, v1
	s_or_b32 s26, vcc_lo, s26
	s_waitcnt lgkmcnt(0)
	v_add_f32_e32 v2, v2, v3
	ds_store_b32 v1, v2
	s_and_not1_b32 exec_lo, exec_lo, s26
	s_cbranch_execz .LBB15_41
.LBB15_45:                              ;   Parent Loop BB15_10 Depth=1
                                        ;     Parent Loop BB15_42 Depth=2
                                        ; =>    This Inner Loop Header: Depth=3
	s_delay_alu instid0(VALU_DEP_2)
	v_dual_mov_b32 v22, 0 :: v_dual_mov_b32 v1, v19
	v_mov_b32_e32 v3, v18
	s_mov_b32 s27, 0
	s_and_b32 vcc_lo, exec_lo, s33
	s_cbranch_vccz .LBB15_49
.LBB15_46:                              ;   in Loop: Header=BB15_45 Depth=3
	v_ashrrev_i32_e32 v2, 31, v1
	v_mov_b32_e32 v4, 0
	s_delay_alu instid0(VALU_DEP_2) | instskip(NEXT) | instid1(VALU_DEP_1)
	v_lshlrev_b64 v[23:24], 2, v[1:2]
	v_add_co_u32 v23, vcc_lo, s18, v23
	s_delay_alu instid0(VALU_DEP_2)
	v_add_co_ci_u32_e32 v24, vcc_lo, s19, v24, vcc_lo
	global_load_b32 v2, v[23:24], off
	s_and_saveexec_b32 s38, s1
	s_cbranch_execz .LBB15_48
; %bb.47:                               ;   in Loop: Header=BB15_45 Depth=3
	v_ashrrev_i32_e32 v4, 31, v3
	s_delay_alu instid0(VALU_DEP_1) | instskip(NEXT) | instid1(VALU_DEP_1)
	v_lshlrev_b64 v[23:24], 2, v[3:4]
	v_add_co_u32 v23, vcc_lo, s18, v23
	s_delay_alu instid0(VALU_DEP_2)
	v_add_co_ci_u32_e32 v24, vcc_lo, s19, v24, vcc_lo
	global_load_b32 v4, v[23:24], off
.LBB15_48:                              ;   in Loop: Header=BB15_45 Depth=3
	s_or_b32 exec_lo, exec_lo, s38
	s_waitcnt vmcnt(0)
	v_fma_f32 v2, v2, v4, v22
	s_branch .LBB15_53
.LBB15_49:                              ;   in Loop: Header=BB15_45 Depth=3
                                        ; implicit-def: $vgpr2
	s_cbranch_execz .LBB15_53
; %bb.50:                               ;   in Loop: Header=BB15_45 Depth=3
	v_dual_mov_b32 v4, 0 :: v_dual_add_nc_u32 v23, s27, v20
	s_delay_alu instid0(VALU_DEP_1) | instskip(NEXT) | instid1(VALU_DEP_1)
	v_ashrrev_i32_e32 v24, 31, v23
	v_lshlrev_b64 v[23:24], 2, v[23:24]
	s_delay_alu instid0(VALU_DEP_1) | instskip(NEXT) | instid1(VALU_DEP_2)
	v_add_co_u32 v23, vcc_lo, s18, v23
	v_add_co_ci_u32_e32 v24, vcc_lo, s19, v24, vcc_lo
	global_load_b32 v2, v[23:24], off
	s_and_saveexec_b32 s38, s1
	s_cbranch_execz .LBB15_52
; %bb.51:                               ;   in Loop: Header=BB15_45 Depth=3
	v_add_nc_u32_e32 v23, s27, v17
	s_delay_alu instid0(VALU_DEP_1) | instskip(NEXT) | instid1(VALU_DEP_1)
	v_ashrrev_i32_e32 v24, 31, v23
	v_lshlrev_b64 v[23:24], 2, v[23:24]
	s_delay_alu instid0(VALU_DEP_1) | instskip(NEXT) | instid1(VALU_DEP_2)
	v_add_co_u32 v23, vcc_lo, s18, v23
	v_add_co_ci_u32_e32 v24, vcc_lo, s19, v24, vcc_lo
	global_load_b32 v4, v[23:24], off
.LBB15_52:                              ;   in Loop: Header=BB15_45 Depth=3
	s_or_b32 exec_lo, exec_lo, s38
	s_waitcnt vmcnt(0)
	v_fmac_f32_e32 v22, v2, v4
	s_delay_alu instid0(VALU_DEP_1)
	v_mov_b32_e32 v2, v22
.LBB15_53:                              ;   in Loop: Header=BB15_45 Depth=3
	v_add_nc_u32_e32 v3, s3, v3
	v_add_nc_u32_e32 v1, s3, v1
	s_add_i32 s27, s27, 1
	s_delay_alu instid0(SALU_CYCLE_1)
	s_cmp_eq_u32 s3, s27
	s_cbranch_scc1 .LBB15_44
; %bb.54:                               ;   in Loop: Header=BB15_45 Depth=3
	v_mov_b32_e32 v22, v2
	s_and_b32 vcc_lo, exec_lo, s33
	s_cbranch_vccz .LBB15_49
	s_branch .LBB15_46
.LBB15_55:                              ;   in Loop: Header=BB15_10 Depth=1
	s_and_not1_b32 vcc_lo, exec_lo, s34
	s_waitcnt lgkmcnt(0)
	buffer_gl0_inv
	s_cbranch_vccnz .LBB15_70
; %bb.56:                               ;   in Loop: Header=BB15_10 Depth=1
	v_mov_b32_e32 v1, v13
	s_mul_i32 s24, s35, s25
	s_mov_b32 s25, 0
	s_mov_b32 s26, s24
	s_branch .LBB15_58
.LBB15_57:                              ;   in Loop: Header=BB15_58 Depth=2
	s_or_b32 exec_lo, exec_lo, s22
	v_add_nc_u32_e32 v1, 4, v1
	s_add_i32 s25, s25, 1
	s_add_i32 s26, s26, 1
	s_cmp_eq_u32 s25, s3
	s_waitcnt lgkmcnt(0)
	buffer_gl0_inv
	s_cbranch_scc1 .LBB15_70
.LBB15_58:                              ;   Parent Loop BB15_10 Depth=1
                                        ; =>  This Loop Header: Depth=2
                                        ;       Child Loop BB15_65 Depth 3
                                        ;       Child Loop BB15_69 Depth 3
	s_mul_i32 s27, s25, s3
	v_lshl_add_u32 v3, s25, 2, v7
	s_add_i32 s27, s27, s24
	s_delay_alu instid0(SALU_CYCLE_1) | instskip(SKIP_2) | instid1(SALU_CYCLE_1)
	s_add_i32 s22, s27, s25
	ds_load_b32 v2, v3 offset:4224
	s_ashr_i32 s23, s22, 31
	s_lshl_b64 s[22:23], s[22:23], 2
	s_delay_alu instid0(SALU_CYCLE_1)
	s_add_u32 s22, s18, s22
	s_addc_u32 s23, s19, s23
	global_load_b32 v4, v16, s[22:23]
	s_waitcnt vmcnt(0)
	v_cmp_neq_f32_e32 vcc_lo, 0, v4
	v_cndmask_b32_e32 v4, 1.0, v4, vcc_lo
	s_or_b32 s22, vcc_lo, s2
	s_delay_alu instid0(SALU_CYCLE_1) | instskip(NEXT) | instid1(SALU_CYCLE_1)
	s_xor_b32 s23, s22, -1
	s_and_saveexec_b32 s22, s23
	s_cbranch_execz .LBB15_62
; %bb.59:                               ;   in Loop: Header=BB15_58 Depth=2
	v_mbcnt_lo_u32_b32 v4, exec_lo, 0
	s_mov_b32 s23, exec_lo
	s_delay_alu instid0(VALU_DEP_1)
	v_cmpx_eq_u32_e32 0, v4
	s_cbranch_execz .LBB15_61
; %bb.60:                               ;   in Loop: Header=BB15_58 Depth=2
	v_mov_b32_e32 v4, s37
	global_atomic_min_i32 v16, v4, s[10:11]
.LBB15_61:                              ;   in Loop: Header=BB15_58 Depth=2
	s_or_b32 exec_lo, exec_lo, s23
	v_mov_b32_e32 v4, 1.0
.LBB15_62:                              ;   in Loop: Header=BB15_58 Depth=2
	s_or_b32 exec_lo, exec_lo, s22
	ds_load_b32 v17, v3
	s_cmp_eq_u32 s25, 0
	s_cbranch_scc1 .LBB15_67
; %bb.63:                               ;   in Loop: Header=BB15_58 Depth=2
	v_mov_b32_e32 v18, v11
	s_mov_b32 s38, 0
	s_mov_b32 s39, s26
	s_branch .LBB15_65
	.p2align	6
.LBB15_64:                              ;   in Loop: Header=BB15_65 Depth=3
	s_ashr_i32 s23, s22, 31
	ds_load_b32 v20, v18
	s_lshl_b64 s[22:23], s[22:23], 2
	v_add_nc_u32_e32 v18, 4, v18
	s_add_u32 s22, s18, s22
	s_addc_u32 s23, s19, s23
	s_add_i32 s38, s38, 1
	global_load_b32 v19, v16, s[22:23]
	s_add_i32 s39, s39, s3
	s_cmp_ge_u32 s38, s25
	s_waitcnt vmcnt(0) lgkmcnt(0)
	v_fmac_f32_e32 v17, v19, v20
	s_cbranch_scc1 .LBB15_67
.LBB15_65:                              ;   Parent Loop BB15_10 Depth=1
                                        ;     Parent Loop BB15_58 Depth=2
                                        ; =>    This Inner Loop Header: Depth=3
	s_and_not1_b32 vcc_lo, exec_lo, s31
	s_mov_b32 s22, s39
	s_cbranch_vccnz .LBB15_64
; %bb.66:                               ;   in Loop: Header=BB15_65 Depth=3
	s_add_i32 s22, s38, s27
	s_branch .LBB15_64
.LBB15_67:                              ;   in Loop: Header=BB15_58 Depth=2
	s_waitcnt lgkmcnt(0)
	s_delay_alu instid0(VALU_DEP_1) | instskip(NEXT) | instid1(VALU_DEP_1)
	v_dual_sub_f32 v2, v2, v17 :: v_dual_add_nc_u32 v3, 0x1080, v3
	v_div_scale_f32 v17, null, v4, v4, v2
	v_div_scale_f32 v20, vcc_lo, v2, v4, v2
	s_delay_alu instid0(VALU_DEP_2) | instskip(SKIP_2) | instid1(VALU_DEP_1)
	v_rcp_f32_e32 v18, v17
	s_waitcnt_depctr 0xfff
	v_fma_f32 v19, -v17, v18, 1.0
	v_fmac_f32_e32 v18, v19, v18
	s_delay_alu instid0(VALU_DEP_1) | instskip(NEXT) | instid1(VALU_DEP_1)
	v_mul_f32_e32 v19, v20, v18
	v_fma_f32 v21, -v17, v19, v20
	s_delay_alu instid0(VALU_DEP_1) | instskip(NEXT) | instid1(VALU_DEP_1)
	v_fmac_f32_e32 v19, v21, v18
	v_fma_f32 v17, -v17, v19, v20
	s_delay_alu instid0(VALU_DEP_1) | instskip(NEXT) | instid1(VALU_DEP_1)
	v_div_fmas_f32 v17, v17, v18, v19
	v_div_fixup_f32 v2, v17, v4, v2
	ds_store_b32 v3, v2
	s_waitcnt lgkmcnt(0)
	s_waitcnt_vscnt null, 0x0
	buffer_gl0_inv
	s_and_saveexec_b32 s22, s0
	s_cbranch_execz .LBB15_57
; %bb.68:                               ;   in Loop: Header=BB15_58 Depth=2
	v_dual_mov_b32 v3, v14 :: v_dual_mov_b32 v4, v1
	v_mov_b32_e32 v17, v5
	s_mov_b32 s23, 0
.LBB15_69:                              ;   Parent Loop BB15_10 Depth=1
                                        ;     Parent Loop BB15_58 Depth=2
                                        ; =>    This Inner Loop Header: Depth=3
	ds_load_b32 v18, v4
	ds_load_b32 v19, v3
	v_add_nc_u32_e32 v17, 2, v17
	v_add_nc_u32_e32 v4, 0x108, v4
	s_delay_alu instid0(VALU_DEP_2)
	v_cmp_le_i32_e32 vcc_lo, s3, v17
	s_or_b32 s23, vcc_lo, s23
	s_waitcnt lgkmcnt(0)
	v_fmac_f32_e32 v19, v2, v18
	ds_store_b32 v3, v19
	v_add_nc_u32_e32 v3, 8, v3
	s_and_not1_b32 exec_lo, exec_lo, s23
	s_cbranch_execnz .LBB15_69
	s_branch .LBB15_57
.LBB15_70:                              ;   in Loop: Header=BB15_10 Depth=1
	s_and_saveexec_b32 s22, s0
	s_cbranch_execz .LBB15_9
; %bb.71:                               ;   in Loop: Header=BB15_10 Depth=1
	v_dual_mov_b32 v3, v15 :: v_dual_mov_b32 v4, v5
	s_mov_b32 s23, 0
	s_set_inst_prefetch_distance 0x1
	s_branch .LBB15_74
	.p2align	6
.LBB15_72:                              ;   in Loop: Header=BB15_74 Depth=2
	s_delay_alu instid0(VALU_DEP_1) | instskip(NEXT) | instid1(VALU_DEP_1)
	v_ashrrev_i32_e32 v2, 31, v1
	v_lshlrev_b64 v[1:2], 2, v[1:2]
	s_delay_alu instid0(VALU_DEP_1) | instskip(NEXT) | instid1(VALU_DEP_2)
	v_add_co_u32 v1, vcc_lo, s18, v1
	v_add_co_ci_u32_e32 v2, vcc_lo, s19, v2, vcc_lo
	s_waitcnt lgkmcnt(0)
	global_store_b32 v[1:2], v17, off
.LBB15_73:                              ;   in Loop: Header=BB15_74 Depth=2
	s_or_b32 exec_lo, exec_lo, s24
	v_add_nc_u32_e32 v4, 2, v4
	v_add_nc_u32_e32 v3, 8, v3
	s_delay_alu instid0(VALU_DEP_2) | instskip(SKIP_1) | instid1(SALU_CYCLE_1)
	v_cmp_le_i32_e32 vcc_lo, s3, v4
	s_or_b32 s23, vcc_lo, s23
	s_and_not1_b32 exec_lo, exec_lo, s23
	s_cbranch_execz .LBB15_9
.LBB15_74:                              ;   Parent Loop BB15_10 Depth=1
                                        ; =>  This Inner Loop Header: Depth=2
	s_and_saveexec_b32 s24, s1
	s_cbranch_execz .LBB15_73
; %bb.75:                               ;   in Loop: Header=BB15_74 Depth=2
	ds_load_b32 v17, v3
	s_and_b32 vcc_lo, exec_lo, s33
	s_cbranch_vccz .LBB15_77
; %bb.76:                               ;   in Loop: Header=BB15_74 Depth=2
	v_add_nc_u32_e32 v18, s21, v4
	s_delay_alu instid0(VALU_DEP_1)
	v_mad_u64_u32 v[1:2], null, v18, s3, v[0:1]
	s_cbranch_execnz .LBB15_72
	s_branch .LBB15_78
	.p2align	6
.LBB15_77:                              ;   in Loop: Header=BB15_74 Depth=2
                                        ; implicit-def: $vgpr1
.LBB15_78:                              ;   in Loop: Header=BB15_74 Depth=2
	v_add_nc_u32_e32 v1, v12, v4
	s_branch .LBB15_72
.LBB15_79:                              ;   in Loop: Header=BB15_10 Depth=1
                                        ; implicit-def: $sgpr20
                                        ; implicit-def: $vgpr12
	s_cbranch_execz .LBB15_10
.LBB15_80:
	v_cmp_gt_i32_e64 s0, s3, v5
	s_delay_alu instid0(VALU_DEP_1)
	s_and_saveexec_b32 s2, s0
	s_cbranch_execz .LBB15_93
; %bb.81:
	s_mul_i32 s4, s28, s3
	v_cmp_gt_i32_e64 s1, s3, v0
	v_dual_mov_b32 v8, v5 :: v_dual_add_nc_u32 v1, s4, v0
	v_add3_u32 v4, v7, v6, 0x1080
	s_cmp_lg_u32 s29, 0
	s_mov_b32 s5, 0
	s_delay_alu instid0(VALU_DEP_2)
	v_mul_lo_u32 v3, v1, s3
	s_cselect_b32 s12, -1, 0
	s_branch .LBB15_83
.LBB15_82:                              ;   in Loop: Header=BB15_83 Depth=1
	s_or_b32 exec_lo, exec_lo, s14
	v_add_nc_u32_e32 v8, 2, v8
	s_waitcnt vmcnt(0)
	ds_store_b32 v4, v2
	v_add_nc_u32_e32 v4, 8, v4
	v_cmp_le_i32_e32 vcc_lo, s3, v8
	s_or_b32 s5, vcc_lo, s5
	s_delay_alu instid0(SALU_CYCLE_1)
	s_and_not1_b32 exec_lo, exec_lo, s5
	s_cbranch_execz .LBB15_93
.LBB15_83:                              ; =>This Inner Loop Header: Depth=1
	s_and_b32 vcc_lo, exec_lo, s12
	s_cbranch_vccz .LBB15_88
; %bb.84:                               ;   in Loop: Header=BB15_83 Depth=1
	s_mov_b32 s14, 0
	s_mov_b32 s13, 0
                                        ; implicit-def: $vgpr1
	s_and_saveexec_b32 s15, s1
	s_delay_alu instid0(SALU_CYCLE_1)
	s_xor_b32 s15, exec_lo, s15
; %bb.85:                               ;   in Loop: Header=BB15_83 Depth=1
	v_add_nc_u32_e32 v9, s4, v8
	s_mov_b32 s13, exec_lo
	s_delay_alu instid0(VALU_DEP_1)
	v_mad_u64_u32 v[1:2], null, v9, s3, v[0:1]
; %bb.86:                               ;   in Loop: Header=BB15_83 Depth=1
	s_or_b32 exec_lo, exec_lo, s15
	s_delay_alu instid0(SALU_CYCLE_1)
	s_and_b32 vcc_lo, exec_lo, s14
	s_cbranch_vccnz .LBB15_89
.LBB15_87:                              ;   in Loop: Header=BB15_83 Depth=1
	v_mov_b32_e32 v2, s14
	s_and_saveexec_b32 s14, s13
	s_cbranch_execz .LBB15_82
	s_branch .LBB15_92
.LBB15_88:                              ;   in Loop: Header=BB15_83 Depth=1
	s_mov_b32 s14, -1
	s_mov_b32 s13, 0
                                        ; implicit-def: $vgpr1
	s_cbranch_execz .LBB15_87
.LBB15_89:                              ;   in Loop: Header=BB15_83 Depth=1
                                        ; implicit-def: $vgpr1
	s_and_saveexec_b32 s14, s1
; %bb.90:                               ;   in Loop: Header=BB15_83 Depth=1
	v_add_nc_u32_e32 v1, v3, v8
	s_or_b32 s13, s13, exec_lo
; %bb.91:                               ;   in Loop: Header=BB15_83 Depth=1
	s_or_b32 exec_lo, exec_lo, s14
	s_mov_b32 s14, 0
	s_delay_alu instid0(SALU_CYCLE_1)
	v_mov_b32_e32 v2, s14
	s_and_saveexec_b32 s14, s13
	s_cbranch_execz .LBB15_82
.LBB15_92:                              ;   in Loop: Header=BB15_83 Depth=1
	v_ashrrev_i32_e32 v2, 31, v1
	s_delay_alu instid0(VALU_DEP_1) | instskip(NEXT) | instid1(VALU_DEP_1)
	v_lshlrev_b64 v[1:2], 2, v[1:2]
	v_add_co_u32 v1, vcc_lo, s18, v1
	s_delay_alu instid0(VALU_DEP_2)
	v_add_co_ci_u32_e32 v2, vcc_lo, s19, v2, vcc_lo
	global_load_b32 v2, v[1:2], off
	s_branch .LBB15_82
.LBB15_93:
	s_or_b32 exec_lo, exec_lo, s2
; %bb.94:
	s_cmp_lt_i32 s3, 1
	s_waitcnt lgkmcnt(0)
	buffer_gl0_inv
	s_cbranch_scc1 .LBB15_107
; %bb.95:
	v_dual_mov_b32 v8, 0 :: v_dual_lshlrev_b32 v1, 2, v0
	v_or_b32_e32 v3, v5, v0
	s_movk_i32 s1, 0x1080
	s_mov_b32 s4, 0
	s_delay_alu instid0(VALU_DEP_2)
	v_mad_u32_u24 v4, 0x84, v0, v1
	v_add3_u32 v1, v7, v6, 0x2100
	v_mad_u32_u24 v2, 0x84, v5, s1
	v_cmp_ne_u32_e64 s1, 0, v3
	s_add_i32 s5, s16, s17
	v_add_nc_u32_e32 v3, 0x1080, v4
	v_add_nc_u32_e32 v4, 0x2100, v4
	s_branch .LBB15_97
.LBB15_96:                              ;   in Loop: Header=BB15_97 Depth=1
	s_or_b32 exec_lo, exec_lo, s2
	v_add_nc_u32_e32 v2, 4, v2
	s_add_i32 s4, s4, 1
	s_waitcnt lgkmcnt(0)
	s_waitcnt_vscnt null, 0x0
	buffer_gl0_inv
	s_cmp_eq_u32 s4, s3
	s_cbranch_scc1 .LBB15_107
.LBB15_97:                              ; =>This Loop Header: Depth=1
                                        ;     Child Loop BB15_106 Depth 2
	s_mov_b32 s12, exec_lo
	v_cmpx_eq_u32_e64 s4, v0
	s_cbranch_execz .LBB15_99
; %bb.98:                               ;   in Loop: Header=BB15_97 Depth=1
	ds_load_b32 v9, v3
	ds_load_b32 v10, v4
	s_waitcnt lgkmcnt(0)
	v_sub_f32_e32 v9, v9, v10
	s_delay_alu instid0(VALU_DEP_1) | instskip(SKIP_1) | instid1(VALU_DEP_1)
	v_cmp_gt_f32_e32 vcc_lo, 0, v9
	v_cndmask_b32_e64 v9, v9, -v9, vcc_lo
	v_mul_f32_e32 v10, 0x4f800000, v9
	v_cmp_gt_f32_e32 vcc_lo, 0xf800000, v9
	s_delay_alu instid0(VALU_DEP_2) | instskip(NEXT) | instid1(VALU_DEP_1)
	v_cndmask_b32_e32 v9, v9, v10, vcc_lo
	v_sqrt_f32_e32 v10, v9
	s_waitcnt_depctr 0xfff
	v_add_nc_u32_e32 v11, -1, v10
	v_add_nc_u32_e32 v12, 1, v10
	s_delay_alu instid0(VALU_DEP_2) | instskip(NEXT) | instid1(VALU_DEP_2)
	v_fma_f32 v13, -v11, v10, v9
	v_fma_f32 v14, -v12, v10, v9
	s_delay_alu instid0(VALU_DEP_2) | instskip(NEXT) | instid1(VALU_DEP_1)
	v_cmp_ge_f32_e64 s2, 0, v13
	v_cndmask_b32_e64 v10, v10, v11, s2
	s_delay_alu instid0(VALU_DEP_3) | instskip(NEXT) | instid1(VALU_DEP_1)
	v_cmp_lt_f32_e64 s2, 0, v14
	v_cndmask_b32_e64 v10, v10, v12, s2
	s_delay_alu instid0(VALU_DEP_1) | instskip(NEXT) | instid1(VALU_DEP_1)
	v_mul_f32_e32 v11, 0x37800000, v10
	v_cndmask_b32_e32 v10, v10, v11, vcc_lo
	v_cmp_class_f32_e64 vcc_lo, v9, 0x260
	s_delay_alu instid0(VALU_DEP_2)
	v_cndmask_b32_e32 v9, v10, v9, vcc_lo
	ds_store_b32 v3, v9
.LBB15_99:                              ;   in Loop: Header=BB15_97 Depth=1
	s_or_b32 exec_lo, exec_lo, s12
	s_lshl_b32 s2, s4, 2
	s_mul_i32 s12, s4, 0x84
	s_waitcnt lgkmcnt(0)
	buffer_gl0_inv
	s_add_i32 s12, s12, s2
	s_delay_alu instid0(SALU_CYCLE_1)
	v_mov_b32_e32 v9, s12
	ds_load_b32 v11, v9 offset:4224
	v_mad_u32_u24 v9, 0x84, v0, s2
	ds_load_b32 v10, v9 offset:4224
	s_waitcnt lgkmcnt(1)
	v_cmp_neq_f32_e32 vcc_lo, 0, v11
	v_cndmask_b32_e32 v11, 1.0, v11, vcc_lo
	s_or_b32 s2, vcc_lo, s1
	s_delay_alu instid0(SALU_CYCLE_1) | instskip(NEXT) | instid1(SALU_CYCLE_1)
	s_xor_b32 s12, s2, -1
	s_and_saveexec_b32 s2, s12
	s_cbranch_execz .LBB15_103
; %bb.100:                              ;   in Loop: Header=BB15_97 Depth=1
	v_mbcnt_lo_u32_b32 v11, exec_lo, 0
	s_mov_b32 s12, exec_lo
	s_delay_alu instid0(VALU_DEP_1)
	v_cmpx_eq_u32_e32 0, v11
	s_cbranch_execz .LBB15_102
; %bb.101:                              ;   in Loop: Header=BB15_97 Depth=1
	v_mov_b32_e32 v11, s5
	global_atomic_min_i32 v8, v11, s[10:11]
.LBB15_102:                             ;   in Loop: Header=BB15_97 Depth=1
	s_or_b32 exec_lo, exec_lo, s12
	v_mov_b32_e32 v11, 1.0
.LBB15_103:                             ;   in Loop: Header=BB15_97 Depth=1
	s_or_b32 exec_lo, exec_lo, s2
	s_delay_alu instid0(SALU_CYCLE_1)
	s_mov_b32 s2, exec_lo
	v_cmpx_lt_u32_e64 s4, v0
	s_cbranch_execz .LBB15_96
; %bb.104:                              ;   in Loop: Header=BB15_97 Depth=1
	v_lshl_add_u32 v12, s4, 2, v7
	ds_load_b32 v12, v12 offset:8448
	s_waitcnt lgkmcnt(0)
	v_sub_f32_e32 v10, v10, v12
	s_delay_alu instid0(VALU_DEP_1) | instskip(SKIP_1) | instid1(VALU_DEP_2)
	v_div_scale_f32 v12, null, v11, v11, v10
	v_div_scale_f32 v15, vcc_lo, v10, v11, v10
	v_rcp_f32_e32 v13, v12
	s_waitcnt_depctr 0xfff
	v_fma_f32 v14, -v12, v13, 1.0
	s_delay_alu instid0(VALU_DEP_1) | instskip(NEXT) | instid1(VALU_DEP_1)
	v_fmac_f32_e32 v13, v14, v13
	v_mul_f32_e32 v14, v15, v13
	s_delay_alu instid0(VALU_DEP_1) | instskip(NEXT) | instid1(VALU_DEP_1)
	v_fma_f32 v16, -v12, v14, v15
	v_fmac_f32_e32 v14, v16, v13
	s_delay_alu instid0(VALU_DEP_1) | instskip(NEXT) | instid1(VALU_DEP_1)
	v_fma_f32 v12, -v12, v14, v15
	v_div_fmas_f32 v12, v12, v13, v14
	v_add_nc_u32_e32 v13, 0x1080, v9
	s_delay_alu instid0(VALU_DEP_2)
	v_div_fixup_f32 v9, v12, v11, v10
	ds_store_b32 v13, v9
	s_waitcnt lgkmcnt(0)
	s_waitcnt_vscnt null, 0x0
	buffer_gl0_inv
	s_and_b32 exec_lo, exec_lo, s0
	s_cbranch_execz .LBB15_96
; %bb.105:                              ;   in Loop: Header=BB15_97 Depth=1
	v_dual_mov_b32 v10, v1 :: v_dual_mov_b32 v11, v2
	v_mov_b32_e32 v12, v5
	s_mov_b32 s12, 0
.LBB15_106:                             ;   Parent Loop BB15_97 Depth=1
                                        ; =>  This Inner Loop Header: Depth=2
	ds_load_b32 v13, v11
	ds_load_b32 v14, v10
	v_add_nc_u32_e32 v12, 2, v12
	v_add_nc_u32_e32 v11, 0x108, v11
	s_delay_alu instid0(VALU_DEP_2)
	v_cmp_le_i32_e32 vcc_lo, s3, v12
	s_or_b32 s12, vcc_lo, s12
	s_waitcnt lgkmcnt(0)
	v_fmac_f32_e32 v14, v9, v13
	ds_store_b32 v10, v14
	v_add_nc_u32_e32 v10, 8, v10
	s_and_not1_b32 exec_lo, exec_lo, s12
	s_cbranch_execnz .LBB15_106
	s_branch .LBB15_96
.LBB15_107:
	s_and_saveexec_b32 s1, s0
	s_cbranch_execz .LBB15_116
; %bb.108:
	s_mul_i32 s28, s28, s3
	v_add3_u32 v4, v7, v6, 0x1080
	v_dual_mov_b32 v6, v5 :: v_dual_add_nc_u32 v1, s28, v0
	v_cmp_gt_i32_e64 s0, s3, v0
	s_cmp_lg_u32 s29, 0
	s_mov_b32 s2, 0
	s_delay_alu instid0(VALU_DEP_2)
	v_mul_lo_u32 v3, v1, s3
	s_cselect_b32 s4, -1, 0
	s_set_inst_prefetch_distance 0x1
	s_branch .LBB15_111
	.p2align	6
.LBB15_109:                             ;   in Loop: Header=BB15_111 Depth=1
	s_delay_alu instid0(VALU_DEP_1) | instskip(NEXT) | instid1(VALU_DEP_1)
	v_ashrrev_i32_e32 v2, 31, v1
	v_lshlrev_b64 v[1:2], 2, v[1:2]
	s_delay_alu instid0(VALU_DEP_1) | instskip(NEXT) | instid1(VALU_DEP_2)
	v_add_co_u32 v1, vcc_lo, s18, v1
	v_add_co_ci_u32_e32 v2, vcc_lo, s19, v2, vcc_lo
	s_waitcnt lgkmcnt(0)
	global_store_b32 v[1:2], v7, off
.LBB15_110:                             ;   in Loop: Header=BB15_111 Depth=1
	s_or_b32 exec_lo, exec_lo, s5
	v_add_nc_u32_e32 v6, 2, v6
	v_add_nc_u32_e32 v4, 8, v4
	s_delay_alu instid0(VALU_DEP_2) | instskip(SKIP_1) | instid1(SALU_CYCLE_1)
	v_cmp_le_i32_e32 vcc_lo, s3, v6
	s_or_b32 s2, vcc_lo, s2
	s_and_not1_b32 exec_lo, exec_lo, s2
	s_cbranch_execz .LBB15_116
.LBB15_111:                             ; =>This Inner Loop Header: Depth=1
	s_and_saveexec_b32 s5, s0
	s_cbranch_execz .LBB15_110
; %bb.112:                              ;   in Loop: Header=BB15_111 Depth=1
	ds_load_b32 v7, v4
	s_and_b32 vcc_lo, exec_lo, s4
	s_cbranch_vccz .LBB15_114
; %bb.113:                              ;   in Loop: Header=BB15_111 Depth=1
	v_add_nc_u32_e32 v8, s28, v6
	s_delay_alu instid0(VALU_DEP_1)
	v_mad_u64_u32 v[1:2], null, v8, s3, v[0:1]
	s_cbranch_execnz .LBB15_109
	s_branch .LBB15_115
.LBB15_114:                             ;   in Loop: Header=BB15_111 Depth=1
                                        ; implicit-def: $vgpr1
.LBB15_115:                             ;   in Loop: Header=BB15_111 Depth=1
	v_add_nc_u32_e32 v1, v3, v6
	s_branch .LBB15_109
.LBB15_116:
	s_set_inst_prefetch_distance 0x2
	s_or_b32 exec_lo, exec_lo, s1
	v_or_b32_e32 v1, v5, v0
	s_delay_alu instid0(VALU_DEP_1)
	v_cmp_eq_u32_e64 s3, 0, v1
.LBB15_117:
	s_delay_alu instid0(VALU_DEP_1)
	s_and_saveexec_b32 s0, s3
	s_cbranch_execnz .LBB15_125
.LBB15_118:
	s_nop 0
	s_sendmsg sendmsg(MSG_DEALLOC_VGPRS)
	s_endpgm
.LBB15_119:
	s_cbranch_execz .LBB15_117
; %bb.120:
	v_or_b32_e32 v0, v5, v0
	s_mov_b32 s0, exec_lo
	s_delay_alu instid0(VALU_DEP_1)
	v_cmpx_eq_u32_e32 0, v0
	s_cbranch_execz .LBB15_124
; %bb.121:
	v_mbcnt_lo_u32_b32 v0, exec_lo, 0
	s_mov_b32 s1, exec_lo
	s_delay_alu instid0(VALU_DEP_1)
	v_cmpx_eq_u32_e32 0, v0
	s_cbranch_execz .LBB15_123
; %bb.122:
	s_add_i32 s2, s16, s17
	s_delay_alu instid0(SALU_CYCLE_1)
	v_dual_mov_b32 v0, 0 :: v_dual_mov_b32 v1, s2
	global_atomic_min_i32 v0, v1, s[10:11]
.LBB15_123:
	s_or_b32 exec_lo, exec_lo, s1
	s_delay_alu instid0(SALU_CYCLE_1)
	s_or_b32 s3, s3, exec_lo
.LBB15_124:
	s_or_b32 exec_lo, exec_lo, s0
	s_and_saveexec_b32 s0, s3
	s_cbranch_execz .LBB15_118
.LBB15_125:
	v_dual_mov_b32 v0, 0 :: v_dual_mov_b32 v1, 1
	s_add_u32 s0, s6, s8
	s_addc_u32 s1, s7, s9
	s_waitcnt_vscnt null, 0x0
	global_store_b32 v0, v1, s[0:1]
	s_nop 0
	s_sendmsg sendmsg(MSG_DEALLOC_VGPRS)
	s_endpgm
	.section	.rodata,"a",@progbits
	.p2align	6, 0x0
	.amdhsa_kernel _ZN9rocsparseL19bsric0_17_32_kernelILi64ELi64ELi32EfEEv20rocsparse_direction_iiPKiS3_PT2_S3_PiS3_S6_21rocsparse_index_base_
		.amdhsa_group_segment_fixed_size 13440
		.amdhsa_private_segment_fixed_size 0
		.amdhsa_kernarg_size 76
		.amdhsa_user_sgpr_count 15
		.amdhsa_user_sgpr_dispatch_ptr 0
		.amdhsa_user_sgpr_queue_ptr 0
		.amdhsa_user_sgpr_kernarg_segment_ptr 1
		.amdhsa_user_sgpr_dispatch_id 0
		.amdhsa_user_sgpr_private_segment_size 0
		.amdhsa_wavefront_size32 1
		.amdhsa_uses_dynamic_stack 0
		.amdhsa_enable_private_segment 0
		.amdhsa_system_sgpr_workgroup_id_x 1
		.amdhsa_system_sgpr_workgroup_id_y 0
		.amdhsa_system_sgpr_workgroup_id_z 0
		.amdhsa_system_sgpr_workgroup_info 0
		.amdhsa_system_vgpr_workitem_id 1
		.amdhsa_next_free_vgpr 25
		.amdhsa_next_free_sgpr 45
		.amdhsa_reserve_vcc 1
		.amdhsa_float_round_mode_32 0
		.amdhsa_float_round_mode_16_64 0
		.amdhsa_float_denorm_mode_32 3
		.amdhsa_float_denorm_mode_16_64 3
		.amdhsa_dx10_clamp 1
		.amdhsa_ieee_mode 1
		.amdhsa_fp16_overflow 0
		.amdhsa_workgroup_processor_mode 1
		.amdhsa_memory_ordered 1
		.amdhsa_forward_progress 0
		.amdhsa_shared_vgpr_count 0
		.amdhsa_exception_fp_ieee_invalid_op 0
		.amdhsa_exception_fp_denorm_src 0
		.amdhsa_exception_fp_ieee_div_zero 0
		.amdhsa_exception_fp_ieee_overflow 0
		.amdhsa_exception_fp_ieee_underflow 0
		.amdhsa_exception_fp_ieee_inexact 0
		.amdhsa_exception_int_div_zero 0
	.end_amdhsa_kernel
	.section	.text._ZN9rocsparseL19bsric0_17_32_kernelILi64ELi64ELi32EfEEv20rocsparse_direction_iiPKiS3_PT2_S3_PiS3_S6_21rocsparse_index_base_,"axG",@progbits,_ZN9rocsparseL19bsric0_17_32_kernelILi64ELi64ELi32EfEEv20rocsparse_direction_iiPKiS3_PT2_S3_PiS3_S6_21rocsparse_index_base_,comdat
.Lfunc_end15:
	.size	_ZN9rocsparseL19bsric0_17_32_kernelILi64ELi64ELi32EfEEv20rocsparse_direction_iiPKiS3_PT2_S3_PiS3_S6_21rocsparse_index_base_, .Lfunc_end15-_ZN9rocsparseL19bsric0_17_32_kernelILi64ELi64ELi32EfEEv20rocsparse_direction_iiPKiS3_PT2_S3_PiS3_S6_21rocsparse_index_base_
                                        ; -- End function
	.section	.AMDGPU.csdata,"",@progbits
; Kernel info:
; codeLenInByte = 4004
; NumSgprs: 47
; NumVgprs: 25
; ScratchSize: 0
; MemoryBound: 0
; FloatMode: 240
; IeeeMode: 1
; LDSByteSize: 13440 bytes/workgroup (compile time only)
; SGPRBlocks: 5
; VGPRBlocks: 3
; NumSGPRsForWavesPerEU: 47
; NumVGPRsForWavesPerEU: 25
; Occupancy: 5
; WaveLimiterHint : 1
; COMPUTE_PGM_RSRC2:SCRATCH_EN: 0
; COMPUTE_PGM_RSRC2:USER_SGPR: 15
; COMPUTE_PGM_RSRC2:TRAP_HANDLER: 0
; COMPUTE_PGM_RSRC2:TGID_X_EN: 1
; COMPUTE_PGM_RSRC2:TGID_Y_EN: 0
; COMPUTE_PGM_RSRC2:TGID_Z_EN: 0
; COMPUTE_PGM_RSRC2:TIDIG_COMP_CNT: 1
	.section	.text._ZN9rocsparseL17bsric0_2_8_kernelILi64ELi128ELi8EfEEv20rocsparse_direction_iiPKiS3_PT2_S3_PiS3_S6_21rocsparse_index_base_,"axG",@progbits,_ZN9rocsparseL17bsric0_2_8_kernelILi64ELi128ELi8EfEEv20rocsparse_direction_iiPKiS3_PT2_S3_PiS3_S6_21rocsparse_index_base_,comdat
	.globl	_ZN9rocsparseL17bsric0_2_8_kernelILi64ELi128ELi8EfEEv20rocsparse_direction_iiPKiS3_PT2_S3_PiS3_S6_21rocsparse_index_base_ ; -- Begin function _ZN9rocsparseL17bsric0_2_8_kernelILi64ELi128ELi8EfEEv20rocsparse_direction_iiPKiS3_PT2_S3_PiS3_S6_21rocsparse_index_base_
	.p2align	8
	.type	_ZN9rocsparseL17bsric0_2_8_kernelILi64ELi128ELi8EfEEv20rocsparse_direction_iiPKiS3_PT2_S3_PiS3_S6_21rocsparse_index_base_,@function
_ZN9rocsparseL17bsric0_2_8_kernelILi64ELi128ELi8EfEEv20rocsparse_direction_iiPKiS3_PT2_S3_PiS3_S6_21rocsparse_index_base_: ; @_ZN9rocsparseL17bsric0_2_8_kernelILi64ELi128ELi8EfEEv20rocsparse_direction_iiPKiS3_PT2_S3_PiS3_S6_21rocsparse_index_base_
; %bb.0:
	s_load_b256 s[4:11], s[0:1], 0x28
	s_mov_b32 s2, s15
	s_mov_b32 s3, 0
	v_and_b32_e32 v6, 0x3ff, v0
	s_lshl_b64 s[12:13], s[2:3], 2
	v_bfe_u32 v7, v0, 10, 10
	s_waitcnt lgkmcnt(0)
	s_add_u32 s8, s8, s12
	s_addc_u32 s9, s9, s13
	s_load_b32 s16, s[8:9], 0x0
	s_waitcnt lgkmcnt(0)
	s_ashr_i32 s17, s16, 31
	s_delay_alu instid0(SALU_CYCLE_1) | instskip(NEXT) | instid1(SALU_CYCLE_1)
	s_lshl_b64 s[8:9], s[16:17], 2
	s_add_u32 s12, s4, s8
	s_addc_u32 s13, s5, s9
	s_load_b32 s28, s[12:13], 0x0
	s_load_b32 s17, s[0:1], 0x48
	s_waitcnt lgkmcnt(0)
	s_cmp_lg_u32 s28, -1
	s_cbranch_scc0 .LBB16_96
; %bb.1:
	s_clause 0x1
	s_load_b128 s[12:15], s[0:1], 0x10
	s_load_b64 s[18:19], s[0:1], 0x20
	v_lshlrev_b32_e32 v0, 3, v7
	v_lshlrev_b32_e32 v3, 2, v6
	s_mov_b32 s20, exec_lo
	s_waitcnt lgkmcnt(0)
	s_add_u32 s2, s12, s8
	s_addc_u32 s3, s13, s9
	s_load_b32 s2, s[2:3], 0x0
	s_waitcnt lgkmcnt(0)
	s_sub_i32 s3, s2, s17
	s_delay_alu instid0(SALU_CYCLE_1) | instskip(NEXT) | instid1(VALU_DEP_1)
	v_add3_u32 v0, v0, v6, s3
	v_cmpx_ge_i32_e64 s28, v0
	s_cbranch_execz .LBB16_4
; %bb.2:
	v_ashrrev_i32_e32 v1, 31, v0
	v_lshlrev_b32_e32 v4, 5, v7
	s_mov_b32 s21, 0
	s_delay_alu instid0(VALU_DEP_2) | instskip(NEXT) | instid1(VALU_DEP_2)
	v_lshlrev_b64 v[1:2], 2, v[0:1]
	v_add3_u32 v4, v4, v3, 0x400
	s_delay_alu instid0(VALU_DEP_2) | instskip(NEXT) | instid1(VALU_DEP_3)
	v_add_co_u32 v1, vcc_lo, s14, v1
	v_add_co_ci_u32_e32 v2, vcc_lo, s15, v2, vcc_lo
	.p2align	6
.LBB16_3:                               ; =>This Inner Loop Header: Depth=1
	global_load_b32 v5, v[1:2], off
	v_add_nc_u32_e32 v0, 64, v0
	v_add_co_u32 v1, vcc_lo, 0x100, v1
	v_add_co_ci_u32_e32 v2, vcc_lo, 0, v2, vcc_lo
	s_delay_alu instid0(VALU_DEP_3) | instskip(NEXT) | instid1(VALU_DEP_1)
	v_cmp_lt_i32_e64 s2, s28, v0
	s_or_b32 s21, s2, s21
	s_waitcnt vmcnt(0)
	v_subrev_nc_u32_e32 v5, s17, v5
	ds_store_b32 v4, v5
	v_add_nc_u32_e32 v4, 0x100, v4
	s_and_not1_b32 exec_lo, exec_lo, s21
	s_cbranch_execnz .LBB16_3
.LBB16_4:
	s_or_b32 exec_lo, exec_lo, s20
	s_clause 0x1
	s_load_b32 s30, s[0:1], 0x0
	s_load_b32 s29, s[0:1], 0x8
	v_mad_u32_u24 v8, v7, 36, v3
	v_mov_b32_e32 v10, 0
	s_cmp_ge_i32 s3, s28
	s_delay_alu instid0(VALU_DEP_2)
	v_add_nc_u32_e32 v9, 0x960, v8
	ds_store_b32 v8, v10 offset:2400
	s_waitcnt lgkmcnt(0)
	buffer_gl0_inv
	s_cbranch_scc1 .LBB16_74
; %bb.5:
	v_cmp_gt_i32_e64 s0, s29, v6
	v_cmp_gt_i32_e64 s1, s29, v7
	s_cmp_eq_u32 s30, 0
	v_mad_u32_u24 v11, v7, 36, 0x840
	s_cselect_b32 vcc_lo, -1, 0
	s_cmp_lg_u32 s30, 0
	v_or_b32_e32 v0, v6, v7
	s_cselect_b32 s31, -1, 0
	s_and_b32 s33, s0, s1
	s_cmp_gt_i32 s29, 0
	v_mul_lo_u32 v14, v6, s29
	v_mul_lo_u32 v15, v7, s29
	s_cselect_b32 s34, -1, 0
	s_cmp_lg_u32 s29, 1
	v_dual_mov_b32 v17, 0 :: v_dual_add_nc_u32 v12, v11, v3
	v_add_nc_u32_e32 v13, 0x600, v8
	v_dual_cndmask_b32 v1, v6, v7 :: v_dual_add_nc_u32 v16, 0x720, v8
	v_cmp_ne_u32_e64 s2, 0, v0
	v_cndmask_b32_e32 v0, v7, v6, vcc_lo
	s_cselect_b32 s35, -1, 0
	s_and_b32 s36, s29, 0x7ffffffe
	v_mul_u32_u24_e32 v18, 36, v7
	v_mul_u32_u24_e32 v19, 36, v6
	s_bitcmp1_b32 s29, 0
	s_mul_i32 s37, s29, s29
	s_cselect_b32 s38, -1, 0
	s_mov_b32 s20, s3
	s_branch .LBB16_8
.LBB16_6:                               ;   in Loop: Header=BB16_8 Depth=1
	s_or_b32 exec_lo, exec_lo, s21
	s_add_i32 s20, s20, 1
	s_waitcnt_vscnt null, 0x0
	buffer_gl1_inv
	buffer_gl0_inv
	s_cmp_ge_i32 s20, s28
	s_cselect_b32 s26, -1, 0
.LBB16_7:                               ;   in Loop: Header=BB16_8 Depth=1
	s_delay_alu instid0(SALU_CYCLE_1)
	s_and_b32 vcc_lo, exec_lo, s26
	s_cbranch_vccnz .LBB16_74
.LBB16_8:                               ; =>This Loop Header: Depth=1
                                        ;     Child Loop BB16_13 Depth 2
                                        ;     Child Loop BB16_24 Depth 2
	;; [unrolled: 1-line block ×3, first 2 shown]
                                        ;       Child Loop BB16_55 Depth 3
                                        ;       Child Loop BB16_61 Depth 3
                                        ;     Child Loop BB16_70 Depth 2
	s_ashr_i32 s21, s20, 31
	s_delay_alu instid0(SALU_CYCLE_1) | instskip(NEXT) | instid1(SALU_CYCLE_1)
	s_lshl_b64 s[22:23], s[20:21], 2
	s_add_u32 s22, s14, s22
	s_addc_u32 s23, s15, s23
	s_load_b32 s21, s[22:23], 0x0
	s_waitcnt lgkmcnt(0)
	s_sub_i32 s24, s21, s17
	s_delay_alu instid0(SALU_CYCLE_1) | instskip(NEXT) | instid1(SALU_CYCLE_1)
	s_ashr_i32 s25, s24, 31
	s_lshl_b64 s[22:23], s[24:25], 2
	s_delay_alu instid0(SALU_CYCLE_1)
	s_add_u32 s26, s4, s22
	s_addc_u32 s27, s5, s23
	s_load_b32 s25, s[26:27], 0x0
	s_mov_b32 s26, -1
	s_waitcnt lgkmcnt(0)
	s_cmp_eq_u32 s25, -1
	s_cbranch_scc1 .LBB16_7
; %bb.9:                                ;   in Loop: Header=BB16_8 Depth=1
	v_mov_b32_e32 v2, 0
	s_add_u32 s26, s12, s22
	s_addc_u32 s27, s13, s23
	s_and_saveexec_b32 s39, s33
	s_cbranch_execz .LBB16_11
; %bb.10:                               ;   in Loop: Header=BB16_8 Depth=1
	v_mad_u64_u32 v[2:3], null, s20, s29, v[1:2]
	s_delay_alu instid0(VALU_DEP_1) | instskip(NEXT) | instid1(VALU_DEP_1)
	v_mad_u64_u32 v[3:4], null, v2, s29, v[0:1]
	v_ashrrev_i32_e32 v4, 31, v3
	s_delay_alu instid0(VALU_DEP_1) | instskip(NEXT) | instid1(VALU_DEP_1)
	v_lshlrev_b64 v[2:3], 2, v[3:4]
	v_add_co_u32 v2, vcc_lo, s18, v2
	s_delay_alu instid0(VALU_DEP_2)
	v_add_co_ci_u32_e32 v3, vcc_lo, s19, v3, vcc_lo
	global_load_b32 v2, v[2:3], off
.LBB16_11:                              ;   in Loop: Header=BB16_8 Depth=1
	s_or_b32 exec_lo, exec_lo, s39
	s_load_b32 s26, s[26:27], 0x0
	ds_load_b32 v3, v17 offset:1024
	s_waitcnt vmcnt(0)
	ds_store_b32 v12, v2
	s_waitcnt lgkmcnt(0)
	s_sub_i32 s26, s26, s17
	v_cmp_ge_i32_e32 vcc_lo, s24, v3
	s_cmp_le_i32 s26, s25
	s_cselect_b32 s27, -1, 0
	s_delay_alu instid0(SALU_CYCLE_1) | instskip(NEXT) | instid1(SALU_CYCLE_1)
	s_and_b32 s27, s27, vcc_lo
	s_and_not1_b32 vcc_lo, exec_lo, s27
	s_mov_b32 s27, 0
	s_cbranch_vccnz .LBB16_23
; %bb.12:                               ;   in Loop: Header=BB16_8 Depth=1
	s_mov_b32 s39, 0
	s_mov_b32 s40, 0
.LBB16_13:                              ;   Parent Loop BB16_8 Depth=1
                                        ; =>  This Inner Loop Header: Depth=2
	s_ashr_i32 s27, s26, 31
	s_mov_b32 s44, -1
	s_lshl_b64 s[42:43], s[26:27], 2
	s_delay_alu instid0(SALU_CYCLE_1) | instskip(SKIP_2) | instid1(SALU_CYCLE_1)
	s_add_u32 s42, s14, s42
	s_addc_u32 s43, s15, s43
	s_lshl_b32 s27, s40, 2
	v_mov_b32_e32 v2, s27
	s_load_b32 s27, s[42:43], 0x0
                                        ; implicit-def: $sgpr43
                                        ; implicit-def: $sgpr42
	ds_load_b32 v2, v2 offset:1024
	s_waitcnt lgkmcnt(0)
	s_sub_i32 s45, s27, s17
                                        ; implicit-def: $sgpr27
	s_delay_alu instid0(SALU_CYCLE_1)
	v_cmp_ge_i32_e32 vcc_lo, s45, v2
	v_readfirstlane_b32 s41, v2
	s_cbranch_vccz .LBB16_19
; %bb.14:                               ;   in Loop: Header=BB16_13 Depth=2
	s_delay_alu instid0(VALU_DEP_1)
	s_cmp_le_i32 s45, s41
                                        ; implicit-def: $sgpr27
                                        ; implicit-def: $sgpr43
                                        ; implicit-def: $sgpr42
	s_cbranch_scc0 .LBB16_16
; %bb.15:                               ;   in Loop: Header=BB16_13 Depth=2
	s_add_i32 s27, s40, s3
	s_lshl_b32 s42, s39, 2
	s_mul_i32 s27, s27, s37
	s_delay_alu instid0(SALU_CYCLE_1)
	v_dual_mov_b32 v2, s42 :: v_dual_mov_b32 v3, s27
	s_mul_i32 s42, s26, s37
	s_add_i32 s43, s26, 1
	v_mov_b32_e32 v4, s42
	s_add_i32 s42, s40, 1
	s_add_i32 s27, s39, 1
	s_mov_b32 s44, 0
	ds_store_2addr_stride64_b32 v2, v4, v3 offset1:2
.LBB16_16:                              ;   in Loop: Header=BB16_13 Depth=2
	s_and_not1_b32 vcc_lo, exec_lo, s44
	s_cbranch_vccnz .LBB16_18
; %bb.17:                               ;   in Loop: Header=BB16_13 Depth=2
	s_add_i32 s42, s40, 1
	s_mov_b32 s27, s39
	s_mov_b32 s43, s26
.LBB16_18:                              ;   in Loop: Header=BB16_13 Depth=2
	s_mov_b32 s44, 0
.LBB16_19:                              ;   in Loop: Header=BB16_13 Depth=2
	s_delay_alu instid0(SALU_CYCLE_1)
	s_and_not1_b32 vcc_lo, exec_lo, s44
	s_cbranch_vccnz .LBB16_21
; %bb.20:                               ;   in Loop: Header=BB16_13 Depth=2
	s_add_i32 s43, s26, 1
	s_mov_b32 s42, s40
	s_mov_b32 s27, s39
.LBB16_21:                              ;   in Loop: Header=BB16_13 Depth=2
	s_cmp_le_i32 s43, s25
	s_cselect_b32 s26, -1, 0
	s_cmp_le_i32 s41, s24
	s_cselect_b32 s39, -1, 0
	s_delay_alu instid0(SALU_CYCLE_1) | instskip(NEXT) | instid1(SALU_CYCLE_1)
	s_and_b32 s26, s26, s39
	s_and_b32 vcc_lo, exec_lo, s26
	s_cbranch_vccz .LBB16_23
; %bb.22:                               ;   in Loop: Header=BB16_13 Depth=2
	s_mov_b32 s39, s27
	s_mov_b32 s26, s43
	;; [unrolled: 1-line block ×3, first 2 shown]
	s_branch .LBB16_13
.LBB16_23:                              ;   in Loop: Header=BB16_8 Depth=1
	s_add_u32 s22, s6, s22
	s_addc_u32 s23, s7, s23
	s_waitcnt lgkmcnt(0)
	buffer_gl0_inv
.LBB16_24:                              ;   Parent Loop BB16_8 Depth=1
                                        ; =>  This Inner Loop Header: Depth=2
	global_load_b32 v2, v17, s[22:23] glc
	s_waitcnt vmcnt(0)
	v_cmp_eq_u32_e32 vcc_lo, 0, v2
	s_cbranch_vccnz .LBB16_24
; %bb.25:                               ;   in Loop: Header=BB16_8 Depth=1
	v_dual_mov_b32 v3, 0 :: v_dual_mov_b32 v2, 0
	buffer_gl1_inv
	buffer_gl0_inv
	s_and_saveexec_b32 s22, s33
	s_cbranch_execz .LBB16_27
; %bb.26:                               ;   in Loop: Header=BB16_8 Depth=1
	v_mad_u64_u32 v[4:5], null, s25, s29, v[1:2]
	s_delay_alu instid0(VALU_DEP_1) | instskip(NEXT) | instid1(VALU_DEP_1)
	v_mad_u64_u32 v[20:21], null, v4, s29, v[0:1]
	v_ashrrev_i32_e32 v21, 31, v20
	s_delay_alu instid0(VALU_DEP_1) | instskip(NEXT) | instid1(VALU_DEP_1)
	v_lshlrev_b64 v[4:5], 2, v[20:21]
	v_add_co_u32 v4, vcc_lo, s18, v4
	s_delay_alu instid0(VALU_DEP_2)
	v_add_co_ci_u32_e32 v5, vcc_lo, s19, v5, vcc_lo
	global_load_b32 v2, v[4:5], off
.LBB16_27:                              ;   in Loop: Header=BB16_8 Depth=1
	s_or_b32 exec_lo, exec_lo, s22
	s_cmp_lt_i32 s27, 2
	s_waitcnt vmcnt(0)
	ds_store_b32 v13, v2
	s_waitcnt lgkmcnt(0)
	buffer_gl0_inv
	s_cbranch_scc1 .LBB16_46
; %bb.28:                               ;   in Loop: Header=BB16_8 Depth=1
	v_mov_b32_e32 v20, 0
	s_add_i32 s22, s27, -2
	s_mov_b32 s23, 0
	s_and_not1_b32 vcc_lo, exec_lo, s34
	s_cbranch_vccnz .LBB16_43
.LBB16_29:                              ;   in Loop: Header=BB16_8 Depth=1
	s_lshl_b32 s24, s23, 2
	s_delay_alu instid0(SALU_CYCLE_1)
	v_mov_b32_e32 v2, s24
	s_mov_b32 s24, 0
	ds_load_2addr_stride64_b32 v[3:4], v2 offset1:2
	s_waitcnt lgkmcnt(0)
	v_add_nc_u32_e32 v21, v3, v14
	v_add_nc_u32_e32 v22, v4, v15
	;; [unrolled: 1-line block ×4, first 2 shown]
	s_and_b32 vcc_lo, exec_lo, s31
	s_cbranch_vccz .LBB16_35
.LBB16_30:                              ;   in Loop: Header=BB16_8 Depth=1
	v_mov_b32_e32 v3, 0
	v_mov_b32_e32 v5, 0
	s_and_saveexec_b32 s25, s0
	s_cbranch_execz .LBB16_32
; %bb.31:                               ;   in Loop: Header=BB16_8 Depth=1
	v_ashrrev_i32_e32 v5, 31, v4
	s_delay_alu instid0(VALU_DEP_1) | instskip(NEXT) | instid1(VALU_DEP_1)
	v_lshlrev_b64 v[23:24], 2, v[4:5]
	v_add_co_u32 v23, vcc_lo, s18, v23
	s_delay_alu instid0(VALU_DEP_2)
	v_add_co_ci_u32_e32 v24, vcc_lo, s19, v24, vcc_lo
	global_load_b32 v5, v[23:24], off
.LBB16_32:                              ;   in Loop: Header=BB16_8 Depth=1
	s_or_b32 exec_lo, exec_lo, s25
	s_and_saveexec_b32 s25, s1
	s_cbranch_execz .LBB16_34
; %bb.33:                               ;   in Loop: Header=BB16_8 Depth=1
	v_ashrrev_i32_e32 v3, 31, v2
	s_delay_alu instid0(VALU_DEP_1) | instskip(NEXT) | instid1(VALU_DEP_1)
	v_lshlrev_b64 v[23:24], 2, v[2:3]
	v_add_co_u32 v23, vcc_lo, s18, v23
	s_delay_alu instid0(VALU_DEP_2)
	v_add_co_ci_u32_e32 v24, vcc_lo, s19, v24, vcc_lo
	global_load_b32 v3, v[23:24], off
.LBB16_34:                              ;   in Loop: Header=BB16_8 Depth=1
	s_or_b32 exec_lo, exec_lo, s25
	s_waitcnt vmcnt(0)
	v_fma_f32 v3, v5, v3, v20
	s_branch .LBB16_41
.LBB16_35:                              ;   in Loop: Header=BB16_8 Depth=1
                                        ; implicit-def: $vgpr3
	s_cbranch_execz .LBB16_41
; %bb.36:                               ;   in Loop: Header=BB16_8 Depth=1
	v_mov_b32_e32 v3, 0
	v_mov_b32_e32 v5, 0
	s_and_saveexec_b32 s25, s0
	s_cbranch_execz .LBB16_38
; %bb.37:                               ;   in Loop: Header=BB16_8 Depth=1
	v_add_nc_u32_e32 v23, s24, v21
	s_delay_alu instid0(VALU_DEP_1) | instskip(NEXT) | instid1(VALU_DEP_1)
	v_ashrrev_i32_e32 v24, 31, v23
	v_lshlrev_b64 v[23:24], 2, v[23:24]
	s_delay_alu instid0(VALU_DEP_1) | instskip(NEXT) | instid1(VALU_DEP_2)
	v_add_co_u32 v23, vcc_lo, s18, v23
	v_add_co_ci_u32_e32 v24, vcc_lo, s19, v24, vcc_lo
	global_load_b32 v5, v[23:24], off
.LBB16_38:                              ;   in Loop: Header=BB16_8 Depth=1
	s_or_b32 exec_lo, exec_lo, s25
	s_and_saveexec_b32 s25, s1
	s_cbranch_execz .LBB16_40
; %bb.39:                               ;   in Loop: Header=BB16_8 Depth=1
	v_add_nc_u32_e32 v23, s24, v22
	s_delay_alu instid0(VALU_DEP_1) | instskip(NEXT) | instid1(VALU_DEP_1)
	v_ashrrev_i32_e32 v24, 31, v23
	v_lshlrev_b64 v[23:24], 2, v[23:24]
	s_delay_alu instid0(VALU_DEP_1) | instskip(NEXT) | instid1(VALU_DEP_2)
	v_add_co_u32 v23, vcc_lo, s18, v23
	v_add_co_ci_u32_e32 v24, vcc_lo, s19, v24, vcc_lo
	global_load_b32 v3, v[23:24], off
.LBB16_40:                              ;   in Loop: Header=BB16_8 Depth=1
	s_or_b32 exec_lo, exec_lo, s25
	s_waitcnt vmcnt(0)
	v_fmac_f32_e32 v20, v5, v3
	s_delay_alu instid0(VALU_DEP_1)
	v_mov_b32_e32 v3, v20
.LBB16_41:                              ;   in Loop: Header=BB16_8 Depth=1
	v_add_nc_u32_e32 v2, s29, v2
	v_add_nc_u32_e32 v4, s29, v4
	s_add_i32 s24, s24, 1
	s_delay_alu instid0(SALU_CYCLE_1)
	s_cmp_eq_u32 s29, s24
	s_cbranch_scc1 .LBB16_44
; %bb.42:                               ;   in Loop: Header=BB16_8 Depth=1
	v_mov_b32_e32 v20, v3
	s_and_b32 vcc_lo, exec_lo, s31
	s_cbranch_vccz .LBB16_35
	s_branch .LBB16_30
.LBB16_43:                              ;   in Loop: Header=BB16_8 Depth=1
	v_mov_b32_e32 v3, v20
.LBB16_44:                              ;   in Loop: Header=BB16_8 Depth=1
	s_add_i32 s24, s23, 1
	s_cmp_eq_u32 s23, s22
	s_cbranch_scc1 .LBB16_46
; %bb.45:                               ;   in Loop: Header=BB16_8 Depth=1
	s_delay_alu instid0(VALU_DEP_1)
	v_mov_b32_e32 v20, v3
	s_mov_b32 s23, s24
	s_and_not1_b32 vcc_lo, exec_lo, s34
	s_cbranch_vccz .LBB16_29
	s_branch .LBB16_43
.LBB16_46:                              ;   in Loop: Header=BB16_8 Depth=1
	s_and_not1_b32 vcc_lo, exec_lo, s34
	ds_store_b32 v16, v3
	s_waitcnt lgkmcnt(0)
	buffer_gl0_inv
	s_cbranch_vccnz .LBB16_72
; %bb.47:                               ;   in Loop: Header=BB16_8 Depth=1
	s_and_not1_b32 vcc_lo, exec_lo, s35
	s_mov_b32 s25, 0
	s_cbranch_vccnz .LBB16_63
; %bb.48:                               ;   in Loop: Header=BB16_8 Depth=1
	s_mov_b32 s22, 0
	s_movk_i32 s23, 0x600
	s_movk_i32 s24, 0x624
.LBB16_49:                              ;   Parent Loop BB16_8 Depth=1
                                        ; =>  This Loop Header: Depth=2
                                        ;       Child Loop BB16_55 Depth 3
                                        ;       Child Loop BB16_61 Depth 3
	s_lshl_b32 s26, s22, 2
	s_mul_i32 s25, s22, 36
	s_delay_alu instid0(SALU_CYCLE_1) | instskip(NEXT) | instid1(SALU_CYCLE_1)
	s_add_i32 s25, s26, s25
	v_mov_b32_e32 v2, s25
	ds_load_b32 v4, v2 offset:1536
	v_mad_u32_u24 v2, v7, 36, s26
	ds_load_b32 v3, v2 offset:2112
	s_waitcnt lgkmcnt(1)
	v_cmp_neq_f32_e32 vcc_lo, 0, v4
	v_cndmask_b32_e32 v4, 1.0, v4, vcc_lo
	s_or_b32 s26, vcc_lo, s2
	s_delay_alu instid0(SALU_CYCLE_1) | instskip(NEXT) | instid1(SALU_CYCLE_1)
	s_xor_b32 s27, s26, -1
	s_and_saveexec_b32 s26, s27
	s_cbranch_execz .LBB16_53
; %bb.50:                               ;   in Loop: Header=BB16_49 Depth=2
	v_mbcnt_lo_u32_b32 v4, exec_lo, 0
	s_mov_b32 s27, exec_lo
	s_delay_alu instid0(VALU_DEP_1)
	v_cmpx_eq_u32_e32 0, v4
	s_cbranch_execz .LBB16_52
; %bb.51:                               ;   in Loop: Header=BB16_49 Depth=2
	v_mov_b32_e32 v4, s21
	global_atomic_min_i32 v17, v4, s[10:11]
.LBB16_52:                              ;   in Loop: Header=BB16_49 Depth=2
	s_or_b32 exec_lo, exec_lo, s27
	v_mov_b32_e32 v4, 1.0
.LBB16_53:                              ;   in Loop: Header=BB16_49 Depth=2
	s_or_b32 exec_lo, exec_lo, s26
	v_lshl_add_u32 v5, s22, 2, v18
	s_cmp_eq_u32 s22, 0
	ds_load_b32 v20, v5 offset:1824
	s_cbranch_scc1 .LBB16_56
; %bb.54:                               ;   in Loop: Header=BB16_49 Depth=2
	v_mov_b32_e32 v21, v11
	s_mov_b32 s26, 0
	s_mov_b32 s27, s23
.LBB16_55:                              ;   Parent Loop BB16_8 Depth=1
                                        ;     Parent Loop BB16_49 Depth=2
                                        ; =>    This Inner Loop Header: Depth=3
	s_delay_alu instid0(SALU_CYCLE_1)
	v_mov_b32_e32 v22, s27
	s_add_i32 s26, s26, 1
	s_add_i32 s27, s27, 4
	s_cmp_ge_u32 s26, s22
	ds_load_b32 v23, v21
	ds_load_b32 v22, v22
	s_waitcnt lgkmcnt(0)
	v_dual_fmac_f32 v20, v22, v23 :: v_dual_add_nc_u32 v21, 4, v21
	s_cbranch_scc0 .LBB16_55
.LBB16_56:                              ;   in Loop: Header=BB16_49 Depth=2
	s_waitcnt lgkmcnt(0)
	s_delay_alu instid0(VALU_DEP_1) | instskip(SKIP_1) | instid1(VALU_DEP_1)
	v_dual_sub_f32 v3, v3, v20 :: v_dual_add_nc_u32 v2, 0x840, v2
	s_addk_i32 s25, 0x600
	v_div_scale_f32 v20, null, v4, v4, v3
	v_div_scale_f32 v23, vcc_lo, v3, v4, v3
	s_delay_alu instid0(VALU_DEP_2) | instskip(SKIP_2) | instid1(VALU_DEP_1)
	v_rcp_f32_e32 v21, v20
	s_waitcnt_depctr 0xfff
	v_fma_f32 v22, -v20, v21, 1.0
	v_fmac_f32_e32 v21, v22, v21
	s_delay_alu instid0(VALU_DEP_1) | instskip(NEXT) | instid1(VALU_DEP_1)
	v_mul_f32_e32 v22, v23, v21
	v_fma_f32 v24, -v20, v22, v23
	s_delay_alu instid0(VALU_DEP_1) | instskip(NEXT) | instid1(VALU_DEP_1)
	v_fmac_f32_e32 v22, v24, v21
	v_fma_f32 v20, -v20, v22, v23
	s_delay_alu instid0(VALU_DEP_1) | instskip(NEXT) | instid1(VALU_DEP_1)
	v_div_fmas_f32 v20, v20, v21, v22
	v_div_fixup_f32 v3, v20, v4, v3
	v_lshl_add_u32 v20, s22, 2, v19
	ds_store_b32 v2, v3
	s_waitcnt lgkmcnt(0)
	s_waitcnt_vscnt null, 0x0
	buffer_gl0_inv
	ds_load_b32 v4, v20 offset:2112
	ds_load_b32 v21, v9
	s_waitcnt lgkmcnt(0)
	v_fmac_f32_e32 v21, v3, v4
	v_mov_b32_e32 v3, s25
	ds_store_b32 v9, v21
	s_waitcnt lgkmcnt(0)
	buffer_gl0_inv
	ds_load_b32 v4, v3 offset:40
	ds_load_b32 v3, v2 offset:4
	s_waitcnt lgkmcnt(1)
	v_cmp_neq_f32_e32 vcc_lo, 0, v4
	v_dual_cndmask_b32 v4, 1.0, v4 :: v_dual_add_nc_u32 v5, 0x720, v5
	s_or_b32 s25, vcc_lo, s2
	s_delay_alu instid0(SALU_CYCLE_1) | instskip(NEXT) | instid1(SALU_CYCLE_1)
	s_xor_b32 s26, s25, -1
	s_and_saveexec_b32 s25, s26
	s_cbranch_execz .LBB16_60
; %bb.57:                               ;   in Loop: Header=BB16_49 Depth=2
	v_mbcnt_lo_u32_b32 v4, exec_lo, 0
	s_mov_b32 s26, exec_lo
	s_delay_alu instid0(VALU_DEP_1)
	v_cmpx_eq_u32_e32 0, v4
	s_cbranch_execz .LBB16_59
; %bb.58:                               ;   in Loop: Header=BB16_49 Depth=2
	v_mov_b32_e32 v4, s21
	global_atomic_min_i32 v17, v4, s[10:11]
.LBB16_59:                              ;   in Loop: Header=BB16_49 Depth=2
	s_or_b32 exec_lo, exec_lo, s26
	v_mov_b32_e32 v4, 1.0
.LBB16_60:                              ;   in Loop: Header=BB16_49 Depth=2
	s_or_b32 exec_lo, exec_lo, s25
	ds_load_b32 v21, v5 offset:4
	v_dual_mov_b32 v20, v11 :: v_dual_add_nc_u32 v5, 0x840, v20
	s_mov_b32 s25, -1
	s_mov_b32 s26, s24
.LBB16_61:                              ;   Parent Loop BB16_8 Depth=1
                                        ;     Parent Loop BB16_49 Depth=2
                                        ; =>    This Inner Loop Header: Depth=3
	s_delay_alu instid0(SALU_CYCLE_1)
	v_mov_b32_e32 v22, s26
	s_add_i32 s25, s25, 1
	s_add_i32 s26, s26, 4
	s_cmp_lt_u32 s25, s22
	ds_load_b32 v23, v20
	ds_load_b32 v22, v22
	s_waitcnt lgkmcnt(0)
	v_dual_fmac_f32 v21, v22, v23 :: v_dual_add_nc_u32 v20, 4, v20
	s_cbranch_scc1 .LBB16_61
; %bb.62:                               ;   in Loop: Header=BB16_49 Depth=2
	s_delay_alu instid0(VALU_DEP_1)
	v_sub_f32_e32 v3, v3, v21
	s_add_i32 s22, s22, 2
	s_addk_i32 s23, 0x48
	s_addk_i32 s24, 0x48
	s_mov_b32 s25, s36
	v_div_scale_f32 v20, null, v4, v4, v3
	v_div_scale_f32 v23, vcc_lo, v3, v4, v3
	s_cmp_eq_u32 s22, s36
	s_delay_alu instid0(VALU_DEP_2) | instskip(SKIP_2) | instid1(VALU_DEP_1)
	v_rcp_f32_e32 v21, v20
	s_waitcnt_depctr 0xfff
	v_fma_f32 v22, -v20, v21, 1.0
	v_fmac_f32_e32 v21, v22, v21
	s_delay_alu instid0(VALU_DEP_1) | instskip(NEXT) | instid1(VALU_DEP_1)
	v_mul_f32_e32 v22, v23, v21
	v_fma_f32 v24, -v20, v22, v23
	s_delay_alu instid0(VALU_DEP_1) | instskip(NEXT) | instid1(VALU_DEP_1)
	v_fmac_f32_e32 v22, v24, v21
	v_fma_f32 v20, -v20, v22, v23
	s_delay_alu instid0(VALU_DEP_1) | instskip(NEXT) | instid1(VALU_DEP_1)
	v_div_fmas_f32 v20, v20, v21, v22
	v_div_fixup_f32 v3, v20, v4, v3
	ds_store_b32 v2, v3 offset:4
	s_waitcnt lgkmcnt(0)
	s_waitcnt_vscnt null, 0x0
	buffer_gl0_inv
	ds_load_b32 v2, v5 offset:4
	ds_load_b32 v4, v9
	s_waitcnt lgkmcnt(0)
	v_fmac_f32_e32 v4, v3, v2
	ds_store_b32 v9, v4
	s_waitcnt lgkmcnt(0)
	buffer_gl0_inv
	s_cbranch_scc0 .LBB16_49
.LBB16_63:                              ;   in Loop: Header=BB16_8 Depth=1
	s_and_not1_b32 vcc_lo, exec_lo, s38
	s_cbranch_vccnz .LBB16_72
; %bb.64:                               ;   in Loop: Header=BB16_8 Depth=1
	s_lshl_b32 s23, s25, 2
	s_mul_i32 s22, s25, 36
	v_mad_u32_u24 v3, v7, 36, s23
	s_add_i32 s24, s23, s22
	s_delay_alu instid0(SALU_CYCLE_1)
	v_mov_b32_e32 v2, s24
	ds_load_b32 v4, v2 offset:1536
	ds_load_b32 v2, v3 offset:2112
	s_waitcnt lgkmcnt(1)
	v_cmp_neq_f32_e32 vcc_lo, 0, v4
	v_cndmask_b32_e32 v4, 1.0, v4, vcc_lo
	s_or_b32 s23, vcc_lo, s2
	s_delay_alu instid0(SALU_CYCLE_1) | instskip(NEXT) | instid1(SALU_CYCLE_1)
	s_xor_b32 s24, s23, -1
	s_and_saveexec_b32 s23, s24
	s_cbranch_execz .LBB16_68
; %bb.65:                               ;   in Loop: Header=BB16_8 Depth=1
	v_mbcnt_lo_u32_b32 v4, exec_lo, 0
	s_mov_b32 s24, exec_lo
	s_delay_alu instid0(VALU_DEP_1)
	v_cmpx_eq_u32_e32 0, v4
	s_cbranch_execz .LBB16_67
; %bb.66:                               ;   in Loop: Header=BB16_8 Depth=1
	v_mov_b32_e32 v4, s21
	global_atomic_min_i32 v17, v4, s[10:11]
.LBB16_67:                              ;   in Loop: Header=BB16_8 Depth=1
	s_or_b32 exec_lo, exec_lo, s24
	v_mov_b32_e32 v4, 1.0
.LBB16_68:                              ;   in Loop: Header=BB16_8 Depth=1
	s_or_b32 exec_lo, exec_lo, s23
	v_lshl_add_u32 v5, s25, 2, v18
	s_cmp_eq_u32 s25, 0
	ds_load_b32 v5, v5 offset:1824
	s_cbranch_scc1 .LBB16_71
; %bb.69:                               ;   in Loop: Header=BB16_8 Depth=1
	v_mov_b32_e32 v20, v11
	s_add_i32 s21, s22, 0x600
	s_mov_b32 s22, 0
.LBB16_70:                              ;   Parent Loop BB16_8 Depth=1
                                        ; =>  This Inner Loop Header: Depth=2
	v_mov_b32_e32 v21, s21
	s_add_i32 s22, s22, 1
	s_add_i32 s21, s21, 4
	s_cmp_lt_u32 s22, s25
	ds_load_b32 v22, v20
	ds_load_b32 v21, v21
	s_waitcnt lgkmcnt(0)
	v_dual_fmac_f32 v5, v21, v22 :: v_dual_add_nc_u32 v20, 4, v20
	s_cbranch_scc1 .LBB16_70
.LBB16_71:                              ;   in Loop: Header=BB16_8 Depth=1
	s_waitcnt lgkmcnt(0)
	s_delay_alu instid0(VALU_DEP_1) | instskip(NEXT) | instid1(VALU_DEP_1)
	v_dual_sub_f32 v2, v2, v5 :: v_dual_add_nc_u32 v3, 0x840, v3
	v_div_scale_f32 v5, null, v4, v4, v2
	v_div_scale_f32 v22, vcc_lo, v2, v4, v2
	s_delay_alu instid0(VALU_DEP_2) | instskip(SKIP_2) | instid1(VALU_DEP_1)
	v_rcp_f32_e32 v20, v5
	s_waitcnt_depctr 0xfff
	v_fma_f32 v21, -v5, v20, 1.0
	v_fmac_f32_e32 v20, v21, v20
	s_delay_alu instid0(VALU_DEP_1) | instskip(NEXT) | instid1(VALU_DEP_1)
	v_mul_f32_e32 v21, v22, v20
	v_fma_f32 v23, -v5, v21, v22
	s_delay_alu instid0(VALU_DEP_1) | instskip(NEXT) | instid1(VALU_DEP_1)
	v_fmac_f32_e32 v21, v23, v20
	v_fma_f32 v5, -v5, v21, v22
	s_delay_alu instid0(VALU_DEP_1) | instskip(NEXT) | instid1(VALU_DEP_1)
	v_div_fmas_f32 v5, v5, v20, v21
	v_div_fixup_f32 v2, v5, v4, v2
	v_lshl_add_u32 v4, s25, 2, v19
	ds_store_b32 v3, v2
	s_waitcnt lgkmcnt(0)
	s_waitcnt_vscnt null, 0x0
	buffer_gl0_inv
	ds_load_b32 v3, v4 offset:2112
	ds_load_b32 v4, v9
	s_waitcnt lgkmcnt(0)
	v_fmac_f32_e32 v4, v2, v3
	ds_store_b32 v9, v4
	s_waitcnt lgkmcnt(0)
	buffer_gl0_inv
.LBB16_72:                              ;   in Loop: Header=BB16_8 Depth=1
	s_and_saveexec_b32 s21, s33
	s_cbranch_execz .LBB16_6
; %bb.73:                               ;   in Loop: Header=BB16_8 Depth=1
	v_mad_u64_u32 v[2:3], null, s20, s29, v[1:2]
	ds_load_b32 v5, v12
	v_mad_u64_u32 v[3:4], null, v2, s29, v[0:1]
	s_delay_alu instid0(VALU_DEP_1) | instskip(NEXT) | instid1(VALU_DEP_1)
	v_ashrrev_i32_e32 v4, 31, v3
	v_lshlrev_b64 v[2:3], 2, v[3:4]
	s_delay_alu instid0(VALU_DEP_1) | instskip(NEXT) | instid1(VALU_DEP_2)
	v_add_co_u32 v2, vcc_lo, s18, v2
	v_add_co_ci_u32_e32 v3, vcc_lo, s19, v3, vcc_lo
	s_waitcnt lgkmcnt(0)
	global_store_b32 v[2:3], v5, off
	s_branch .LBB16_6
.LBB16_74:
	v_max_i32_e32 v0, v6, v7
	s_cmp_eq_u32 s30, 0
	s_cselect_b32 s0, -1, 0
	s_delay_alu instid0(VALU_DEP_1) | instskip(NEXT) | instid1(VALU_DEP_1)
	v_cmp_gt_i32_e64 s1, s29, v0
	s_and_saveexec_b32 s2, s1
	s_cbranch_execz .LBB16_76
; %bb.75:
	v_cndmask_b32_e64 v0, v6, v7, s0
	s_delay_alu instid0(VALU_DEP_1) | instskip(SKIP_1) | instid1(VALU_DEP_1)
	v_mad_u64_u32 v[1:2], null, s28, s29, v[0:1]
	v_cndmask_b32_e64 v0, v7, v6, s0
	v_mad_u64_u32 v[2:3], null, v1, s29, v[0:1]
	s_delay_alu instid0(VALU_DEP_1) | instskip(NEXT) | instid1(VALU_DEP_1)
	v_ashrrev_i32_e32 v3, 31, v2
	v_lshlrev_b64 v[0:1], 2, v[2:3]
	s_delay_alu instid0(VALU_DEP_1) | instskip(NEXT) | instid1(VALU_DEP_2)
	v_add_co_u32 v0, vcc_lo, s18, v0
	v_add_co_ci_u32_e32 v1, vcc_lo, s19, v1, vcc_lo
	global_load_b32 v10, v[0:1], off
.LBB16_76:
	s_or_b32 exec_lo, exec_lo, s2
	s_cmp_lt_i32 s29, 1
	s_waitcnt vmcnt(0)
	ds_store_b32 v8, v10 offset:2112
	s_waitcnt lgkmcnt(0)
	buffer_gl0_inv
	s_cbranch_scc1 .LBB16_108
; %bb.77:
	v_lshlrev_b32_e32 v0, 2, v7
	v_or_b32_e32 v1, v6, v7
	s_add_i32 s4, s16, s17
	s_cmp_eq_u32 s29, 1
	s_mov_b32 s5, 0
	v_mad_u32_u24 v2, v7, 36, v0
	v_cmp_ne_u32_e64 s2, 0, v1
	s_delay_alu instid0(VALU_DEP_2)
	v_add_nc_u32_e32 v0, 0x840, v2
	v_add_nc_u32_e32 v1, 0x960, v2
	s_cbranch_scc1 .LBB16_98
; %bb.78:
	v_mad_u32_u24 v2, v6, 36, 0x840
	v_mad_u32_u24 v3, v7, 36, 0x840
	v_mov_b32_e32 v4, 0
	s_and_b32 s5, s29, 0x7ffffffe
	s_movk_i32 s12, 0x840
	s_mov_b32 s3, 0
	s_branch .LBB16_80
.LBB16_79:                              ;   in Loop: Header=BB16_80 Depth=1
	s_or_b32 exec_lo, exec_lo, s3
	v_add_nc_u32_e32 v2, 8, v2
	v_add_nc_u32_e32 v3, 8, v3
	s_add_i32 s3, s14, 1
	s_addk_i32 s12, 0x50
	s_cmp_eq_u32 s3, s5
	s_waitcnt lgkmcnt(0)
	s_waitcnt_vscnt null, 0x0
	buffer_gl0_inv
	s_cbranch_scc1 .LBB16_97
.LBB16_80:                              ; =>This Inner Loop Header: Depth=1
	s_mov_b32 s13, s3
	s_mov_b32 s14, exec_lo
	v_cmpx_eq_u32_e64 s13, v7
	s_cbranch_execz .LBB16_82
; %bb.81:                               ;   in Loop: Header=BB16_80 Depth=1
	ds_load_b32 v5, v0
	ds_load_b32 v10, v1
	s_waitcnt lgkmcnt(0)
	v_sub_f32_e32 v5, v5, v10
	s_delay_alu instid0(VALU_DEP_1) | instskip(SKIP_1) | instid1(VALU_DEP_1)
	v_cmp_gt_f32_e32 vcc_lo, 0, v5
	v_cndmask_b32_e64 v5, v5, -v5, vcc_lo
	v_mul_f32_e32 v10, 0x4f800000, v5
	v_cmp_gt_f32_e32 vcc_lo, 0xf800000, v5
	s_delay_alu instid0(VALU_DEP_2) | instskip(NEXT) | instid1(VALU_DEP_1)
	v_cndmask_b32_e32 v5, v5, v10, vcc_lo
	v_sqrt_f32_e32 v10, v5
	s_waitcnt_depctr 0xfff
	v_add_nc_u32_e32 v11, -1, v10
	v_add_nc_u32_e32 v12, 1, v10
	s_delay_alu instid0(VALU_DEP_2) | instskip(NEXT) | instid1(VALU_DEP_2)
	v_fma_f32 v13, -v11, v10, v5
	v_fma_f32 v14, -v12, v10, v5
	s_delay_alu instid0(VALU_DEP_2) | instskip(NEXT) | instid1(VALU_DEP_1)
	v_cmp_ge_f32_e64 s3, 0, v13
	v_cndmask_b32_e64 v10, v10, v11, s3
	s_delay_alu instid0(VALU_DEP_3) | instskip(NEXT) | instid1(VALU_DEP_1)
	v_cmp_lt_f32_e64 s3, 0, v14
	v_cndmask_b32_e64 v10, v10, v12, s3
	s_delay_alu instid0(VALU_DEP_1) | instskip(NEXT) | instid1(VALU_DEP_1)
	v_mul_f32_e32 v11, 0x37800000, v10
	v_cndmask_b32_e32 v10, v10, v11, vcc_lo
	v_cmp_class_f32_e64 vcc_lo, v5, 0x260
	s_delay_alu instid0(VALU_DEP_2)
	v_cndmask_b32_e32 v5, v10, v5, vcc_lo
	ds_store_b32 v0, v5
.LBB16_82:                              ;   in Loop: Header=BB16_80 Depth=1
	s_or_b32 exec_lo, exec_lo, s14
	v_mov_b32_e32 v5, s12
	s_waitcnt lgkmcnt(0)
	buffer_gl0_inv
	ds_load_b32 v5, v5
	s_waitcnt lgkmcnt(0)
	v_cmp_neq_f32_e32 vcc_lo, 0, v5
	v_cndmask_b32_e32 v5, 1.0, v5, vcc_lo
	s_or_b32 s3, vcc_lo, s2
	s_delay_alu instid0(SALU_CYCLE_1) | instskip(NEXT) | instid1(SALU_CYCLE_1)
	s_xor_b32 s14, s3, -1
	s_and_saveexec_b32 s3, s14
	s_cbranch_execz .LBB16_86
; %bb.83:                               ;   in Loop: Header=BB16_80 Depth=1
	v_mbcnt_lo_u32_b32 v5, exec_lo, 0
	s_mov_b32 s14, exec_lo
	s_delay_alu instid0(VALU_DEP_1)
	v_cmpx_eq_u32_e32 0, v5
	s_cbranch_execz .LBB16_85
; %bb.84:                               ;   in Loop: Header=BB16_80 Depth=1
	v_mov_b32_e32 v5, s4
	global_atomic_min_i32 v4, v5, s[10:11]
.LBB16_85:                              ;   in Loop: Header=BB16_80 Depth=1
	s_or_b32 exec_lo, exec_lo, s14
	v_mov_b32_e32 v5, 1.0
.LBB16_86:                              ;   in Loop: Header=BB16_80 Depth=1
	s_or_b32 exec_lo, exec_lo, s3
	s_delay_alu instid0(SALU_CYCLE_1)
	s_mov_b32 s3, exec_lo
	v_cmpx_lt_u32_e64 s13, v7
	s_cbranch_execz .LBB16_88
; %bb.87:                               ;   in Loop: Header=BB16_80 Depth=1
	ds_load_2addr_b32 v[10:11], v3 offset1:72
	s_waitcnt lgkmcnt(0)
	v_sub_f32_e32 v10, v10, v11
	s_delay_alu instid0(VALU_DEP_1) | instskip(SKIP_1) | instid1(VALU_DEP_2)
	v_div_scale_f32 v11, null, v5, v5, v10
	v_div_scale_f32 v14, vcc_lo, v10, v5, v10
	v_rcp_f32_e32 v12, v11
	s_waitcnt_depctr 0xfff
	v_fma_f32 v13, -v11, v12, 1.0
	s_delay_alu instid0(VALU_DEP_1) | instskip(NEXT) | instid1(VALU_DEP_1)
	v_fmac_f32_e32 v12, v13, v12
	v_mul_f32_e32 v13, v14, v12
	s_delay_alu instid0(VALU_DEP_1) | instskip(NEXT) | instid1(VALU_DEP_1)
	v_fma_f32 v15, -v11, v13, v14
	v_fmac_f32_e32 v13, v15, v12
	s_delay_alu instid0(VALU_DEP_1) | instskip(NEXT) | instid1(VALU_DEP_1)
	v_fma_f32 v11, -v11, v13, v14
	v_div_fmas_f32 v11, v11, v12, v13
	s_delay_alu instid0(VALU_DEP_1)
	v_div_fixup_f32 v5, v11, v5, v10
	ds_store_b32 v3, v5
	s_waitcnt lgkmcnt(0)
	s_waitcnt_vscnt null, 0x0
	buffer_gl0_inv
	ds_load_b32 v10, v2
	ds_load_b32 v11, v9
	s_waitcnt lgkmcnt(0)
	v_fmac_f32_e32 v11, v5, v10
	ds_store_b32 v9, v11
.LBB16_88:                              ;   in Loop: Header=BB16_80 Depth=1
	s_or_b32 exec_lo, exec_lo, s3
	s_add_i32 s14, s13, 1
	s_mov_b32 s15, exec_lo
	s_waitcnt lgkmcnt(0)
	s_waitcnt_vscnt null, 0x0
	buffer_gl0_inv
	v_cmpx_eq_u32_e64 s14, v7
	s_cbranch_execz .LBB16_90
; %bb.89:                               ;   in Loop: Header=BB16_80 Depth=1
	ds_load_b32 v5, v0
	ds_load_b32 v10, v1
	s_waitcnt lgkmcnt(0)
	v_sub_f32_e32 v5, v5, v10
	s_delay_alu instid0(VALU_DEP_1) | instskip(SKIP_1) | instid1(VALU_DEP_1)
	v_cmp_gt_f32_e32 vcc_lo, 0, v5
	v_cndmask_b32_e64 v5, v5, -v5, vcc_lo
	v_mul_f32_e32 v10, 0x4f800000, v5
	v_cmp_gt_f32_e32 vcc_lo, 0xf800000, v5
	s_delay_alu instid0(VALU_DEP_2) | instskip(NEXT) | instid1(VALU_DEP_1)
	v_cndmask_b32_e32 v5, v5, v10, vcc_lo
	v_sqrt_f32_e32 v10, v5
	s_waitcnt_depctr 0xfff
	v_add_nc_u32_e32 v11, -1, v10
	v_add_nc_u32_e32 v12, 1, v10
	s_delay_alu instid0(VALU_DEP_2) | instskip(NEXT) | instid1(VALU_DEP_2)
	v_fma_f32 v13, -v11, v10, v5
	v_fma_f32 v14, -v12, v10, v5
	s_delay_alu instid0(VALU_DEP_2) | instskip(NEXT) | instid1(VALU_DEP_1)
	v_cmp_ge_f32_e64 s3, 0, v13
	v_cndmask_b32_e64 v10, v10, v11, s3
	s_delay_alu instid0(VALU_DEP_3) | instskip(NEXT) | instid1(VALU_DEP_1)
	v_cmp_lt_f32_e64 s3, 0, v14
	v_cndmask_b32_e64 v10, v10, v12, s3
	s_delay_alu instid0(VALU_DEP_1) | instskip(NEXT) | instid1(VALU_DEP_1)
	v_mul_f32_e32 v11, 0x37800000, v10
	v_cndmask_b32_e32 v10, v10, v11, vcc_lo
	v_cmp_class_f32_e64 vcc_lo, v5, 0x260
	s_delay_alu instid0(VALU_DEP_2)
	v_cndmask_b32_e32 v5, v10, v5, vcc_lo
	ds_store_b32 v0, v5
.LBB16_90:                              ;   in Loop: Header=BB16_80 Depth=1
	s_or_b32 exec_lo, exec_lo, s15
	v_mov_b32_e32 v5, s12
	s_waitcnt lgkmcnt(0)
	buffer_gl0_inv
	ds_load_b32 v5, v5 offset:40
	s_waitcnt lgkmcnt(0)
	v_cmp_neq_f32_e32 vcc_lo, 0, v5
	v_cndmask_b32_e32 v5, 1.0, v5, vcc_lo
	s_or_b32 s3, vcc_lo, s2
	s_delay_alu instid0(SALU_CYCLE_1) | instskip(NEXT) | instid1(SALU_CYCLE_1)
	s_xor_b32 s15, s3, -1
	s_and_saveexec_b32 s3, s15
	s_cbranch_execz .LBB16_94
; %bb.91:                               ;   in Loop: Header=BB16_80 Depth=1
	v_mbcnt_lo_u32_b32 v5, exec_lo, 0
	s_mov_b32 s15, exec_lo
	s_delay_alu instid0(VALU_DEP_1)
	v_cmpx_eq_u32_e32 0, v5
	s_cbranch_execz .LBB16_93
; %bb.92:                               ;   in Loop: Header=BB16_80 Depth=1
	v_mov_b32_e32 v5, s4
	global_atomic_min_i32 v4, v5, s[10:11]
.LBB16_93:                              ;   in Loop: Header=BB16_80 Depth=1
	s_or_b32 exec_lo, exec_lo, s15
	v_mov_b32_e32 v5, 1.0
.LBB16_94:                              ;   in Loop: Header=BB16_80 Depth=1
	s_or_b32 exec_lo, exec_lo, s3
	s_delay_alu instid0(SALU_CYCLE_1)
	s_mov_b32 s3, exec_lo
	v_cmpx_lt_u32_e64 s14, v7
	s_cbranch_execz .LBB16_79
; %bb.95:                               ;   in Loop: Header=BB16_80 Depth=1
	ds_load_2addr_b32 v[10:11], v3 offset0:1 offset1:73
	s_waitcnt lgkmcnt(0)
	v_sub_f32_e32 v10, v10, v11
	s_delay_alu instid0(VALU_DEP_1) | instskip(SKIP_1) | instid1(VALU_DEP_2)
	v_div_scale_f32 v11, null, v5, v5, v10
	v_div_scale_f32 v14, vcc_lo, v10, v5, v10
	v_rcp_f32_e32 v12, v11
	s_waitcnt_depctr 0xfff
	v_fma_f32 v13, -v11, v12, 1.0
	s_delay_alu instid0(VALU_DEP_1) | instskip(NEXT) | instid1(VALU_DEP_1)
	v_fmac_f32_e32 v12, v13, v12
	v_mul_f32_e32 v13, v14, v12
	s_delay_alu instid0(VALU_DEP_1) | instskip(NEXT) | instid1(VALU_DEP_1)
	v_fma_f32 v15, -v11, v13, v14
	v_fmac_f32_e32 v13, v15, v12
	s_delay_alu instid0(VALU_DEP_1) | instskip(NEXT) | instid1(VALU_DEP_1)
	v_fma_f32 v11, -v11, v13, v14
	v_div_fmas_f32 v11, v11, v12, v13
	s_delay_alu instid0(VALU_DEP_1)
	v_div_fixup_f32 v5, v11, v5, v10
	ds_store_b32 v3, v5 offset:4
	s_waitcnt lgkmcnt(0)
	s_waitcnt_vscnt null, 0x0
	buffer_gl0_inv
	ds_load_b32 v10, v2 offset:4
	ds_load_b32 v11, v9
	s_waitcnt lgkmcnt(0)
	v_fmac_f32_e32 v11, v5, v10
	ds_store_b32 v9, v11
	s_branch .LBB16_79
.LBB16_96:
	s_cbranch_execnz .LBB16_111
	s_branch .LBB16_116
.LBB16_97:
	s_add_i32 s5, s13, 2
.LBB16_98:
	s_bitcmp0_b32 s29, 0
	s_cbranch_scc1 .LBB16_108
; %bb.99:
	s_mov_b32 s12, exec_lo
	v_cmpx_eq_u32_e64 s5, v7
	s_cbranch_execz .LBB16_101
; %bb.100:
	ds_load_b32 v2, v0
	ds_load_b32 v1, v1
	s_waitcnt lgkmcnt(0)
	v_sub_f32_e32 v1, v2, v1
	s_delay_alu instid0(VALU_DEP_1) | instskip(SKIP_1) | instid1(VALU_DEP_1)
	v_cmp_gt_f32_e32 vcc_lo, 0, v1
	v_cndmask_b32_e64 v1, v1, -v1, vcc_lo
	v_mul_f32_e32 v2, 0x4f800000, v1
	v_cmp_gt_f32_e32 vcc_lo, 0xf800000, v1
	s_delay_alu instid0(VALU_DEP_2) | instskip(NEXT) | instid1(VALU_DEP_1)
	v_cndmask_b32_e32 v1, v1, v2, vcc_lo
	v_sqrt_f32_e32 v2, v1
	s_waitcnt_depctr 0xfff
	v_add_nc_u32_e32 v3, -1, v2
	v_add_nc_u32_e32 v4, 1, v2
	s_delay_alu instid0(VALU_DEP_2) | instskip(NEXT) | instid1(VALU_DEP_2)
	v_fma_f32 v5, -v3, v2, v1
	v_fma_f32 v10, -v4, v2, v1
	s_delay_alu instid0(VALU_DEP_2) | instskip(NEXT) | instid1(VALU_DEP_1)
	v_cmp_ge_f32_e64 s3, 0, v5
	v_cndmask_b32_e64 v2, v2, v3, s3
	s_delay_alu instid0(VALU_DEP_3) | instskip(NEXT) | instid1(VALU_DEP_1)
	v_cmp_lt_f32_e64 s3, 0, v10
	v_cndmask_b32_e64 v2, v2, v4, s3
	s_delay_alu instid0(VALU_DEP_1) | instskip(NEXT) | instid1(VALU_DEP_1)
	v_mul_f32_e32 v3, 0x37800000, v2
	v_cndmask_b32_e32 v2, v2, v3, vcc_lo
	v_cmp_class_f32_e64 vcc_lo, v1, 0x260
	s_delay_alu instid0(VALU_DEP_2)
	v_cndmask_b32_e32 v1, v2, v1, vcc_lo
	ds_store_b32 v0, v1
.LBB16_101:
	s_or_b32 exec_lo, exec_lo, s12
	s_lshl_b32 s3, s5, 2
	s_mul_i32 s12, s5, 36
	s_waitcnt lgkmcnt(0)
	buffer_gl0_inv
	s_add_i32 s12, s12, s3
	s_delay_alu instid0(SALU_CYCLE_1)
	v_mov_b32_e32 v0, s12
	ds_load_b32 v0, v0 offset:2112
	s_waitcnt lgkmcnt(0)
	v_cmp_neq_f32_e32 vcc_lo, 0, v0
	v_cndmask_b32_e32 v0, 1.0, v0, vcc_lo
	s_or_b32 s2, vcc_lo, s2
	s_delay_alu instid0(SALU_CYCLE_1) | instskip(NEXT) | instid1(SALU_CYCLE_1)
	s_xor_b32 s12, s2, -1
	s_and_saveexec_b32 s2, s12
	s_cbranch_execz .LBB16_105
; %bb.102:
	v_mbcnt_lo_u32_b32 v0, exec_lo, 0
	s_mov_b32 s12, exec_lo
	s_delay_alu instid0(VALU_DEP_1)
	v_cmpx_eq_u32_e32 0, v0
	s_cbranch_execz .LBB16_104
; %bb.103:
	v_dual_mov_b32 v0, 0 :: v_dual_mov_b32 v1, s4
	global_atomic_min_i32 v0, v1, s[10:11]
.LBB16_104:
	s_or_b32 exec_lo, exec_lo, s12
	v_mov_b32_e32 v0, 1.0
.LBB16_105:
	s_or_b32 exec_lo, exec_lo, s2
	s_delay_alu instid0(SALU_CYCLE_1)
	s_mov_b32 s2, exec_lo
	v_cmpx_lt_u32_e64 s5, v7
	s_cbranch_execz .LBB16_107
; %bb.106:
	s_add_i32 s4, s3, 0x840
	v_mad_u32_u24 v2, v7, 36, s3
	v_mad_u32_u24 v1, v7, 36, s4
	ds_load_b32 v3, v1
	ds_load_b32 v2, v2 offset:2400
	s_waitcnt lgkmcnt(0)
	v_sub_f32_e32 v2, v3, v2
	s_delay_alu instid0(VALU_DEP_1) | instskip(SKIP_1) | instid1(VALU_DEP_2)
	v_div_scale_f32 v3, null, v0, v0, v2
	v_div_scale_f32 v10, vcc_lo, v2, v0, v2
	v_rcp_f32_e32 v4, v3
	s_waitcnt_depctr 0xfff
	v_fma_f32 v5, -v3, v4, 1.0
	s_delay_alu instid0(VALU_DEP_1) | instskip(NEXT) | instid1(VALU_DEP_1)
	v_fmac_f32_e32 v4, v5, v4
	v_mul_f32_e32 v5, v10, v4
	s_delay_alu instid0(VALU_DEP_1) | instskip(NEXT) | instid1(VALU_DEP_1)
	v_fma_f32 v11, -v3, v5, v10
	v_fmac_f32_e32 v5, v11, v4
	s_delay_alu instid0(VALU_DEP_1) | instskip(NEXT) | instid1(VALU_DEP_1)
	v_fma_f32 v3, -v3, v5, v10
	v_div_fmas_f32 v3, v3, v4, v5
	s_delay_alu instid0(VALU_DEP_1)
	v_div_fixup_f32 v0, v3, v0, v2
	v_mad_u32_u24 v2, v6, 36, s4
	ds_store_b32 v1, v0
	s_waitcnt lgkmcnt(0)
	s_waitcnt_vscnt null, 0x0
	buffer_gl0_inv
	ds_load_b32 v1, v2
	ds_load_b32 v2, v9
	s_waitcnt lgkmcnt(0)
	v_fmac_f32_e32 v2, v0, v1
	ds_store_b32 v9, v2
.LBB16_107:
	s_or_b32 exec_lo, exec_lo, s2
	s_waitcnt lgkmcnt(0)
	s_waitcnt_vscnt null, 0x0
	buffer_gl0_inv
.LBB16_108:
	s_and_saveexec_b32 s2, s1
	s_cbranch_execz .LBB16_110
; %bb.109:
	v_cndmask_b32_e64 v0, v6, v7, s0
	s_delay_alu instid0(VALU_DEP_1) | instskip(SKIP_1) | instid1(VALU_DEP_1)
	v_mad_u64_u32 v[1:2], null, s28, s29, v[0:1]
	v_cndmask_b32_e64 v0, v7, v6, s0
	v_mad_u64_u32 v[2:3], null, v1, s29, v[0:1]
	v_add_nc_u32_e32 v0, 0x840, v8
	ds_load_b32 v4, v0
	v_ashrrev_i32_e32 v3, 31, v2
	s_delay_alu instid0(VALU_DEP_1) | instskip(NEXT) | instid1(VALU_DEP_1)
	v_lshlrev_b64 v[0:1], 2, v[2:3]
	v_add_co_u32 v0, vcc_lo, s18, v0
	s_delay_alu instid0(VALU_DEP_2)
	v_add_co_ci_u32_e32 v1, vcc_lo, s19, v1, vcc_lo
	s_waitcnt lgkmcnt(0)
	global_store_b32 v[0:1], v4, off
.LBB16_110:
	s_or_b32 exec_lo, exec_lo, s2
	v_or_b32_e32 v0, v6, v7
	s_delay_alu instid0(VALU_DEP_1)
	v_cmp_eq_u32_e64 s3, 0, v0
	s_branch .LBB16_116
.LBB16_111:
	v_or_b32_e32 v0, v6, v7
	s_mov_b32 s0, exec_lo
	s_delay_alu instid0(VALU_DEP_1)
	v_cmpx_eq_u32_e32 0, v0
	s_cbranch_execz .LBB16_115
; %bb.112:
	v_mbcnt_lo_u32_b32 v0, exec_lo, 0
	s_mov_b32 s1, exec_lo
	s_delay_alu instid0(VALU_DEP_1)
	v_cmpx_eq_u32_e32 0, v0
	s_cbranch_execz .LBB16_114
; %bb.113:
	s_add_i32 s2, s16, s17
	s_delay_alu instid0(SALU_CYCLE_1)
	v_dual_mov_b32 v0, 0 :: v_dual_mov_b32 v1, s2
	global_atomic_min_i32 v0, v1, s[10:11]
.LBB16_114:
	s_or_b32 exec_lo, exec_lo, s1
	s_delay_alu instid0(SALU_CYCLE_1)
	s_or_b32 s3, s3, exec_lo
.LBB16_115:
	s_or_b32 exec_lo, exec_lo, s0
.LBB16_116:
	s_delay_alu instid0(VALU_DEP_1)
	s_and_saveexec_b32 s0, s3
	s_cbranch_execnz .LBB16_118
; %bb.117:
	s_nop 0
	s_sendmsg sendmsg(MSG_DEALLOC_VGPRS)
	s_endpgm
.LBB16_118:
	v_dual_mov_b32 v0, 0 :: v_dual_mov_b32 v1, 1
	s_add_u32 s0, s6, s8
	s_addc_u32 s1, s7, s9
	s_waitcnt_vscnt null, 0x0
	global_store_b32 v0, v1, s[0:1]
	s_nop 0
	s_sendmsg sendmsg(MSG_DEALLOC_VGPRS)
	s_endpgm
	.section	.rodata,"a",@progbits
	.p2align	6, 0x0
	.amdhsa_kernel _ZN9rocsparseL17bsric0_2_8_kernelILi64ELi128ELi8EfEEv20rocsparse_direction_iiPKiS3_PT2_S3_PiS3_S6_21rocsparse_index_base_
		.amdhsa_group_segment_fixed_size 2688
		.amdhsa_private_segment_fixed_size 0
		.amdhsa_kernarg_size 76
		.amdhsa_user_sgpr_count 15
		.amdhsa_user_sgpr_dispatch_ptr 0
		.amdhsa_user_sgpr_queue_ptr 0
		.amdhsa_user_sgpr_kernarg_segment_ptr 1
		.amdhsa_user_sgpr_dispatch_id 0
		.amdhsa_user_sgpr_private_segment_size 0
		.amdhsa_wavefront_size32 1
		.amdhsa_uses_dynamic_stack 0
		.amdhsa_enable_private_segment 0
		.amdhsa_system_sgpr_workgroup_id_x 1
		.amdhsa_system_sgpr_workgroup_id_y 0
		.amdhsa_system_sgpr_workgroup_id_z 0
		.amdhsa_system_sgpr_workgroup_info 0
		.amdhsa_system_vgpr_workitem_id 1
		.amdhsa_next_free_vgpr 25
		.amdhsa_next_free_sgpr 46
		.amdhsa_reserve_vcc 1
		.amdhsa_float_round_mode_32 0
		.amdhsa_float_round_mode_16_64 0
		.amdhsa_float_denorm_mode_32 3
		.amdhsa_float_denorm_mode_16_64 3
		.amdhsa_dx10_clamp 1
		.amdhsa_ieee_mode 1
		.amdhsa_fp16_overflow 0
		.amdhsa_workgroup_processor_mode 1
		.amdhsa_memory_ordered 1
		.amdhsa_forward_progress 0
		.amdhsa_shared_vgpr_count 0
		.amdhsa_exception_fp_ieee_invalid_op 0
		.amdhsa_exception_fp_denorm_src 0
		.amdhsa_exception_fp_ieee_div_zero 0
		.amdhsa_exception_fp_ieee_overflow 0
		.amdhsa_exception_fp_ieee_underflow 0
		.amdhsa_exception_fp_ieee_inexact 0
		.amdhsa_exception_int_div_zero 0
	.end_amdhsa_kernel
	.section	.text._ZN9rocsparseL17bsric0_2_8_kernelILi64ELi128ELi8EfEEv20rocsparse_direction_iiPKiS3_PT2_S3_PiS3_S6_21rocsparse_index_base_,"axG",@progbits,_ZN9rocsparseL17bsric0_2_8_kernelILi64ELi128ELi8EfEEv20rocsparse_direction_iiPKiS3_PT2_S3_PiS3_S6_21rocsparse_index_base_,comdat
.Lfunc_end16:
	.size	_ZN9rocsparseL17bsric0_2_8_kernelILi64ELi128ELi8EfEEv20rocsparse_direction_iiPKiS3_PT2_S3_PiS3_S6_21rocsparse_index_base_, .Lfunc_end16-_ZN9rocsparseL17bsric0_2_8_kernelILi64ELi128ELi8EfEEv20rocsparse_direction_iiPKiS3_PT2_S3_PiS3_S6_21rocsparse_index_base_
                                        ; -- End function
	.section	.AMDGPU.csdata,"",@progbits
; Kernel info:
; codeLenInByte = 5188
; NumSgprs: 48
; NumVgprs: 25
; ScratchSize: 0
; MemoryBound: 0
; FloatMode: 240
; IeeeMode: 1
; LDSByteSize: 2688 bytes/workgroup (compile time only)
; SGPRBlocks: 5
; VGPRBlocks: 3
; NumSGPRsForWavesPerEU: 48
; NumVGPRsForWavesPerEU: 25
; Occupancy: 16
; WaveLimiterHint : 1
; COMPUTE_PGM_RSRC2:SCRATCH_EN: 0
; COMPUTE_PGM_RSRC2:USER_SGPR: 15
; COMPUTE_PGM_RSRC2:TRAP_HANDLER: 0
; COMPUTE_PGM_RSRC2:TGID_X_EN: 1
; COMPUTE_PGM_RSRC2:TGID_Y_EN: 0
; COMPUTE_PGM_RSRC2:TGID_Z_EN: 0
; COMPUTE_PGM_RSRC2:TIDIG_COMP_CNT: 1
	.section	.text._ZN9rocsparseL18bsric0_9_16_kernelILi64ELi128ELi16EfEEv20rocsparse_direction_iiPKiS3_PT2_S3_PiS3_S6_21rocsparse_index_base_,"axG",@progbits,_ZN9rocsparseL18bsric0_9_16_kernelILi64ELi128ELi16EfEEv20rocsparse_direction_iiPKiS3_PT2_S3_PiS3_S6_21rocsparse_index_base_,comdat
	.globl	_ZN9rocsparseL18bsric0_9_16_kernelILi64ELi128ELi16EfEEv20rocsparse_direction_iiPKiS3_PT2_S3_PiS3_S6_21rocsparse_index_base_ ; -- Begin function _ZN9rocsparseL18bsric0_9_16_kernelILi64ELi128ELi16EfEEv20rocsparse_direction_iiPKiS3_PT2_S3_PiS3_S6_21rocsparse_index_base_
	.p2align	8
	.type	_ZN9rocsparseL18bsric0_9_16_kernelILi64ELi128ELi16EfEEv20rocsparse_direction_iiPKiS3_PT2_S3_PiS3_S6_21rocsparse_index_base_,@function
_ZN9rocsparseL18bsric0_9_16_kernelILi64ELi128ELi16EfEEv20rocsparse_direction_iiPKiS3_PT2_S3_PiS3_S6_21rocsparse_index_base_: ; @_ZN9rocsparseL18bsric0_9_16_kernelILi64ELi128ELi16EfEEv20rocsparse_direction_iiPKiS3_PT2_S3_PiS3_S6_21rocsparse_index_base_
; %bb.0:
	s_load_b256 s[4:11], s[0:1], 0x28
	s_mov_b32 s2, s15
	s_mov_b32 s3, 0
	v_and_b32_e32 v5, 0x3ff, v0
	s_lshl_b64 s[12:13], s[2:3], 2
	v_bfe_u32 v0, v0, 10, 10
	s_waitcnt lgkmcnt(0)
	s_add_u32 s8, s8, s12
	s_addc_u32 s9, s9, s13
	s_load_b32 s16, s[8:9], 0x0
	s_waitcnt lgkmcnt(0)
	s_ashr_i32 s17, s16, 31
	s_delay_alu instid0(SALU_CYCLE_1) | instskip(NEXT) | instid1(SALU_CYCLE_1)
	s_lshl_b64 s[8:9], s[16:17], 2
	s_add_u32 s12, s4, s8
	s_addc_u32 s13, s5, s9
	s_load_b32 s28, s[12:13], 0x0
	s_load_b32 s17, s[0:1], 0x48
	s_waitcnt lgkmcnt(0)
	s_cmp_lg_u32 s28, -1
	s_cbranch_scc0 .LBB17_131
; %bb.1:
	s_clause 0x1
	s_load_b128 s[12:15], s[0:1], 0x10
	s_load_b64 s[18:19], s[0:1], 0x20
	v_lshlrev_b32_e32 v8, 2, v0
	v_lshlrev_b32_e32 v6, 2, v5
	s_waitcnt lgkmcnt(0)
	s_add_u32 s2, s12, s8
	s_addc_u32 s3, s13, s9
	s_load_b32 s2, s[2:3], 0x0
	s_waitcnt lgkmcnt(0)
	s_sub_i32 s30, s2, s17
	s_mov_b32 s2, exec_lo
	v_add3_u32 v1, v8, v5, s30
	s_delay_alu instid0(VALU_DEP_1)
	v_cmpx_ge_i32_e64 s28, v1
	s_cbranch_execz .LBB17_4
; %bb.2:
	v_lshlrev_b32_e32 v2, 4, v0
	s_mov_b32 s3, 0
	s_delay_alu instid0(VALU_DEP_1)
	v_add3_u32 v3, v2, v6, 0x1500
	.p2align	6
.LBB17_3:                               ; =>This Inner Loop Header: Depth=1
	v_ashrrev_i32_e32 v2, 31, v1
	s_delay_alu instid0(VALU_DEP_1) | instskip(SKIP_1) | instid1(VALU_DEP_2)
	v_lshlrev_b64 v[9:10], 2, v[1:2]
	v_add_nc_u32_e32 v1, 64, v1
	v_add_co_u32 v9, vcc_lo, s14, v9
	s_delay_alu instid0(VALU_DEP_3) | instskip(NEXT) | instid1(VALU_DEP_3)
	v_add_co_ci_u32_e32 v10, vcc_lo, s15, v10, vcc_lo
	v_cmp_lt_i32_e32 vcc_lo, s28, v1
	global_load_b32 v2, v[9:10], off
	s_or_b32 s3, vcc_lo, s3
	s_waitcnt vmcnt(0)
	v_subrev_nc_u32_e32 v2, s17, v2
	ds_store_b32 v3, v2
	v_add_nc_u32_e32 v3, 0x100, v3
	s_and_not1_b32 exec_lo, exec_lo, s3
	s_cbranch_execnz .LBB17_3
.LBB17_4:
	s_or_b32 exec_lo, exec_lo, s2
	v_mul_u32_u24_e32 v7, 0x44, v0
	s_mov_b32 s2, exec_lo
	v_cmpx_gt_u32_e32 16, v5
	s_cbranch_execz .LBB17_7
; %bb.5:
	v_add_nc_u32_e32 v1, -4, v5
	v_add3_u32 v2, v7, v6, 0xcc0
	v_mov_b32_e32 v3, 0
	s_mov_b32 s3, 0
.LBB17_6:                               ; =>This Inner Loop Header: Depth=1
	s_delay_alu instid0(VALU_DEP_3) | instskip(SKIP_4) | instid1(SALU_CYCLE_1)
	v_add_nc_u32_e32 v1, 4, v1
	ds_store_b32 v2, v3
	v_add_nc_u32_e32 v2, 16, v2
	v_cmp_lt_u32_e32 vcc_lo, 11, v1
	s_or_b32 s3, vcc_lo, s3
	s_and_not1_b32 exec_lo, exec_lo, s3
	s_cbranch_execnz .LBB17_6
.LBB17_7:
	s_or_b32 exec_lo, exec_lo, s2
	s_clause 0x1
	s_load_b32 s3, s[0:1], 0x8
	s_load_b32 s29, s[0:1], 0x0
	s_cmp_ge_i32 s30, s28
	s_waitcnt lgkmcnt(0)
	buffer_gl0_inv
	v_cmp_gt_i32_e64 s0, s3, v5
	s_cbranch_scc1 .LBB17_92
; %bb.8:
	v_mad_u64_u32 v[1:2], null, s3, s30, v[0:1]
	v_or_b32_e32 v2, v5, v0
	v_mad_u32_u24 v9, 0x44, v0, v6
	v_mul_lo_u32 v10, v0, s3
	v_mul_lo_u32 v12, v5, s3
	s_movk_i32 s20, 0x880
	s_cmp_lg_u32 s29, 0
	v_mul_lo_u32 v14, s3, v1
	v_cmp_gt_i32_e64 s1, s3, v0
	v_cmp_ne_u32_e64 s2, 0, v2
	v_dual_mov_b32 v18, 0 :: v_dual_add_nc_u32 v11, 0x440, v9
	v_mad_u32_u24 v13, 0x44, v0, s20
	v_mad_u32_u24 v15, 0x44, v5, s20
	v_add_nc_u32_e32 v16, 0xcc0, v9
	v_add_nc_u32_e32 v17, 0x880, v9
	s_cselect_b32 s31, -1, 0
	s_cmp_gt_i32 s3, 0
	s_mul_i32 s34, s3, s3
	s_cselect_b32 s33, -1, 0
	s_lshl_b32 s35, s3, 2
	s_mov_b32 s20, s30
	s_branch .LBB17_10
.LBB17_9:                               ;   in Loop: Header=BB17_10 Depth=1
	s_set_inst_prefetch_distance 0x2
	s_or_b32 exec_lo, exec_lo, s22
	s_add_i32 s20, s20, 1
	v_add_nc_u32_e32 v14, s34, v14
	s_cmp_ge_i32 s20, s28
	s_waitcnt_vscnt null, 0x0
	buffer_gl1_inv
	buffer_gl0_inv
	s_cselect_b32 s21, -1, 0
	s_delay_alu instid0(SALU_CYCLE_1)
	s_and_b32 vcc_lo, exec_lo, s21
	s_cbranch_vccnz .LBB17_92
.LBB17_10:                              ; =>This Loop Header: Depth=1
                                        ;     Child Loop BB17_14 Depth 2
                                        ;     Child Loop BB17_27 Depth 2
	;; [unrolled: 1-line block ×5, first 2 shown]
                                        ;       Child Loop BB17_59 Depth 3
                                        ;     Child Loop BB17_72 Depth 2
                                        ;       Child Loop BB17_78 Depth 3
                                        ;       Child Loop BB17_81 Depth 3
                                        ;     Child Loop BB17_86 Depth 2
	s_ashr_i32 s21, s20, 31
	s_delay_alu instid0(SALU_CYCLE_1) | instskip(NEXT) | instid1(SALU_CYCLE_1)
	s_lshl_b64 s[22:23], s[20:21], 2
	s_add_u32 s22, s14, s22
	s_addc_u32 s23, s15, s23
	s_load_b32 s36, s[22:23], 0x0
	s_waitcnt lgkmcnt(0)
	s_sub_i32 s24, s36, s17
	s_delay_alu instid0(SALU_CYCLE_1) | instskip(NEXT) | instid1(SALU_CYCLE_1)
	s_ashr_i32 s25, s24, 31
	s_lshl_b64 s[22:23], s[24:25], 2
	s_delay_alu instid0(SALU_CYCLE_1)
	s_add_u32 s26, s4, s22
	s_addc_u32 s27, s5, s23
	s_load_b32 s25, s[26:27], 0x0
	s_waitcnt lgkmcnt(0)
	s_cmp_eq_u32 s25, -1
	s_cbranch_scc1 .LBB17_91
; %bb.11:                               ;   in Loop: Header=BB17_10 Depth=1
	s_add_u32 s26, s12, s22
	s_addc_u32 s27, s13, s23
	s_mul_i32 s21, s20, s3
	s_load_b32 s26, s[26:27], 0x0
	s_and_saveexec_b32 s27, s0
	s_cbranch_execz .LBB17_24
; %bb.12:                               ;   in Loop: Header=BB17_10 Depth=1
	v_dual_mov_b32 v3, v11 :: v_dual_mov_b32 v4, v5
	s_mov_b32 s37, 0
	s_branch .LBB17_14
.LBB17_13:                              ;   in Loop: Header=BB17_14 Depth=2
	s_or_b32 exec_lo, exec_lo, s39
	v_add_nc_u32_e32 v4, 4, v4
	s_waitcnt vmcnt(0)
	ds_store_b32 v3, v2 offset:1088
	ds_store_b32 v3, v18
	v_add_nc_u32_e32 v3, 16, v3
	v_cmp_le_i32_e32 vcc_lo, s3, v4
	s_or_b32 s37, vcc_lo, s37
	s_delay_alu instid0(SALU_CYCLE_1)
	s_and_not1_b32 exec_lo, exec_lo, s37
	s_cbranch_execz .LBB17_24
.LBB17_14:                              ;   Parent Loop BB17_10 Depth=1
                                        ; =>  This Inner Loop Header: Depth=2
	s_and_b32 vcc_lo, exec_lo, s31
	s_cbranch_vccz .LBB17_19
; %bb.15:                               ;   in Loop: Header=BB17_14 Depth=2
	s_mov_b32 s39, 0
	s_mov_b32 s38, 0
                                        ; implicit-def: $vgpr1
	s_and_saveexec_b32 s40, s1
	s_delay_alu instid0(SALU_CYCLE_1)
	s_xor_b32 s40, exec_lo, s40
; %bb.16:                               ;   in Loop: Header=BB17_14 Depth=2
	v_add_nc_u32_e32 v19, s21, v4
	s_mov_b32 s38, exec_lo
	s_delay_alu instid0(VALU_DEP_1)
	v_mad_u64_u32 v[1:2], null, v19, s3, v[0:1]
; %bb.17:                               ;   in Loop: Header=BB17_14 Depth=2
	s_or_b32 exec_lo, exec_lo, s40
	s_delay_alu instid0(SALU_CYCLE_1)
	s_and_b32 vcc_lo, exec_lo, s39
	s_cbranch_vccnz .LBB17_20
.LBB17_18:                              ;   in Loop: Header=BB17_14 Depth=2
	v_mov_b32_e32 v2, s39
	s_and_saveexec_b32 s39, s38
	s_cbranch_execz .LBB17_13
	s_branch .LBB17_23
.LBB17_19:                              ;   in Loop: Header=BB17_14 Depth=2
	s_mov_b32 s39, -1
	s_mov_b32 s38, 0
                                        ; implicit-def: $vgpr1
	s_cbranch_execz .LBB17_18
.LBB17_20:                              ;   in Loop: Header=BB17_14 Depth=2
                                        ; implicit-def: $vgpr1
	s_and_saveexec_b32 s39, s1
; %bb.21:                               ;   in Loop: Header=BB17_14 Depth=2
	v_add_nc_u32_e32 v1, v14, v4
	s_or_b32 s38, s38, exec_lo
; %bb.22:                               ;   in Loop: Header=BB17_14 Depth=2
	s_or_b32 exec_lo, exec_lo, s39
	s_mov_b32 s39, 0
	s_delay_alu instid0(SALU_CYCLE_1)
	v_mov_b32_e32 v2, s39
	s_and_saveexec_b32 s39, s38
	s_cbranch_execz .LBB17_13
.LBB17_23:                              ;   in Loop: Header=BB17_14 Depth=2
	v_ashrrev_i32_e32 v2, 31, v1
	s_delay_alu instid0(VALU_DEP_1) | instskip(NEXT) | instid1(VALU_DEP_1)
	v_lshlrev_b64 v[1:2], 2, v[1:2]
	v_add_co_u32 v1, vcc_lo, s18, v1
	s_delay_alu instid0(VALU_DEP_2)
	v_add_co_ci_u32_e32 v2, vcc_lo, s19, v2, vcc_lo
	global_load_b32 v2, v[1:2], off
	s_branch .LBB17_13
.LBB17_24:                              ;   in Loop: Header=BB17_10 Depth=1
	s_or_b32 exec_lo, exec_lo, s27
; %bb.25:                               ;   in Loop: Header=BB17_10 Depth=1
	ds_load_b32 v1, v18 offset:5376
	s_waitcnt lgkmcnt(0)
	s_sub_i32 s26, s26, s17
	s_delay_alu instid0(SALU_CYCLE_1) | instskip(SKIP_3) | instid1(SALU_CYCLE_1)
	s_cmp_le_i32 s26, s25
	s_cselect_b32 s27, -1, 0
	v_cmp_ge_i32_e32 vcc_lo, s24, v1
	s_and_b32 s27, s27, vcc_lo
	s_and_not1_b32 vcc_lo, exec_lo, s27
	s_mov_b32 s27, 0
	s_cbranch_vccnz .LBB17_37
; %bb.26:                               ;   in Loop: Header=BB17_10 Depth=1
	s_mov_b32 s37, 0
	s_mov_b32 s38, 0
.LBB17_27:                              ;   Parent Loop BB17_10 Depth=1
                                        ; =>  This Inner Loop Header: Depth=2
	s_ashr_i32 s27, s26, 31
	s_mov_b32 s42, -1
	s_lshl_b64 s[40:41], s[26:27], 2
	s_delay_alu instid0(SALU_CYCLE_1) | instskip(SKIP_2) | instid1(SALU_CYCLE_1)
	s_add_u32 s40, s14, s40
	s_addc_u32 s41, s15, s41
	s_lshl_b32 s27, s38, 2
	v_mov_b32_e32 v1, s27
	s_load_b32 s27, s[40:41], 0x0
                                        ; implicit-def: $sgpr41
                                        ; implicit-def: $sgpr40
	ds_load_b32 v1, v1 offset:5376
	s_waitcnt lgkmcnt(0)
	s_sub_i32 s43, s27, s17
                                        ; implicit-def: $sgpr27
	s_delay_alu instid0(SALU_CYCLE_1)
	v_cmp_ge_i32_e32 vcc_lo, s43, v1
	v_readfirstlane_b32 s39, v1
	s_cbranch_vccz .LBB17_33
; %bb.28:                               ;   in Loop: Header=BB17_27 Depth=2
	s_delay_alu instid0(VALU_DEP_1)
	s_cmp_le_i32 s43, s39
                                        ; implicit-def: $sgpr27
                                        ; implicit-def: $sgpr41
                                        ; implicit-def: $sgpr40
	s_cbranch_scc0 .LBB17_30
; %bb.29:                               ;   in Loop: Header=BB17_27 Depth=2
	s_add_i32 s27, s38, s30
	s_lshl_b32 s40, s37, 2
	s_mul_i32 s27, s27, s34
	s_delay_alu instid0(SALU_CYCLE_1)
	v_dual_mov_b32 v1, s40 :: v_dual_mov_b32 v2, s27
	s_mul_i32 s40, s26, s34
	s_add_i32 s41, s26, 1
	v_mov_b32_e32 v3, s40
	s_add_i32 s40, s38, 1
	s_add_i32 s27, s37, 1
	s_mov_b32 s42, 0
	ds_store_2addr_stride64_b32 v1, v3, v2 offset0:17 offset1:19
.LBB17_30:                              ;   in Loop: Header=BB17_27 Depth=2
	s_and_not1_b32 vcc_lo, exec_lo, s42
	s_cbranch_vccnz .LBB17_32
; %bb.31:                               ;   in Loop: Header=BB17_27 Depth=2
	s_add_i32 s40, s38, 1
	s_mov_b32 s27, s37
	s_mov_b32 s41, s26
.LBB17_32:                              ;   in Loop: Header=BB17_27 Depth=2
	s_mov_b32 s42, 0
.LBB17_33:                              ;   in Loop: Header=BB17_27 Depth=2
	s_delay_alu instid0(SALU_CYCLE_1)
	s_and_not1_b32 vcc_lo, exec_lo, s42
	s_cbranch_vccnz .LBB17_35
; %bb.34:                               ;   in Loop: Header=BB17_27 Depth=2
	s_add_i32 s41, s26, 1
	s_mov_b32 s40, s38
	s_mov_b32 s27, s37
.LBB17_35:                              ;   in Loop: Header=BB17_27 Depth=2
	s_cmp_le_i32 s41, s25
	s_cselect_b32 s26, -1, 0
	s_cmp_le_i32 s39, s24
	s_cselect_b32 s37, -1, 0
	s_delay_alu instid0(SALU_CYCLE_1) | instskip(NEXT) | instid1(SALU_CYCLE_1)
	s_and_b32 s26, s26, s37
	s_and_b32 vcc_lo, exec_lo, s26
	s_cbranch_vccz .LBB17_37
; %bb.36:                               ;   in Loop: Header=BB17_27 Depth=2
	s_mov_b32 s37, s27
	s_mov_b32 s26, s41
	;; [unrolled: 1-line block ×3, first 2 shown]
	s_branch .LBB17_27
.LBB17_37:                              ;   in Loop: Header=BB17_10 Depth=1
	s_add_u32 s22, s6, s22
	s_addc_u32 s23, s7, s23
	s_waitcnt lgkmcnt(0)
	buffer_gl0_inv
.LBB17_38:                              ;   Parent Loop BB17_10 Depth=1
                                        ; =>  This Inner Loop Header: Depth=2
	global_load_b32 v1, v18, s[22:23] glc
	s_waitcnt vmcnt(0)
	v_cmp_eq_u32_e32 vcc_lo, 0, v1
	s_cbranch_vccnz .LBB17_38
; %bb.39:                               ;   in Loop: Header=BB17_10 Depth=1
	buffer_gl1_inv
	buffer_gl0_inv
	s_and_saveexec_b32 s22, s0
	s_cbranch_execz .LBB17_52
; %bb.40:                               ;   in Loop: Header=BB17_10 Depth=1
	s_mul_i32 s25, s25, s3
	v_mov_b32_e32 v19, v5
	v_dual_mov_b32 v4, v9 :: v_dual_add_nc_u32 v1, s25, v0
	s_mov_b32 s23, 0
	s_delay_alu instid0(VALU_DEP_1)
	v_mul_lo_u32 v3, v1, s3
	s_branch .LBB17_42
.LBB17_41:                              ;   in Loop: Header=BB17_42 Depth=2
	s_or_b32 exec_lo, exec_lo, s26
	v_add_nc_u32_e32 v19, 4, v19
	s_waitcnt vmcnt(0)
	ds_store_b32 v4, v2
	v_add_nc_u32_e32 v4, 16, v4
	v_cmp_le_i32_e32 vcc_lo, s3, v19
	s_or_b32 s23, vcc_lo, s23
	s_delay_alu instid0(SALU_CYCLE_1)
	s_and_not1_b32 exec_lo, exec_lo, s23
	s_cbranch_execz .LBB17_52
.LBB17_42:                              ;   Parent Loop BB17_10 Depth=1
                                        ; =>  This Inner Loop Header: Depth=2
	s_and_b32 vcc_lo, exec_lo, s31
	s_cbranch_vccz .LBB17_47
; %bb.43:                               ;   in Loop: Header=BB17_42 Depth=2
	s_mov_b32 s26, 0
	s_mov_b32 s24, 0
                                        ; implicit-def: $vgpr1
	s_and_saveexec_b32 s37, s1
	s_delay_alu instid0(SALU_CYCLE_1)
	s_xor_b32 s37, exec_lo, s37
; %bb.44:                               ;   in Loop: Header=BB17_42 Depth=2
	v_add_nc_u32_e32 v20, s25, v19
	s_mov_b32 s24, exec_lo
	s_delay_alu instid0(VALU_DEP_1)
	v_mad_u64_u32 v[1:2], null, v20, s3, v[0:1]
; %bb.45:                               ;   in Loop: Header=BB17_42 Depth=2
	s_or_b32 exec_lo, exec_lo, s37
	s_delay_alu instid0(SALU_CYCLE_1)
	s_and_b32 vcc_lo, exec_lo, s26
	s_cbranch_vccnz .LBB17_48
.LBB17_46:                              ;   in Loop: Header=BB17_42 Depth=2
	v_mov_b32_e32 v2, s26
	s_and_saveexec_b32 s26, s24
	s_cbranch_execz .LBB17_41
	s_branch .LBB17_51
.LBB17_47:                              ;   in Loop: Header=BB17_42 Depth=2
	s_mov_b32 s26, -1
	s_mov_b32 s24, 0
                                        ; implicit-def: $vgpr1
	s_cbranch_execz .LBB17_46
.LBB17_48:                              ;   in Loop: Header=BB17_42 Depth=2
                                        ; implicit-def: $vgpr1
	s_and_saveexec_b32 s26, s1
; %bb.49:                               ;   in Loop: Header=BB17_42 Depth=2
	v_add_nc_u32_e32 v1, v3, v19
	s_or_b32 s24, s24, exec_lo
; %bb.50:                               ;   in Loop: Header=BB17_42 Depth=2
	s_or_b32 exec_lo, exec_lo, s26
	s_mov_b32 s26, 0
	s_delay_alu instid0(SALU_CYCLE_1)
	v_mov_b32_e32 v2, s26
	s_and_saveexec_b32 s26, s24
	s_cbranch_execz .LBB17_41
.LBB17_51:                              ;   in Loop: Header=BB17_42 Depth=2
	v_ashrrev_i32_e32 v2, 31, v1
	s_delay_alu instid0(VALU_DEP_1) | instskip(NEXT) | instid1(VALU_DEP_1)
	v_lshlrev_b64 v[1:2], 2, v[1:2]
	v_add_co_u32 v1, vcc_lo, s18, v1
	s_delay_alu instid0(VALU_DEP_2)
	v_add_co_ci_u32_e32 v2, vcc_lo, s19, v2, vcc_lo
	global_load_b32 v2, v[1:2], off
	s_branch .LBB17_41
.LBB17_52:                              ;   in Loop: Header=BB17_10 Depth=1
	s_or_b32 exec_lo, exec_lo, s22
; %bb.53:                               ;   in Loop: Header=BB17_10 Depth=1
	s_cmp_lt_i32 s27, 2
	s_cbranch_scc1 .LBB17_69
; %bb.54:                               ;   in Loop: Header=BB17_10 Depth=1
	s_add_i32 s22, s27, -2
	s_mov_b32 s23, 0
	s_branch .LBB17_56
.LBB17_55:                              ;   in Loop: Header=BB17_56 Depth=2
	s_or_b32 exec_lo, exec_lo, s24
	s_add_i32 s24, s23, 1
	s_cmp_eq_u32 s23, s22
	s_mov_b32 s23, s24
	s_cbranch_scc1 .LBB17_69
.LBB17_56:                              ;   Parent Loop BB17_10 Depth=1
                                        ; =>  This Loop Header: Depth=2
                                        ;       Child Loop BB17_59 Depth 3
	s_and_saveexec_b32 s24, s0
	s_cbranch_execz .LBB17_55
; %bb.57:                               ;   in Loop: Header=BB17_56 Depth=2
	s_lshl_b32 s25, s23, 2
	v_mov_b32_e32 v23, v5
	v_mov_b32_e32 v1, s25
	s_mov_b32 s25, 0
	ds_load_2addr_stride64_b32 v[1:2], v1 offset0:17 offset1:19
	s_waitcnt lgkmcnt(0)
	v_add_nc_u32_e32 v20, v0, v2
	v_add_nc_u32_e32 v19, v2, v10
	;; [unrolled: 1-line block ×4, first 2 shown]
	s_branch .LBB17_59
.LBB17_58:                              ;   in Loop: Header=BB17_59 Depth=3
	v_lshlrev_b32_e32 v1, 2, v23
	v_add_nc_u32_e32 v23, 4, v23
	v_add_nc_u32_e32 v22, s35, v22
	;; [unrolled: 1-line block ×3, first 2 shown]
	s_delay_alu instid0(VALU_DEP_4) | instskip(NEXT) | instid1(VALU_DEP_4)
	v_mad_u32_u24 v1, 0x44, v0, v1
	v_cmp_le_i32_e32 vcc_lo, s3, v23
	ds_load_b32 v3, v1 offset:1088
	s_or_b32 s25, vcc_lo, s25
	s_waitcnt lgkmcnt(0)
	v_add_f32_e32 v2, v2, v3
	ds_store_b32 v1, v2 offset:1088
	s_and_not1_b32 exec_lo, exec_lo, s25
	s_cbranch_execz .LBB17_55
.LBB17_59:                              ;   Parent Loop BB17_10 Depth=1
                                        ;     Parent Loop BB17_56 Depth=2
                                        ; =>    This Inner Loop Header: Depth=3
	s_delay_alu instid0(VALU_DEP_2)
	v_dual_mov_b32 v24, 0 :: v_dual_mov_b32 v1, v21
	v_mov_b32_e32 v3, v20
	s_mov_b32 s26, 0
	s_and_b32 vcc_lo, exec_lo, s31
	s_cbranch_vccz .LBB17_63
.LBB17_60:                              ;   in Loop: Header=BB17_59 Depth=3
	v_ashrrev_i32_e32 v2, 31, v1
	v_mov_b32_e32 v4, 0
	s_delay_alu instid0(VALU_DEP_2) | instskip(NEXT) | instid1(VALU_DEP_1)
	v_lshlrev_b64 v[25:26], 2, v[1:2]
	v_add_co_u32 v25, vcc_lo, s18, v25
	s_delay_alu instid0(VALU_DEP_2)
	v_add_co_ci_u32_e32 v26, vcc_lo, s19, v26, vcc_lo
	global_load_b32 v2, v[25:26], off
	s_and_saveexec_b32 s27, s1
	s_cbranch_execz .LBB17_62
; %bb.61:                               ;   in Loop: Header=BB17_59 Depth=3
	v_ashrrev_i32_e32 v4, 31, v3
	s_delay_alu instid0(VALU_DEP_1) | instskip(NEXT) | instid1(VALU_DEP_1)
	v_lshlrev_b64 v[25:26], 2, v[3:4]
	v_add_co_u32 v25, vcc_lo, s18, v25
	s_delay_alu instid0(VALU_DEP_2)
	v_add_co_ci_u32_e32 v26, vcc_lo, s19, v26, vcc_lo
	global_load_b32 v4, v[25:26], off
.LBB17_62:                              ;   in Loop: Header=BB17_59 Depth=3
	s_or_b32 exec_lo, exec_lo, s27
	s_waitcnt vmcnt(0)
	v_fma_f32 v2, v2, v4, v24
	s_branch .LBB17_67
.LBB17_63:                              ;   in Loop: Header=BB17_59 Depth=3
                                        ; implicit-def: $vgpr2
	s_cbranch_execz .LBB17_67
; %bb.64:                               ;   in Loop: Header=BB17_59 Depth=3
	v_dual_mov_b32 v4, 0 :: v_dual_add_nc_u32 v25, s26, v22
	s_delay_alu instid0(VALU_DEP_1) | instskip(NEXT) | instid1(VALU_DEP_1)
	v_ashrrev_i32_e32 v26, 31, v25
	v_lshlrev_b64 v[25:26], 2, v[25:26]
	s_delay_alu instid0(VALU_DEP_1) | instskip(NEXT) | instid1(VALU_DEP_2)
	v_add_co_u32 v25, vcc_lo, s18, v25
	v_add_co_ci_u32_e32 v26, vcc_lo, s19, v26, vcc_lo
	global_load_b32 v2, v[25:26], off
	s_and_saveexec_b32 s27, s1
	s_cbranch_execz .LBB17_66
; %bb.65:                               ;   in Loop: Header=BB17_59 Depth=3
	v_add_nc_u32_e32 v25, s26, v19
	s_delay_alu instid0(VALU_DEP_1) | instskip(NEXT) | instid1(VALU_DEP_1)
	v_ashrrev_i32_e32 v26, 31, v25
	v_lshlrev_b64 v[25:26], 2, v[25:26]
	s_delay_alu instid0(VALU_DEP_1) | instskip(NEXT) | instid1(VALU_DEP_2)
	v_add_co_u32 v25, vcc_lo, s18, v25
	v_add_co_ci_u32_e32 v26, vcc_lo, s19, v26, vcc_lo
	global_load_b32 v4, v[25:26], off
.LBB17_66:                              ;   in Loop: Header=BB17_59 Depth=3
	s_or_b32 exec_lo, exec_lo, s27
	s_waitcnt vmcnt(0)
	v_fmac_f32_e32 v24, v2, v4
	s_delay_alu instid0(VALU_DEP_1)
	v_mov_b32_e32 v2, v24
.LBB17_67:                              ;   in Loop: Header=BB17_59 Depth=3
	v_add_nc_u32_e32 v3, s3, v3
	v_add_nc_u32_e32 v1, s3, v1
	s_add_i32 s26, s26, 1
	s_delay_alu instid0(SALU_CYCLE_1)
	s_cmp_eq_u32 s3, s26
	s_cbranch_scc1 .LBB17_58
; %bb.68:                               ;   in Loop: Header=BB17_59 Depth=3
	v_mov_b32_e32 v24, v2
	s_and_b32 vcc_lo, exec_lo, s31
	s_cbranch_vccnz .LBB17_60
	s_branch .LBB17_63
.LBB17_69:                              ;   in Loop: Header=BB17_10 Depth=1
	s_and_not1_b32 vcc_lo, exec_lo, s33
	s_waitcnt lgkmcnt(0)
	buffer_gl0_inv
	s_cbranch_vccnz .LBB17_82
; %bb.70:                               ;   in Loop: Header=BB17_10 Depth=1
	v_mov_b32_e32 v1, v15
	s_mov_b32 s22, 0
	s_mov_b32 s23, 0
	s_branch .LBB17_72
.LBB17_71:                              ;   in Loop: Header=BB17_72 Depth=2
	s_or_b32 exec_lo, exec_lo, s24
	v_add_nc_u32_e32 v1, 4, v1
	s_add_i32 s23, s23, 1
	s_addk_i32 s22, 0x44
	s_cmp_eq_u32 s23, s3
	s_waitcnt lgkmcnt(0)
	buffer_gl0_inv
	s_cbranch_scc1 .LBB17_82
.LBB17_72:                              ;   Parent Loop BB17_10 Depth=1
                                        ; =>  This Loop Header: Depth=2
                                        ;       Child Loop BB17_78 Depth 3
                                        ;       Child Loop BB17_81 Depth 3
	s_lshl_b32 s24, s23, 2
	s_mul_i32 s25, s23, 0x44
	v_mad_u32_u24 v3, 0x44, v0, s24
	s_add_i32 s25, s24, s25
	s_delay_alu instid0(SALU_CYCLE_1)
	v_mov_b32_e32 v2, s25
	ds_load_b32 v4, v2
	ds_load_b32 v2, v3 offset:2176
	s_waitcnt lgkmcnt(1)
	v_cmp_neq_f32_e32 vcc_lo, 0, v4
	v_cndmask_b32_e32 v4, 1.0, v4, vcc_lo
	s_or_b32 s24, vcc_lo, s2
	s_delay_alu instid0(SALU_CYCLE_1) | instskip(NEXT) | instid1(SALU_CYCLE_1)
	s_xor_b32 s25, s24, -1
	s_and_saveexec_b32 s24, s25
	s_cbranch_execz .LBB17_76
; %bb.73:                               ;   in Loop: Header=BB17_72 Depth=2
	v_mbcnt_lo_u32_b32 v4, exec_lo, 0
	s_mov_b32 s25, exec_lo
	s_delay_alu instid0(VALU_DEP_1)
	v_cmpx_eq_u32_e32 0, v4
	s_cbranch_execz .LBB17_75
; %bb.74:                               ;   in Loop: Header=BB17_72 Depth=2
	v_mov_b32_e32 v4, s36
	global_atomic_min_i32 v18, v4, s[10:11]
.LBB17_75:                              ;   in Loop: Header=BB17_72 Depth=2
	s_or_b32 exec_lo, exec_lo, s25
	v_mov_b32_e32 v4, 1.0
.LBB17_76:                              ;   in Loop: Header=BB17_72 Depth=2
	s_or_b32 exec_lo, exec_lo, s24
	v_lshl_add_u32 v19, s23, 2, v7
	s_cmp_eq_u32 s23, 0
	ds_load_b32 v19, v19 offset:1088
	s_cbranch_scc1 .LBB17_79
; %bb.77:                               ;   in Loop: Header=BB17_72 Depth=2
	v_mov_b32_e32 v20, v13
	s_mov_b32 s24, 0
	s_mov_b32 s25, s22
.LBB17_78:                              ;   Parent Loop BB17_10 Depth=1
                                        ;     Parent Loop BB17_72 Depth=2
                                        ; =>    This Inner Loop Header: Depth=3
	s_delay_alu instid0(SALU_CYCLE_1)
	v_mov_b32_e32 v21, s25
	s_add_i32 s24, s24, 1
	s_add_i32 s25, s25, 4
	s_cmp_ge_u32 s24, s23
	ds_load_b32 v22, v20
	ds_load_b32 v21, v21
	s_waitcnt lgkmcnt(0)
	v_dual_fmac_f32 v19, v21, v22 :: v_dual_add_nc_u32 v20, 4, v20
	s_cbranch_scc0 .LBB17_78
.LBB17_79:                              ;   in Loop: Header=BB17_72 Depth=2
	s_waitcnt lgkmcnt(0)
	s_delay_alu instid0(VALU_DEP_1) | instskip(NEXT) | instid1(VALU_DEP_1)
	v_sub_f32_e32 v2, v2, v19
	v_div_scale_f32 v19, null, v4, v4, v2
	v_div_scale_f32 v22, vcc_lo, v2, v4, v2
	s_delay_alu instid0(VALU_DEP_2) | instskip(SKIP_2) | instid1(VALU_DEP_1)
	v_rcp_f32_e32 v20, v19
	s_waitcnt_depctr 0xfff
	v_fma_f32 v21, -v19, v20, 1.0
	v_dual_fmac_f32 v20, v21, v20 :: v_dual_add_nc_u32 v3, 0x880, v3
	s_delay_alu instid0(VALU_DEP_1) | instskip(NEXT) | instid1(VALU_DEP_1)
	v_mul_f32_e32 v21, v22, v20
	v_fma_f32 v23, -v19, v21, v22
	s_delay_alu instid0(VALU_DEP_1) | instskip(NEXT) | instid1(VALU_DEP_1)
	v_fmac_f32_e32 v21, v23, v20
	v_fma_f32 v19, -v19, v21, v22
	s_delay_alu instid0(VALU_DEP_1) | instskip(NEXT) | instid1(VALU_DEP_1)
	v_div_fmas_f32 v19, v19, v20, v21
	v_div_fixup_f32 v2, v19, v4, v2
	ds_store_b32 v3, v2
	s_waitcnt lgkmcnt(0)
	s_waitcnt_vscnt null, 0x0
	buffer_gl0_inv
	s_and_saveexec_b32 s24, s0
	s_cbranch_execz .LBB17_71
; %bb.80:                               ;   in Loop: Header=BB17_72 Depth=2
	v_dual_mov_b32 v3, v16 :: v_dual_mov_b32 v4, v1
	v_mov_b32_e32 v19, v5
	s_mov_b32 s25, 0
.LBB17_81:                              ;   Parent Loop BB17_10 Depth=1
                                        ;     Parent Loop BB17_72 Depth=2
                                        ; =>    This Inner Loop Header: Depth=3
	ds_load_b32 v20, v4
	ds_load_b32 v21, v3
	v_add_nc_u32_e32 v19, 4, v19
	v_add_nc_u32_e32 v4, 0x110, v4
	s_delay_alu instid0(VALU_DEP_2)
	v_cmp_le_i32_e32 vcc_lo, s3, v19
	s_or_b32 s25, vcc_lo, s25
	s_waitcnt lgkmcnt(0)
	v_fmac_f32_e32 v21, v2, v20
	ds_store_b32 v3, v21
	v_add_nc_u32_e32 v3, 16, v3
	s_and_not1_b32 exec_lo, exec_lo, s25
	s_cbranch_execnz .LBB17_81
	s_branch .LBB17_71
.LBB17_82:                              ;   in Loop: Header=BB17_10 Depth=1
	s_and_saveexec_b32 s22, s0
	s_cbranch_execz .LBB17_9
; %bb.83:                               ;   in Loop: Header=BB17_10 Depth=1
	v_mov_b32_e32 v3, v17
	v_mov_b32_e32 v4, v5
	s_mov_b32 s23, 0
	s_set_inst_prefetch_distance 0x1
	s_branch .LBB17_86
	.p2align	6
.LBB17_84:                              ;   in Loop: Header=BB17_86 Depth=2
	s_delay_alu instid0(VALU_DEP_1) | instskip(NEXT) | instid1(VALU_DEP_1)
	v_ashrrev_i32_e32 v2, 31, v1
	v_lshlrev_b64 v[1:2], 2, v[1:2]
	s_delay_alu instid0(VALU_DEP_1) | instskip(NEXT) | instid1(VALU_DEP_2)
	v_add_co_u32 v1, vcc_lo, s18, v1
	v_add_co_ci_u32_e32 v2, vcc_lo, s19, v2, vcc_lo
	s_waitcnt lgkmcnt(0)
	global_store_b32 v[1:2], v19, off
.LBB17_85:                              ;   in Loop: Header=BB17_86 Depth=2
	s_or_b32 exec_lo, exec_lo, s24
	v_add_nc_u32_e32 v4, 4, v4
	v_add_nc_u32_e32 v3, 16, v3
	s_delay_alu instid0(VALU_DEP_2) | instskip(SKIP_1) | instid1(SALU_CYCLE_1)
	v_cmp_le_i32_e32 vcc_lo, s3, v4
	s_or_b32 s23, vcc_lo, s23
	s_and_not1_b32 exec_lo, exec_lo, s23
	s_cbranch_execz .LBB17_9
.LBB17_86:                              ;   Parent Loop BB17_10 Depth=1
                                        ; =>  This Inner Loop Header: Depth=2
	s_and_saveexec_b32 s24, s1
	s_cbranch_execz .LBB17_85
; %bb.87:                               ;   in Loop: Header=BB17_86 Depth=2
	ds_load_b32 v19, v3
	s_and_b32 vcc_lo, exec_lo, s31
	s_cbranch_vccz .LBB17_89
; %bb.88:                               ;   in Loop: Header=BB17_86 Depth=2
	v_add_nc_u32_e32 v20, s21, v4
	s_delay_alu instid0(VALU_DEP_1)
	v_mad_u64_u32 v[1:2], null, v20, s3, v[0:1]
	s_cbranch_execnz .LBB17_84
	s_branch .LBB17_90
.LBB17_89:                              ;   in Loop: Header=BB17_86 Depth=2
                                        ; implicit-def: $vgpr1
.LBB17_90:                              ;   in Loop: Header=BB17_86 Depth=2
	v_add_nc_u32_e32 v1, v14, v4
	s_branch .LBB17_84
.LBB17_91:                              ;   in Loop: Header=BB17_10 Depth=1
                                        ; implicit-def: $sgpr20
                                        ; implicit-def: $vgpr14
	s_cbranch_execz .LBB17_10
.LBB17_92:
	v_cmp_gt_i32_e64 s0, s3, v5
	s_delay_alu instid0(VALU_DEP_1)
	s_and_saveexec_b32 s2, s0
	s_cbranch_execz .LBB17_105
; %bb.93:
	s_mul_i32 s4, s28, s3
	v_cmp_gt_i32_e64 s1, s3, v0
	v_add_nc_u32_e32 v1, s4, v0
	v_add3_u32 v4, v7, v6, 0x880
	v_mov_b32_e32 v9, v5
	s_cmp_lg_u32 s29, 0
	s_mov_b32 s5, 0
	v_mul_lo_u32 v3, v1, s3
	s_cselect_b32 s12, -1, 0
	s_branch .LBB17_95
.LBB17_94:                              ;   in Loop: Header=BB17_95 Depth=1
	s_or_b32 exec_lo, exec_lo, s14
	v_add_nc_u32_e32 v9, 4, v9
	s_waitcnt vmcnt(0)
	ds_store_b32 v4, v2
	v_add_nc_u32_e32 v4, 16, v4
	v_cmp_le_i32_e32 vcc_lo, s3, v9
	s_or_b32 s5, vcc_lo, s5
	s_delay_alu instid0(SALU_CYCLE_1)
	s_and_not1_b32 exec_lo, exec_lo, s5
	s_cbranch_execz .LBB17_105
.LBB17_95:                              ; =>This Inner Loop Header: Depth=1
	s_and_b32 vcc_lo, exec_lo, s12
	s_cbranch_vccz .LBB17_100
; %bb.96:                               ;   in Loop: Header=BB17_95 Depth=1
	s_mov_b32 s14, 0
	s_mov_b32 s13, 0
                                        ; implicit-def: $vgpr1
	s_and_saveexec_b32 s15, s1
	s_delay_alu instid0(SALU_CYCLE_1)
	s_xor_b32 s15, exec_lo, s15
; %bb.97:                               ;   in Loop: Header=BB17_95 Depth=1
	v_add_nc_u32_e32 v10, s4, v9
	s_mov_b32 s13, exec_lo
	s_delay_alu instid0(VALU_DEP_1)
	v_mad_u64_u32 v[1:2], null, v10, s3, v[0:1]
; %bb.98:                               ;   in Loop: Header=BB17_95 Depth=1
	s_or_b32 exec_lo, exec_lo, s15
	s_delay_alu instid0(SALU_CYCLE_1)
	s_and_b32 vcc_lo, exec_lo, s14
	s_cbranch_vccnz .LBB17_101
.LBB17_99:                              ;   in Loop: Header=BB17_95 Depth=1
	v_mov_b32_e32 v2, s14
	s_and_saveexec_b32 s14, s13
	s_cbranch_execz .LBB17_94
	s_branch .LBB17_104
.LBB17_100:                             ;   in Loop: Header=BB17_95 Depth=1
	s_mov_b32 s14, -1
	s_mov_b32 s13, 0
                                        ; implicit-def: $vgpr1
	s_cbranch_execz .LBB17_99
.LBB17_101:                             ;   in Loop: Header=BB17_95 Depth=1
                                        ; implicit-def: $vgpr1
	s_and_saveexec_b32 s14, s1
; %bb.102:                              ;   in Loop: Header=BB17_95 Depth=1
	v_add_nc_u32_e32 v1, v3, v9
	s_or_b32 s13, s13, exec_lo
; %bb.103:                              ;   in Loop: Header=BB17_95 Depth=1
	s_or_b32 exec_lo, exec_lo, s14
	s_mov_b32 s14, 0
	s_delay_alu instid0(SALU_CYCLE_1)
	v_mov_b32_e32 v2, s14
	s_and_saveexec_b32 s14, s13
	s_cbranch_execz .LBB17_94
.LBB17_104:                             ;   in Loop: Header=BB17_95 Depth=1
	v_ashrrev_i32_e32 v2, 31, v1
	s_delay_alu instid0(VALU_DEP_1) | instskip(NEXT) | instid1(VALU_DEP_1)
	v_lshlrev_b64 v[1:2], 2, v[1:2]
	v_add_co_u32 v1, vcc_lo, s18, v1
	s_delay_alu instid0(VALU_DEP_2)
	v_add_co_ci_u32_e32 v2, vcc_lo, s19, v2, vcc_lo
	global_load_b32 v2, v[1:2], off
	s_branch .LBB17_94
.LBB17_105:
	s_or_b32 exec_lo, exec_lo, s2
; %bb.106:
	s_cmp_lt_i32 s3, 1
	s_waitcnt lgkmcnt(0)
	buffer_gl0_inv
	s_cbranch_scc1 .LBB17_119
; %bb.107:
	v_or_b32_e32 v1, v5, v0
	v_mad_u32_u24 v2, 0x44, v0, v8
	s_movk_i32 s2, 0x880
	v_add3_u32 v4, v7, v6, 0xcc0
	v_mad_u32_u24 v3, 0x44, v5, s2
	v_cmp_ne_u32_e64 s1, 0, v1
	v_dual_mov_b32 v8, 0 :: v_dual_add_nc_u32 v1, 0x880, v2
	v_add_nc_u32_e32 v2, 0xcc0, v2
	s_mov_b32 s4, 0
	s_add_i32 s5, s16, s17
	s_branch .LBB17_109
.LBB17_108:                             ;   in Loop: Header=BB17_109 Depth=1
	s_or_b32 exec_lo, exec_lo, s2
	v_add_nc_u32_e32 v3, 4, v3
	s_add_i32 s4, s4, 1
	s_waitcnt lgkmcnt(0)
	s_waitcnt_vscnt null, 0x0
	buffer_gl0_inv
	s_cmp_eq_u32 s4, s3
	s_cbranch_scc1 .LBB17_119
.LBB17_109:                             ; =>This Loop Header: Depth=1
                                        ;     Child Loop BB17_118 Depth 2
	s_mov_b32 s12, exec_lo
	v_cmpx_eq_u32_e64 s4, v0
	s_cbranch_execz .LBB17_111
; %bb.110:                              ;   in Loop: Header=BB17_109 Depth=1
	ds_load_b32 v9, v1
	ds_load_b32 v10, v2
	s_waitcnt lgkmcnt(0)
	v_sub_f32_e32 v9, v9, v10
	s_delay_alu instid0(VALU_DEP_1) | instskip(SKIP_1) | instid1(VALU_DEP_1)
	v_cmp_gt_f32_e32 vcc_lo, 0, v9
	v_cndmask_b32_e64 v9, v9, -v9, vcc_lo
	v_mul_f32_e32 v10, 0x4f800000, v9
	v_cmp_gt_f32_e32 vcc_lo, 0xf800000, v9
	s_delay_alu instid0(VALU_DEP_2) | instskip(NEXT) | instid1(VALU_DEP_1)
	v_cndmask_b32_e32 v9, v9, v10, vcc_lo
	v_sqrt_f32_e32 v10, v9
	s_waitcnt_depctr 0xfff
	v_add_nc_u32_e32 v11, -1, v10
	v_add_nc_u32_e32 v12, 1, v10
	s_delay_alu instid0(VALU_DEP_2) | instskip(NEXT) | instid1(VALU_DEP_2)
	v_fma_f32 v13, -v11, v10, v9
	v_fma_f32 v14, -v12, v10, v9
	s_delay_alu instid0(VALU_DEP_2) | instskip(NEXT) | instid1(VALU_DEP_1)
	v_cmp_ge_f32_e64 s2, 0, v13
	v_cndmask_b32_e64 v10, v10, v11, s2
	s_delay_alu instid0(VALU_DEP_3) | instskip(NEXT) | instid1(VALU_DEP_1)
	v_cmp_lt_f32_e64 s2, 0, v14
	v_cndmask_b32_e64 v10, v10, v12, s2
	s_delay_alu instid0(VALU_DEP_1) | instskip(NEXT) | instid1(VALU_DEP_1)
	v_mul_f32_e32 v11, 0x37800000, v10
	v_cndmask_b32_e32 v10, v10, v11, vcc_lo
	v_cmp_class_f32_e64 vcc_lo, v9, 0x260
	s_delay_alu instid0(VALU_DEP_2)
	v_cndmask_b32_e32 v9, v10, v9, vcc_lo
	ds_store_b32 v1, v9
.LBB17_111:                             ;   in Loop: Header=BB17_109 Depth=1
	s_or_b32 exec_lo, exec_lo, s12
	s_lshl_b32 s2, s4, 2
	s_mul_i32 s12, s4, 0x44
	s_waitcnt lgkmcnt(0)
	buffer_gl0_inv
	s_add_i32 s12, s12, s2
	s_delay_alu instid0(SALU_CYCLE_1)
	v_mov_b32_e32 v9, s12
	ds_load_b32 v11, v9 offset:2176
	v_mad_u32_u24 v9, 0x44, v0, s2
	ds_load_b32 v10, v9 offset:2176
	s_waitcnt lgkmcnt(1)
	v_cmp_neq_f32_e32 vcc_lo, 0, v11
	v_cndmask_b32_e32 v11, 1.0, v11, vcc_lo
	s_or_b32 s2, vcc_lo, s1
	s_delay_alu instid0(SALU_CYCLE_1) | instskip(NEXT) | instid1(SALU_CYCLE_1)
	s_xor_b32 s12, s2, -1
	s_and_saveexec_b32 s2, s12
	s_cbranch_execz .LBB17_115
; %bb.112:                              ;   in Loop: Header=BB17_109 Depth=1
	v_mbcnt_lo_u32_b32 v11, exec_lo, 0
	s_mov_b32 s12, exec_lo
	s_delay_alu instid0(VALU_DEP_1)
	v_cmpx_eq_u32_e32 0, v11
	s_cbranch_execz .LBB17_114
; %bb.113:                              ;   in Loop: Header=BB17_109 Depth=1
	v_mov_b32_e32 v11, s5
	global_atomic_min_i32 v8, v11, s[10:11]
.LBB17_114:                             ;   in Loop: Header=BB17_109 Depth=1
	s_or_b32 exec_lo, exec_lo, s12
	v_mov_b32_e32 v11, 1.0
.LBB17_115:                             ;   in Loop: Header=BB17_109 Depth=1
	s_or_b32 exec_lo, exec_lo, s2
	s_delay_alu instid0(SALU_CYCLE_1)
	s_mov_b32 s2, exec_lo
	v_cmpx_lt_u32_e64 s4, v0
	s_cbranch_execz .LBB17_108
; %bb.116:                              ;   in Loop: Header=BB17_109 Depth=1
	v_lshl_add_u32 v12, s4, 2, v7
	ds_load_b32 v12, v12 offset:3264
	s_waitcnt lgkmcnt(0)
	v_sub_f32_e32 v10, v10, v12
	s_delay_alu instid0(VALU_DEP_1) | instskip(SKIP_1) | instid1(VALU_DEP_2)
	v_div_scale_f32 v12, null, v11, v11, v10
	v_div_scale_f32 v15, vcc_lo, v10, v11, v10
	v_rcp_f32_e32 v13, v12
	s_waitcnt_depctr 0xfff
	v_fma_f32 v14, -v12, v13, 1.0
	s_delay_alu instid0(VALU_DEP_1) | instskip(NEXT) | instid1(VALU_DEP_1)
	v_fmac_f32_e32 v13, v14, v13
	v_mul_f32_e32 v14, v15, v13
	s_delay_alu instid0(VALU_DEP_1) | instskip(NEXT) | instid1(VALU_DEP_1)
	v_fma_f32 v16, -v12, v14, v15
	v_fmac_f32_e32 v14, v16, v13
	s_delay_alu instid0(VALU_DEP_1) | instskip(NEXT) | instid1(VALU_DEP_1)
	v_fma_f32 v12, -v12, v14, v15
	v_div_fmas_f32 v12, v12, v13, v14
	v_add_nc_u32_e32 v13, 0x880, v9
	s_delay_alu instid0(VALU_DEP_2)
	v_div_fixup_f32 v9, v12, v11, v10
	ds_store_b32 v13, v9
	s_waitcnt lgkmcnt(0)
	s_waitcnt_vscnt null, 0x0
	buffer_gl0_inv
	s_and_b32 exec_lo, exec_lo, s0
	s_cbranch_execz .LBB17_108
; %bb.117:                              ;   in Loop: Header=BB17_109 Depth=1
	v_dual_mov_b32 v10, v4 :: v_dual_mov_b32 v11, v3
	v_mov_b32_e32 v12, v5
	s_mov_b32 s12, 0
.LBB17_118:                             ;   Parent Loop BB17_109 Depth=1
                                        ; =>  This Inner Loop Header: Depth=2
	ds_load_b32 v13, v11
	ds_load_b32 v14, v10
	v_add_nc_u32_e32 v12, 4, v12
	v_add_nc_u32_e32 v11, 0x110, v11
	s_delay_alu instid0(VALU_DEP_2)
	v_cmp_le_i32_e32 vcc_lo, s3, v12
	s_or_b32 s12, vcc_lo, s12
	s_waitcnt lgkmcnt(0)
	v_fmac_f32_e32 v14, v9, v13
	ds_store_b32 v10, v14
	v_add_nc_u32_e32 v10, 16, v10
	s_and_not1_b32 exec_lo, exec_lo, s12
	s_cbranch_execnz .LBB17_118
	s_branch .LBB17_108
.LBB17_119:
	s_and_saveexec_b32 s1, s0
	s_cbranch_execz .LBB17_128
; %bb.120:
	s_mul_i32 s28, s28, s3
	v_add3_u32 v4, v7, v6, 0x880
	v_dual_mov_b32 v6, v5 :: v_dual_add_nc_u32 v1, s28, v0
	v_cmp_gt_i32_e64 s0, s3, v0
	s_cmp_lg_u32 s29, 0
	s_mov_b32 s2, 0
	s_delay_alu instid0(VALU_DEP_2)
	v_mul_lo_u32 v3, v1, s3
	s_cselect_b32 s4, -1, 0
	s_set_inst_prefetch_distance 0x1
	s_branch .LBB17_123
	.p2align	6
.LBB17_121:                             ;   in Loop: Header=BB17_123 Depth=1
	s_delay_alu instid0(VALU_DEP_1) | instskip(NEXT) | instid1(VALU_DEP_1)
	v_ashrrev_i32_e32 v2, 31, v1
	v_lshlrev_b64 v[1:2], 2, v[1:2]
	s_delay_alu instid0(VALU_DEP_1) | instskip(NEXT) | instid1(VALU_DEP_2)
	v_add_co_u32 v1, vcc_lo, s18, v1
	v_add_co_ci_u32_e32 v2, vcc_lo, s19, v2, vcc_lo
	s_waitcnt lgkmcnt(0)
	global_store_b32 v[1:2], v7, off
.LBB17_122:                             ;   in Loop: Header=BB17_123 Depth=1
	s_or_b32 exec_lo, exec_lo, s5
	v_add_nc_u32_e32 v6, 4, v6
	v_add_nc_u32_e32 v4, 16, v4
	s_delay_alu instid0(VALU_DEP_2) | instskip(SKIP_1) | instid1(SALU_CYCLE_1)
	v_cmp_le_i32_e32 vcc_lo, s3, v6
	s_or_b32 s2, vcc_lo, s2
	s_and_not1_b32 exec_lo, exec_lo, s2
	s_cbranch_execz .LBB17_128
.LBB17_123:                             ; =>This Inner Loop Header: Depth=1
	s_and_saveexec_b32 s5, s0
	s_cbranch_execz .LBB17_122
; %bb.124:                              ;   in Loop: Header=BB17_123 Depth=1
	ds_load_b32 v7, v4
	s_and_b32 vcc_lo, exec_lo, s4
	s_cbranch_vccz .LBB17_126
; %bb.125:                              ;   in Loop: Header=BB17_123 Depth=1
	v_add_nc_u32_e32 v8, s28, v6
	s_delay_alu instid0(VALU_DEP_1)
	v_mad_u64_u32 v[1:2], null, v8, s3, v[0:1]
	s_cbranch_execnz .LBB17_121
	s_branch .LBB17_127
.LBB17_126:                             ;   in Loop: Header=BB17_123 Depth=1
                                        ; implicit-def: $vgpr1
.LBB17_127:                             ;   in Loop: Header=BB17_123 Depth=1
	v_add_nc_u32_e32 v1, v3, v6
	s_branch .LBB17_121
.LBB17_128:
	s_set_inst_prefetch_distance 0x2
	s_or_b32 exec_lo, exec_lo, s1
	v_or_b32_e32 v1, v5, v0
	s_delay_alu instid0(VALU_DEP_1)
	v_cmp_eq_u32_e64 s3, 0, v1
.LBB17_129:
	s_delay_alu instid0(VALU_DEP_1)
	s_and_saveexec_b32 s0, s3
	s_cbranch_execnz .LBB17_137
.LBB17_130:
	s_nop 0
	s_sendmsg sendmsg(MSG_DEALLOC_VGPRS)
	s_endpgm
.LBB17_131:
	s_cbranch_execz .LBB17_129
; %bb.132:
	v_or_b32_e32 v0, v5, v0
	s_mov_b32 s0, exec_lo
	s_delay_alu instid0(VALU_DEP_1)
	v_cmpx_eq_u32_e32 0, v0
	s_cbranch_execz .LBB17_136
; %bb.133:
	v_mbcnt_lo_u32_b32 v0, exec_lo, 0
	s_mov_b32 s1, exec_lo
	s_delay_alu instid0(VALU_DEP_1)
	v_cmpx_eq_u32_e32 0, v0
	s_cbranch_execz .LBB17_135
; %bb.134:
	s_add_i32 s2, s16, s17
	s_delay_alu instid0(SALU_CYCLE_1)
	v_dual_mov_b32 v0, 0 :: v_dual_mov_b32 v1, s2
	global_atomic_min_i32 v0, v1, s[10:11]
.LBB17_135:
	s_or_b32 exec_lo, exec_lo, s1
	s_delay_alu instid0(SALU_CYCLE_1)
	s_or_b32 s3, s3, exec_lo
.LBB17_136:
	s_or_b32 exec_lo, exec_lo, s0
	s_and_saveexec_b32 s0, s3
	s_cbranch_execz .LBB17_130
.LBB17_137:
	v_dual_mov_b32 v0, 0 :: v_dual_mov_b32 v1, 1
	s_add_u32 s0, s6, s8
	s_addc_u32 s1, s7, s9
	s_waitcnt_vscnt null, 0x0
	global_store_b32 v0, v1, s[0:1]
	s_nop 0
	s_sendmsg sendmsg(MSG_DEALLOC_VGPRS)
	s_endpgm
	.section	.rodata,"a",@progbits
	.p2align	6, 0x0
	.amdhsa_kernel _ZN9rocsparseL18bsric0_9_16_kernelILi64ELi128ELi16EfEEv20rocsparse_direction_iiPKiS3_PT2_S3_PiS3_S6_21rocsparse_index_base_
		.amdhsa_group_segment_fixed_size 5888
		.amdhsa_private_segment_fixed_size 0
		.amdhsa_kernarg_size 76
		.amdhsa_user_sgpr_count 15
		.amdhsa_user_sgpr_dispatch_ptr 0
		.amdhsa_user_sgpr_queue_ptr 0
		.amdhsa_user_sgpr_kernarg_segment_ptr 1
		.amdhsa_user_sgpr_dispatch_id 0
		.amdhsa_user_sgpr_private_segment_size 0
		.amdhsa_wavefront_size32 1
		.amdhsa_uses_dynamic_stack 0
		.amdhsa_enable_private_segment 0
		.amdhsa_system_sgpr_workgroup_id_x 1
		.amdhsa_system_sgpr_workgroup_id_y 0
		.amdhsa_system_sgpr_workgroup_id_z 0
		.amdhsa_system_sgpr_workgroup_info 0
		.amdhsa_system_vgpr_workitem_id 1
		.amdhsa_next_free_vgpr 27
		.amdhsa_next_free_sgpr 44
		.amdhsa_reserve_vcc 1
		.amdhsa_float_round_mode_32 0
		.amdhsa_float_round_mode_16_64 0
		.amdhsa_float_denorm_mode_32 3
		.amdhsa_float_denorm_mode_16_64 3
		.amdhsa_dx10_clamp 1
		.amdhsa_ieee_mode 1
		.amdhsa_fp16_overflow 0
		.amdhsa_workgroup_processor_mode 1
		.amdhsa_memory_ordered 1
		.amdhsa_forward_progress 0
		.amdhsa_shared_vgpr_count 0
		.amdhsa_exception_fp_ieee_invalid_op 0
		.amdhsa_exception_fp_denorm_src 0
		.amdhsa_exception_fp_ieee_div_zero 0
		.amdhsa_exception_fp_ieee_overflow 0
		.amdhsa_exception_fp_ieee_underflow 0
		.amdhsa_exception_fp_ieee_inexact 0
		.amdhsa_exception_int_div_zero 0
	.end_amdhsa_kernel
	.section	.text._ZN9rocsparseL18bsric0_9_16_kernelILi64ELi128ELi16EfEEv20rocsparse_direction_iiPKiS3_PT2_S3_PiS3_S6_21rocsparse_index_base_,"axG",@progbits,_ZN9rocsparseL18bsric0_9_16_kernelILi64ELi128ELi16EfEEv20rocsparse_direction_iiPKiS3_PT2_S3_PiS3_S6_21rocsparse_index_base_,comdat
.Lfunc_end17:
	.size	_ZN9rocsparseL18bsric0_9_16_kernelILi64ELi128ELi16EfEEv20rocsparse_direction_iiPKiS3_PT2_S3_PiS3_S6_21rocsparse_index_base_, .Lfunc_end17-_ZN9rocsparseL18bsric0_9_16_kernelILi64ELi128ELi16EfEEv20rocsparse_direction_iiPKiS3_PT2_S3_PiS3_S6_21rocsparse_index_base_
                                        ; -- End function
	.section	.AMDGPU.csdata,"",@progbits
; Kernel info:
; codeLenInByte = 4208
; NumSgprs: 46
; NumVgprs: 27
; ScratchSize: 0
; MemoryBound: 0
; FloatMode: 240
; IeeeMode: 1
; LDSByteSize: 5888 bytes/workgroup (compile time only)
; SGPRBlocks: 5
; VGPRBlocks: 3
; NumSGPRsForWavesPerEU: 46
; NumVGPRsForWavesPerEU: 27
; Occupancy: 11
; WaveLimiterHint : 1
; COMPUTE_PGM_RSRC2:SCRATCH_EN: 0
; COMPUTE_PGM_RSRC2:USER_SGPR: 15
; COMPUTE_PGM_RSRC2:TRAP_HANDLER: 0
; COMPUTE_PGM_RSRC2:TGID_X_EN: 1
; COMPUTE_PGM_RSRC2:TGID_Y_EN: 0
; COMPUTE_PGM_RSRC2:TGID_Z_EN: 0
; COMPUTE_PGM_RSRC2:TIDIG_COMP_CNT: 1
	.section	.text._ZN9rocsparseL19bsric0_17_32_kernelILi64ELi128ELi32EfEEv20rocsparse_direction_iiPKiS3_PT2_S3_PiS3_S6_21rocsparse_index_base_,"axG",@progbits,_ZN9rocsparseL19bsric0_17_32_kernelILi64ELi128ELi32EfEEv20rocsparse_direction_iiPKiS3_PT2_S3_PiS3_S6_21rocsparse_index_base_,comdat
	.globl	_ZN9rocsparseL19bsric0_17_32_kernelILi64ELi128ELi32EfEEv20rocsparse_direction_iiPKiS3_PT2_S3_PiS3_S6_21rocsparse_index_base_ ; -- Begin function _ZN9rocsparseL19bsric0_17_32_kernelILi64ELi128ELi32EfEEv20rocsparse_direction_iiPKiS3_PT2_S3_PiS3_S6_21rocsparse_index_base_
	.p2align	8
	.type	_ZN9rocsparseL19bsric0_17_32_kernelILi64ELi128ELi32EfEEv20rocsparse_direction_iiPKiS3_PT2_S3_PiS3_S6_21rocsparse_index_base_,@function
_ZN9rocsparseL19bsric0_17_32_kernelILi64ELi128ELi32EfEEv20rocsparse_direction_iiPKiS3_PT2_S3_PiS3_S6_21rocsparse_index_base_: ; @_ZN9rocsparseL19bsric0_17_32_kernelILi64ELi128ELi32EfEEv20rocsparse_direction_iiPKiS3_PT2_S3_PiS3_S6_21rocsparse_index_base_
; %bb.0:
	s_load_b256 s[4:11], s[0:1], 0x28
	s_mov_b32 s2, s15
	s_mov_b32 s3, 0
	v_and_b32_e32 v5, 0x3ff, v0
	s_lshl_b64 s[12:13], s[2:3], 2
	v_bfe_u32 v0, v0, 10, 10
	s_waitcnt lgkmcnt(0)
	s_add_u32 s8, s8, s12
	s_addc_u32 s9, s9, s13
	s_load_b32 s16, s[8:9], 0x0
	s_waitcnt lgkmcnt(0)
	s_ashr_i32 s17, s16, 31
	s_delay_alu instid0(SALU_CYCLE_1) | instskip(NEXT) | instid1(SALU_CYCLE_1)
	s_lshl_b64 s[8:9], s[16:17], 2
	s_add_u32 s12, s4, s8
	s_addc_u32 s13, s5, s9
	s_load_b32 s28, s[12:13], 0x0
	s_load_b32 s17, s[0:1], 0x48
	s_waitcnt lgkmcnt(0)
	s_cmp_lg_u32 s28, -1
	s_cbranch_scc0 .LBB18_119
; %bb.1:
	s_clause 0x1
	s_load_b128 s[12:15], s[0:1], 0x10
	s_load_b64 s[18:19], s[0:1], 0x20
	v_lshlrev_b32_e32 v1, 1, v0
	v_lshlrev_b32_e32 v6, 2, v5
	s_waitcnt lgkmcnt(0)
	s_add_u32 s2, s12, s8
	s_addc_u32 s3, s13, s9
	s_load_b32 s2, s[2:3], 0x0
	s_waitcnt lgkmcnt(0)
	s_sub_i32 s30, s2, s17
	s_mov_b32 s2, exec_lo
	v_add3_u32 v1, v1, v5, s30
	s_delay_alu instid0(VALU_DEP_1)
	v_cmpx_ge_i32_e64 s28, v1
	s_cbranch_execz .LBB18_4
; %bb.2:
	v_lshlrev_b32_e32 v2, 3, v0
	s_mov_b32 s3, 0
	s_delay_alu instid0(VALU_DEP_1)
	v_add3_u32 v3, v2, v6, 0x3580
	.p2align	6
.LBB18_3:                               ; =>This Inner Loop Header: Depth=1
	v_ashrrev_i32_e32 v2, 31, v1
	s_delay_alu instid0(VALU_DEP_1) | instskip(SKIP_1) | instid1(VALU_DEP_2)
	v_lshlrev_b64 v[7:8], 2, v[1:2]
	v_add_nc_u32_e32 v1, 64, v1
	v_add_co_u32 v7, vcc_lo, s14, v7
	s_delay_alu instid0(VALU_DEP_3) | instskip(NEXT) | instid1(VALU_DEP_3)
	v_add_co_ci_u32_e32 v8, vcc_lo, s15, v8, vcc_lo
	v_cmp_lt_i32_e32 vcc_lo, s28, v1
	global_load_b32 v2, v[7:8], off
	s_or_b32 s3, vcc_lo, s3
	s_waitcnt vmcnt(0)
	v_subrev_nc_u32_e32 v2, s17, v2
	ds_store_b32 v3, v2
	v_add_nc_u32_e32 v3, 0x100, v3
	s_and_not1_b32 exec_lo, exec_lo, s3
	s_cbranch_execnz .LBB18_3
.LBB18_4:
	s_or_b32 exec_lo, exec_lo, s2
	v_mul_u32_u24_e32 v7, 0x84, v0
	s_mov_b32 s2, exec_lo
	v_cmpx_gt_u32_e32 32, v5
	s_cbranch_execz .LBB18_7
; %bb.5:
	v_add_nc_u32_e32 v1, -2, v5
	v_add3_u32 v2, v7, v6, 0x2100
	v_mov_b32_e32 v3, 0
	s_mov_b32 s3, 0
.LBB18_6:                               ; =>This Inner Loop Header: Depth=1
	s_delay_alu instid0(VALU_DEP_3) | instskip(SKIP_4) | instid1(SALU_CYCLE_1)
	v_add_nc_u32_e32 v1, 2, v1
	ds_store_b32 v2, v3
	v_add_nc_u32_e32 v2, 8, v2
	v_cmp_lt_u32_e32 vcc_lo, 29, v1
	s_or_b32 s3, vcc_lo, s3
	s_and_not1_b32 exec_lo, exec_lo, s3
	s_cbranch_execnz .LBB18_6
.LBB18_7:
	s_or_b32 exec_lo, exec_lo, s2
	s_clause 0x1
	s_load_b32 s3, s[0:1], 0x8
	s_load_b32 s29, s[0:1], 0x0
	s_cmp_ge_i32 s30, s28
	s_waitcnt lgkmcnt(0)
	buffer_gl0_inv
	v_cmp_gt_i32_e64 s0, s3, v5
	s_cbranch_scc1 .LBB18_80
; %bb.8:
	v_mad_u64_u32 v[1:2], null, s3, s30, v[0:1]
	v_or_b32_e32 v2, v5, v0
	v_mad_u32_u24 v9, 0x84, v0, v6
	s_cmp_eq_u32 s29, 0
	v_mul_lo_u32 v8, v0, s3
	v_mul_lo_u32 v10, v5, s3
	s_movk_i32 s20, 0x1080
	v_mul_lo_u32 v12, s3, v1
	s_cselect_b32 s31, -1, 0
	s_cmp_lg_u32 s29, 0
	v_cmp_gt_i32_e64 s1, s3, v0
	v_cmp_ne_u32_e64 s2, 0, v2
	v_mad_u32_u24 v11, 0x84, v0, s20
	v_mad_u32_u24 v13, 0x84, v5, s20
	v_add_nc_u32_e32 v14, 0x2100, v9
	v_dual_mov_b32 v16, 0 :: v_dual_add_nc_u32 v15, 0x1080, v9
	s_cselect_b32 s33, -1, 0
	s_cmp_gt_i32 s3, 0
	s_mul_i32 s35, s3, s3
	s_cselect_b32 s34, -1, 0
	s_lshl_b32 s36, s3, 1
	s_mov_b32 s20, s30
	s_branch .LBB18_10
.LBB18_9:                               ;   in Loop: Header=BB18_10 Depth=1
	s_set_inst_prefetch_distance 0x2
	s_or_b32 exec_lo, exec_lo, s22
	s_add_i32 s20, s20, 1
	v_add_nc_u32_e32 v12, s35, v12
	s_cmp_ge_i32 s20, s28
	s_waitcnt_vscnt null, 0x0
	buffer_gl1_inv
	buffer_gl0_inv
	s_cselect_b32 s21, -1, 0
	s_delay_alu instid0(SALU_CYCLE_1)
	s_and_b32 vcc_lo, exec_lo, s21
	s_cbranch_vccnz .LBB18_80
.LBB18_10:                              ; =>This Loop Header: Depth=1
                                        ;     Child Loop BB18_14 Depth 2
                                        ;     Child Loop BB18_27 Depth 2
	;; [unrolled: 1-line block ×4, first 2 shown]
                                        ;       Child Loop BB18_45 Depth 3
                                        ;     Child Loop BB18_58 Depth 2
                                        ;       Child Loop BB18_65 Depth 3
                                        ;       Child Loop BB18_69 Depth 3
                                        ;     Child Loop BB18_74 Depth 2
	s_ashr_i32 s21, s20, 31
	s_delay_alu instid0(SALU_CYCLE_1) | instskip(NEXT) | instid1(SALU_CYCLE_1)
	s_lshl_b64 s[22:23], s[20:21], 2
	s_add_u32 s22, s14, s22
	s_addc_u32 s23, s15, s23
	s_load_b32 s37, s[22:23], 0x0
	s_waitcnt lgkmcnt(0)
	s_sub_i32 s24, s37, s17
	s_delay_alu instid0(SALU_CYCLE_1) | instskip(NEXT) | instid1(SALU_CYCLE_1)
	s_ashr_i32 s25, s24, 31
	s_lshl_b64 s[22:23], s[24:25], 2
	s_delay_alu instid0(SALU_CYCLE_1)
	s_add_u32 s26, s4, s22
	s_addc_u32 s27, s5, s23
	s_load_b32 s25, s[26:27], 0x0
	s_waitcnt lgkmcnt(0)
	s_cmp_eq_u32 s25, -1
	s_cbranch_scc1 .LBB18_79
; %bb.11:                               ;   in Loop: Header=BB18_10 Depth=1
	s_add_u32 s26, s12, s22
	s_addc_u32 s27, s13, s23
	s_mul_i32 s21, s20, s3
	s_load_b32 s26, s[26:27], 0x0
	s_and_saveexec_b32 s27, s0
	s_cbranch_execz .LBB18_24
; %bb.12:                               ;   in Loop: Header=BB18_10 Depth=1
	v_mov_b32_e32 v3, v9
	v_mov_b32_e32 v4, v5
	s_mov_b32 s38, 0
	s_set_inst_prefetch_distance 0x1
	s_branch .LBB18_14
	.p2align	6
.LBB18_13:                              ;   in Loop: Header=BB18_14 Depth=2
	s_or_b32 exec_lo, exec_lo, s40
	v_add_nc_u32_e32 v4, 2, v4
	s_waitcnt vmcnt(0)
	ds_store_b32 v3, v2 offset:4224
	ds_store_b32 v3, v16
	v_add_nc_u32_e32 v3, 8, v3
	v_cmp_le_i32_e32 vcc_lo, s3, v4
	s_or_b32 s38, vcc_lo, s38
	s_delay_alu instid0(SALU_CYCLE_1)
	s_and_not1_b32 exec_lo, exec_lo, s38
	s_cbranch_execz .LBB18_24
.LBB18_14:                              ;   Parent Loop BB18_10 Depth=1
                                        ; =>  This Inner Loop Header: Depth=2
	s_and_b32 vcc_lo, exec_lo, s33
	s_cbranch_vccz .LBB18_18
; %bb.15:                               ;   in Loop: Header=BB18_14 Depth=2
	s_mov_b32 s40, 0
	s_mov_b32 s39, 0
                                        ; implicit-def: $vgpr1
	s_and_saveexec_b32 s41, s1
	s_delay_alu instid0(SALU_CYCLE_1)
	s_xor_b32 s41, exec_lo, s41
; %bb.16:                               ;   in Loop: Header=BB18_14 Depth=2
	v_add_nc_u32_e32 v17, s21, v4
	s_mov_b32 s39, exec_lo
	s_delay_alu instid0(VALU_DEP_1)
	v_mad_u64_u32 v[1:2], null, v17, s3, v[0:1]
; %bb.17:                               ;   in Loop: Header=BB18_14 Depth=2
	s_or_b32 exec_lo, exec_lo, s41
	s_delay_alu instid0(SALU_CYCLE_1)
	s_and_b32 vcc_lo, exec_lo, s40
	s_cbranch_vccnz .LBB18_19
	s_branch .LBB18_22
.LBB18_18:                              ;   in Loop: Header=BB18_14 Depth=2
	s_mov_b32 s40, -1
	s_mov_b32 s39, 0
                                        ; implicit-def: $vgpr1
	s_cbranch_execz .LBB18_22
.LBB18_19:                              ;   in Loop: Header=BB18_14 Depth=2
                                        ; implicit-def: $vgpr1
	s_and_saveexec_b32 s40, s1
; %bb.20:                               ;   in Loop: Header=BB18_14 Depth=2
	v_add_nc_u32_e32 v1, v12, v4
	s_or_b32 s39, s39, exec_lo
; %bb.21:                               ;   in Loop: Header=BB18_14 Depth=2
	s_or_b32 exec_lo, exec_lo, s40
	s_mov_b32 s40, 0
.LBB18_22:                              ;   in Loop: Header=BB18_14 Depth=2
	s_delay_alu instid0(SALU_CYCLE_1)
	v_mov_b32_e32 v2, s40
	s_and_saveexec_b32 s40, s39
	s_cbranch_execz .LBB18_13
; %bb.23:                               ;   in Loop: Header=BB18_14 Depth=2
	v_ashrrev_i32_e32 v2, 31, v1
	s_delay_alu instid0(VALU_DEP_1) | instskip(NEXT) | instid1(VALU_DEP_1)
	v_lshlrev_b64 v[1:2], 2, v[1:2]
	v_add_co_u32 v1, vcc_lo, s18, v1
	s_delay_alu instid0(VALU_DEP_2)
	v_add_co_ci_u32_e32 v2, vcc_lo, s19, v2, vcc_lo
	global_load_b32 v2, v[1:2], off
	s_branch .LBB18_13
.LBB18_24:                              ;   in Loop: Header=BB18_10 Depth=1
	s_set_inst_prefetch_distance 0x2
	s_or_b32 exec_lo, exec_lo, s27
; %bb.25:                               ;   in Loop: Header=BB18_10 Depth=1
	ds_load_b32 v1, v16 offset:13696
	s_waitcnt lgkmcnt(0)
	s_sub_i32 s26, s26, s17
	s_delay_alu instid0(SALU_CYCLE_1) | instskip(SKIP_3) | instid1(SALU_CYCLE_1)
	s_cmp_le_i32 s26, s25
	s_cselect_b32 s27, -1, 0
	v_cmp_ge_i32_e32 vcc_lo, s24, v1
	s_and_b32 s27, s27, vcc_lo
	s_and_not1_b32 vcc_lo, exec_lo, s27
	s_mov_b32 s27, 0
	s_cbranch_vccnz .LBB18_37
; %bb.26:                               ;   in Loop: Header=BB18_10 Depth=1
	s_mov_b32 s38, 0
	s_mov_b32 s39, 0
.LBB18_27:                              ;   Parent Loop BB18_10 Depth=1
                                        ; =>  This Inner Loop Header: Depth=2
	s_ashr_i32 s27, s26, 31
	s_mov_b32 s43, -1
	s_lshl_b64 s[40:41], s[26:27], 2
                                        ; implicit-def: $sgpr42
	s_delay_alu instid0(SALU_CYCLE_1) | instskip(SKIP_2) | instid1(SALU_CYCLE_1)
	s_add_u32 s40, s14, s40
	s_addc_u32 s41, s15, s41
	s_lshl_b32 s27, s39, 2
	v_mov_b32_e32 v1, s27
	s_load_b32 s27, s[40:41], 0x0
                                        ; implicit-def: $sgpr41
	ds_load_b32 v1, v1 offset:13696
	s_waitcnt lgkmcnt(0)
	s_sub_i32 s44, s27, s17
                                        ; implicit-def: $sgpr27
	s_delay_alu instid0(SALU_CYCLE_1)
	v_cmp_ge_i32_e32 vcc_lo, s44, v1
	v_readfirstlane_b32 s40, v1
	s_cbranch_vccz .LBB18_33
; %bb.28:                               ;   in Loop: Header=BB18_27 Depth=2
	s_delay_alu instid0(VALU_DEP_1)
	s_cmp_le_i32 s44, s40
                                        ; implicit-def: $sgpr27
                                        ; implicit-def: $sgpr42
                                        ; implicit-def: $sgpr41
	s_cbranch_scc0 .LBB18_30
; %bb.29:                               ;   in Loop: Header=BB18_27 Depth=2
	s_add_i32 s27, s39, s30
	s_lshl_b32 s41, s38, 2
	s_mul_i32 s27, s27, s35
	s_mul_i32 s42, s26, s35
	s_delay_alu instid0(SALU_CYCLE_1)
	v_dual_mov_b32 v1, s27 :: v_dual_mov_b32 v2, s42
	v_add_nc_u32_e64 v3, 0x80, s41
	s_add_i32 s41, s39, 1
	s_add_i32 s42, s26, 1
	;; [unrolled: 1-line block ×3, first 2 shown]
	s_mov_b32 s43, 0
	ds_store_2addr_stride64_b32 v3, v2, v1 offset0:49 offset1:51
.LBB18_30:                              ;   in Loop: Header=BB18_27 Depth=2
	s_and_not1_b32 vcc_lo, exec_lo, s43
	s_cbranch_vccnz .LBB18_32
; %bb.31:                               ;   in Loop: Header=BB18_27 Depth=2
	s_add_i32 s41, s39, 1
	s_mov_b32 s27, s38
	s_mov_b32 s42, s26
.LBB18_32:                              ;   in Loop: Header=BB18_27 Depth=2
	s_mov_b32 s43, 0
.LBB18_33:                              ;   in Loop: Header=BB18_27 Depth=2
	s_delay_alu instid0(SALU_CYCLE_1)
	s_and_not1_b32 vcc_lo, exec_lo, s43
	s_cbranch_vccnz .LBB18_35
; %bb.34:                               ;   in Loop: Header=BB18_27 Depth=2
	s_add_i32 s42, s26, 1
	s_mov_b32 s41, s39
	s_mov_b32 s27, s38
.LBB18_35:                              ;   in Loop: Header=BB18_27 Depth=2
	s_cmp_le_i32 s42, s25
	s_cselect_b32 s26, -1, 0
	s_cmp_le_i32 s40, s24
	s_cselect_b32 s38, -1, 0
	s_delay_alu instid0(SALU_CYCLE_1) | instskip(NEXT) | instid1(SALU_CYCLE_1)
	s_and_b32 s26, s26, s38
	s_and_b32 vcc_lo, exec_lo, s26
	s_cbranch_vccz .LBB18_37
; %bb.36:                               ;   in Loop: Header=BB18_27 Depth=2
	s_mov_b32 s38, s27
	s_mov_b32 s26, s42
	;; [unrolled: 1-line block ×3, first 2 shown]
	s_branch .LBB18_27
.LBB18_37:                              ;   in Loop: Header=BB18_10 Depth=1
	s_add_u32 s22, s6, s22
	s_addc_u32 s23, s7, s23
	s_waitcnt lgkmcnt(0)
	buffer_gl0_inv
.LBB18_38:                              ;   Parent Loop BB18_10 Depth=1
                                        ; =>  This Inner Loop Header: Depth=2
	global_load_b32 v1, v16, s[22:23] glc
	s_waitcnt vmcnt(0)
	v_cmp_eq_u32_e32 vcc_lo, 0, v1
	s_cbranch_vccnz .LBB18_38
; %bb.39:                               ;   in Loop: Header=BB18_10 Depth=1
	s_cmp_lt_i32 s27, 2
	buffer_gl1_inv
	buffer_gl0_inv
	s_cbranch_scc1 .LBB18_55
; %bb.40:                               ;   in Loop: Header=BB18_10 Depth=1
	s_add_i32 s22, s27, -2
	s_mov_b32 s23, 0
	s_branch .LBB18_42
.LBB18_41:                              ;   in Loop: Header=BB18_42 Depth=2
	s_or_b32 exec_lo, exec_lo, s24
	s_add_i32 s24, s23, 1
	s_cmp_eq_u32 s23, s22
	s_mov_b32 s23, s24
	s_cbranch_scc1 .LBB18_55
.LBB18_42:                              ;   Parent Loop BB18_10 Depth=1
                                        ; =>  This Loop Header: Depth=2
                                        ;       Child Loop BB18_45 Depth 3
	s_and_saveexec_b32 s24, s0
	s_cbranch_execz .LBB18_41
; %bb.43:                               ;   in Loop: Header=BB18_42 Depth=2
	s_lshl_b32 s26, s23, 2
	v_mov_b32_e32 v21, v5
	v_add_nc_u32_e64 v1, 0x80, s26
	s_mov_b32 s26, 0
	ds_load_2addr_stride64_b32 v[1:2], v1 offset0:49 offset1:51
	s_waitcnt lgkmcnt(0)
	v_add_nc_u32_e32 v17, v2, v8
	v_add_nc_u32_e32 v18, v0, v2
	;; [unrolled: 1-line block ×4, first 2 shown]
	s_branch .LBB18_45
.LBB18_44:                              ;   in Loop: Header=BB18_45 Depth=3
	v_lshlrev_b32_e32 v1, 2, v21
	v_add_nc_u32_e32 v21, 2, v21
	v_add_nc_u32_e32 v19, 2, v19
	;; [unrolled: 1-line block ×3, first 2 shown]
	s_delay_alu instid0(VALU_DEP_4) | instskip(NEXT) | instid1(VALU_DEP_4)
	v_mad_u32_u24 v1, 0x84, v0, v1
	v_cmp_le_i32_e32 vcc_lo, s3, v21
	ds_load_b32 v3, v1
	s_or_b32 s26, vcc_lo, s26
	s_waitcnt lgkmcnt(0)
	v_add_f32_e32 v2, v2, v3
	ds_store_b32 v1, v2
	s_and_not1_b32 exec_lo, exec_lo, s26
	s_cbranch_execz .LBB18_41
.LBB18_45:                              ;   Parent Loop BB18_10 Depth=1
                                        ;     Parent Loop BB18_42 Depth=2
                                        ; =>    This Inner Loop Header: Depth=3
	s_delay_alu instid0(VALU_DEP_2)
	v_dual_mov_b32 v22, 0 :: v_dual_mov_b32 v1, v19
	v_mov_b32_e32 v3, v18
	s_mov_b32 s27, 0
	s_and_b32 vcc_lo, exec_lo, s33
	s_cbranch_vccz .LBB18_49
.LBB18_46:                              ;   in Loop: Header=BB18_45 Depth=3
	v_ashrrev_i32_e32 v2, 31, v1
	v_mov_b32_e32 v4, 0
	s_delay_alu instid0(VALU_DEP_2) | instskip(NEXT) | instid1(VALU_DEP_1)
	v_lshlrev_b64 v[23:24], 2, v[1:2]
	v_add_co_u32 v23, vcc_lo, s18, v23
	s_delay_alu instid0(VALU_DEP_2)
	v_add_co_ci_u32_e32 v24, vcc_lo, s19, v24, vcc_lo
	global_load_b32 v2, v[23:24], off
	s_and_saveexec_b32 s38, s1
	s_cbranch_execz .LBB18_48
; %bb.47:                               ;   in Loop: Header=BB18_45 Depth=3
	v_ashrrev_i32_e32 v4, 31, v3
	s_delay_alu instid0(VALU_DEP_1) | instskip(NEXT) | instid1(VALU_DEP_1)
	v_lshlrev_b64 v[23:24], 2, v[3:4]
	v_add_co_u32 v23, vcc_lo, s18, v23
	s_delay_alu instid0(VALU_DEP_2)
	v_add_co_ci_u32_e32 v24, vcc_lo, s19, v24, vcc_lo
	global_load_b32 v4, v[23:24], off
.LBB18_48:                              ;   in Loop: Header=BB18_45 Depth=3
	s_or_b32 exec_lo, exec_lo, s38
	s_waitcnt vmcnt(0)
	v_fma_f32 v2, v2, v4, v22
	s_branch .LBB18_53
.LBB18_49:                              ;   in Loop: Header=BB18_45 Depth=3
                                        ; implicit-def: $vgpr2
	s_cbranch_execz .LBB18_53
; %bb.50:                               ;   in Loop: Header=BB18_45 Depth=3
	v_dual_mov_b32 v4, 0 :: v_dual_add_nc_u32 v23, s27, v20
	s_delay_alu instid0(VALU_DEP_1) | instskip(NEXT) | instid1(VALU_DEP_1)
	v_ashrrev_i32_e32 v24, 31, v23
	v_lshlrev_b64 v[23:24], 2, v[23:24]
	s_delay_alu instid0(VALU_DEP_1) | instskip(NEXT) | instid1(VALU_DEP_2)
	v_add_co_u32 v23, vcc_lo, s18, v23
	v_add_co_ci_u32_e32 v24, vcc_lo, s19, v24, vcc_lo
	global_load_b32 v2, v[23:24], off
	s_and_saveexec_b32 s38, s1
	s_cbranch_execz .LBB18_52
; %bb.51:                               ;   in Loop: Header=BB18_45 Depth=3
	v_add_nc_u32_e32 v23, s27, v17
	s_delay_alu instid0(VALU_DEP_1) | instskip(NEXT) | instid1(VALU_DEP_1)
	v_ashrrev_i32_e32 v24, 31, v23
	v_lshlrev_b64 v[23:24], 2, v[23:24]
	s_delay_alu instid0(VALU_DEP_1) | instskip(NEXT) | instid1(VALU_DEP_2)
	v_add_co_u32 v23, vcc_lo, s18, v23
	v_add_co_ci_u32_e32 v24, vcc_lo, s19, v24, vcc_lo
	global_load_b32 v4, v[23:24], off
.LBB18_52:                              ;   in Loop: Header=BB18_45 Depth=3
	s_or_b32 exec_lo, exec_lo, s38
	s_waitcnt vmcnt(0)
	v_fmac_f32_e32 v22, v2, v4
	s_delay_alu instid0(VALU_DEP_1)
	v_mov_b32_e32 v2, v22
.LBB18_53:                              ;   in Loop: Header=BB18_45 Depth=3
	v_add_nc_u32_e32 v3, s3, v3
	v_add_nc_u32_e32 v1, s3, v1
	s_add_i32 s27, s27, 1
	s_delay_alu instid0(SALU_CYCLE_1)
	s_cmp_eq_u32 s3, s27
	s_cbranch_scc1 .LBB18_44
; %bb.54:                               ;   in Loop: Header=BB18_45 Depth=3
	v_mov_b32_e32 v22, v2
	s_and_b32 vcc_lo, exec_lo, s33
	s_cbranch_vccz .LBB18_49
	s_branch .LBB18_46
.LBB18_55:                              ;   in Loop: Header=BB18_10 Depth=1
	s_and_not1_b32 vcc_lo, exec_lo, s34
	s_waitcnt lgkmcnt(0)
	buffer_gl0_inv
	s_cbranch_vccnz .LBB18_70
; %bb.56:                               ;   in Loop: Header=BB18_10 Depth=1
	v_mov_b32_e32 v1, v13
	s_mul_i32 s24, s35, s25
	s_mov_b32 s25, 0
	s_mov_b32 s26, s24
	s_branch .LBB18_58
.LBB18_57:                              ;   in Loop: Header=BB18_58 Depth=2
	s_or_b32 exec_lo, exec_lo, s22
	v_add_nc_u32_e32 v1, 4, v1
	s_add_i32 s25, s25, 1
	s_add_i32 s26, s26, 1
	s_cmp_eq_u32 s25, s3
	s_waitcnt lgkmcnt(0)
	buffer_gl0_inv
	s_cbranch_scc1 .LBB18_70
.LBB18_58:                              ;   Parent Loop BB18_10 Depth=1
                                        ; =>  This Loop Header: Depth=2
                                        ;       Child Loop BB18_65 Depth 3
                                        ;       Child Loop BB18_69 Depth 3
	s_mul_i32 s27, s25, s3
	v_lshl_add_u32 v3, s25, 2, v7
	s_add_i32 s27, s27, s24
	s_delay_alu instid0(SALU_CYCLE_1) | instskip(SKIP_2) | instid1(SALU_CYCLE_1)
	s_add_i32 s22, s27, s25
	ds_load_b32 v2, v3 offset:4224
	s_ashr_i32 s23, s22, 31
	s_lshl_b64 s[22:23], s[22:23], 2
	s_delay_alu instid0(SALU_CYCLE_1)
	s_add_u32 s22, s18, s22
	s_addc_u32 s23, s19, s23
	global_load_b32 v4, v16, s[22:23]
	s_waitcnt vmcnt(0)
	v_cmp_neq_f32_e32 vcc_lo, 0, v4
	v_cndmask_b32_e32 v4, 1.0, v4, vcc_lo
	s_or_b32 s22, vcc_lo, s2
	s_delay_alu instid0(SALU_CYCLE_1) | instskip(NEXT) | instid1(SALU_CYCLE_1)
	s_xor_b32 s23, s22, -1
	s_and_saveexec_b32 s22, s23
	s_cbranch_execz .LBB18_62
; %bb.59:                               ;   in Loop: Header=BB18_58 Depth=2
	v_mbcnt_lo_u32_b32 v4, exec_lo, 0
	s_mov_b32 s23, exec_lo
	s_delay_alu instid0(VALU_DEP_1)
	v_cmpx_eq_u32_e32 0, v4
	s_cbranch_execz .LBB18_61
; %bb.60:                               ;   in Loop: Header=BB18_58 Depth=2
	v_mov_b32_e32 v4, s37
	global_atomic_min_i32 v16, v4, s[10:11]
.LBB18_61:                              ;   in Loop: Header=BB18_58 Depth=2
	s_or_b32 exec_lo, exec_lo, s23
	v_mov_b32_e32 v4, 1.0
.LBB18_62:                              ;   in Loop: Header=BB18_58 Depth=2
	s_or_b32 exec_lo, exec_lo, s22
	ds_load_b32 v17, v3
	s_cmp_eq_u32 s25, 0
	s_cbranch_scc1 .LBB18_67
; %bb.63:                               ;   in Loop: Header=BB18_58 Depth=2
	v_mov_b32_e32 v18, v11
	s_mov_b32 s38, 0
	s_mov_b32 s39, s26
	s_branch .LBB18_65
	.p2align	6
.LBB18_64:                              ;   in Loop: Header=BB18_65 Depth=3
	s_ashr_i32 s23, s22, 31
	ds_load_b32 v20, v18
	s_lshl_b64 s[22:23], s[22:23], 2
	v_add_nc_u32_e32 v18, 4, v18
	s_add_u32 s22, s18, s22
	s_addc_u32 s23, s19, s23
	s_add_i32 s38, s38, 1
	global_load_b32 v19, v16, s[22:23]
	s_add_i32 s39, s39, s3
	s_cmp_ge_u32 s38, s25
	s_waitcnt vmcnt(0) lgkmcnt(0)
	v_fmac_f32_e32 v17, v19, v20
	s_cbranch_scc1 .LBB18_67
.LBB18_65:                              ;   Parent Loop BB18_10 Depth=1
                                        ;     Parent Loop BB18_58 Depth=2
                                        ; =>    This Inner Loop Header: Depth=3
	s_and_not1_b32 vcc_lo, exec_lo, s31
	s_mov_b32 s22, s39
	s_cbranch_vccnz .LBB18_64
; %bb.66:                               ;   in Loop: Header=BB18_65 Depth=3
	s_add_i32 s22, s38, s27
	s_branch .LBB18_64
.LBB18_67:                              ;   in Loop: Header=BB18_58 Depth=2
	s_waitcnt lgkmcnt(0)
	s_delay_alu instid0(VALU_DEP_1) | instskip(NEXT) | instid1(VALU_DEP_1)
	v_dual_sub_f32 v2, v2, v17 :: v_dual_add_nc_u32 v3, 0x1080, v3
	v_div_scale_f32 v17, null, v4, v4, v2
	v_div_scale_f32 v20, vcc_lo, v2, v4, v2
	s_delay_alu instid0(VALU_DEP_2) | instskip(SKIP_2) | instid1(VALU_DEP_1)
	v_rcp_f32_e32 v18, v17
	s_waitcnt_depctr 0xfff
	v_fma_f32 v19, -v17, v18, 1.0
	v_fmac_f32_e32 v18, v19, v18
	s_delay_alu instid0(VALU_DEP_1) | instskip(NEXT) | instid1(VALU_DEP_1)
	v_mul_f32_e32 v19, v20, v18
	v_fma_f32 v21, -v17, v19, v20
	s_delay_alu instid0(VALU_DEP_1) | instskip(NEXT) | instid1(VALU_DEP_1)
	v_fmac_f32_e32 v19, v21, v18
	v_fma_f32 v17, -v17, v19, v20
	s_delay_alu instid0(VALU_DEP_1) | instskip(NEXT) | instid1(VALU_DEP_1)
	v_div_fmas_f32 v17, v17, v18, v19
	v_div_fixup_f32 v2, v17, v4, v2
	ds_store_b32 v3, v2
	s_waitcnt lgkmcnt(0)
	s_waitcnt_vscnt null, 0x0
	buffer_gl0_inv
	s_and_saveexec_b32 s22, s0
	s_cbranch_execz .LBB18_57
; %bb.68:                               ;   in Loop: Header=BB18_58 Depth=2
	v_dual_mov_b32 v3, v14 :: v_dual_mov_b32 v4, v1
	v_mov_b32_e32 v17, v5
	s_mov_b32 s23, 0
.LBB18_69:                              ;   Parent Loop BB18_10 Depth=1
                                        ;     Parent Loop BB18_58 Depth=2
                                        ; =>    This Inner Loop Header: Depth=3
	ds_load_b32 v18, v4
	ds_load_b32 v19, v3
	v_add_nc_u32_e32 v17, 2, v17
	v_add_nc_u32_e32 v4, 0x108, v4
	s_delay_alu instid0(VALU_DEP_2)
	v_cmp_le_i32_e32 vcc_lo, s3, v17
	s_or_b32 s23, vcc_lo, s23
	s_waitcnt lgkmcnt(0)
	v_fmac_f32_e32 v19, v2, v18
	ds_store_b32 v3, v19
	v_add_nc_u32_e32 v3, 8, v3
	s_and_not1_b32 exec_lo, exec_lo, s23
	s_cbranch_execnz .LBB18_69
	s_branch .LBB18_57
.LBB18_70:                              ;   in Loop: Header=BB18_10 Depth=1
	s_and_saveexec_b32 s22, s0
	s_cbranch_execz .LBB18_9
; %bb.71:                               ;   in Loop: Header=BB18_10 Depth=1
	v_dual_mov_b32 v3, v15 :: v_dual_mov_b32 v4, v5
	s_mov_b32 s23, 0
	s_set_inst_prefetch_distance 0x1
	s_branch .LBB18_74
	.p2align	6
.LBB18_72:                              ;   in Loop: Header=BB18_74 Depth=2
	s_delay_alu instid0(VALU_DEP_1) | instskip(NEXT) | instid1(VALU_DEP_1)
	v_ashrrev_i32_e32 v2, 31, v1
	v_lshlrev_b64 v[1:2], 2, v[1:2]
	s_delay_alu instid0(VALU_DEP_1) | instskip(NEXT) | instid1(VALU_DEP_2)
	v_add_co_u32 v1, vcc_lo, s18, v1
	v_add_co_ci_u32_e32 v2, vcc_lo, s19, v2, vcc_lo
	s_waitcnt lgkmcnt(0)
	global_store_b32 v[1:2], v17, off
.LBB18_73:                              ;   in Loop: Header=BB18_74 Depth=2
	s_or_b32 exec_lo, exec_lo, s24
	v_add_nc_u32_e32 v4, 2, v4
	v_add_nc_u32_e32 v3, 8, v3
	s_delay_alu instid0(VALU_DEP_2) | instskip(SKIP_1) | instid1(SALU_CYCLE_1)
	v_cmp_le_i32_e32 vcc_lo, s3, v4
	s_or_b32 s23, vcc_lo, s23
	s_and_not1_b32 exec_lo, exec_lo, s23
	s_cbranch_execz .LBB18_9
.LBB18_74:                              ;   Parent Loop BB18_10 Depth=1
                                        ; =>  This Inner Loop Header: Depth=2
	s_and_saveexec_b32 s24, s1
	s_cbranch_execz .LBB18_73
; %bb.75:                               ;   in Loop: Header=BB18_74 Depth=2
	ds_load_b32 v17, v3
	s_and_b32 vcc_lo, exec_lo, s33
	s_cbranch_vccz .LBB18_77
; %bb.76:                               ;   in Loop: Header=BB18_74 Depth=2
	v_add_nc_u32_e32 v18, s21, v4
	s_delay_alu instid0(VALU_DEP_1)
	v_mad_u64_u32 v[1:2], null, v18, s3, v[0:1]
	s_cbranch_execnz .LBB18_72
	s_branch .LBB18_78
	.p2align	6
.LBB18_77:                              ;   in Loop: Header=BB18_74 Depth=2
                                        ; implicit-def: $vgpr1
.LBB18_78:                              ;   in Loop: Header=BB18_74 Depth=2
	v_add_nc_u32_e32 v1, v12, v4
	s_branch .LBB18_72
.LBB18_79:                              ;   in Loop: Header=BB18_10 Depth=1
                                        ; implicit-def: $sgpr20
                                        ; implicit-def: $vgpr12
	s_cbranch_execz .LBB18_10
.LBB18_80:
	v_cmp_gt_i32_e64 s0, s3, v5
	s_delay_alu instid0(VALU_DEP_1)
	s_and_saveexec_b32 s2, s0
	s_cbranch_execz .LBB18_93
; %bb.81:
	s_mul_i32 s4, s28, s3
	v_cmp_gt_i32_e64 s1, s3, v0
	v_dual_mov_b32 v8, v5 :: v_dual_add_nc_u32 v1, s4, v0
	v_add3_u32 v4, v7, v6, 0x1080
	s_cmp_lg_u32 s29, 0
	s_mov_b32 s5, 0
	s_delay_alu instid0(VALU_DEP_2)
	v_mul_lo_u32 v3, v1, s3
	s_cselect_b32 s12, -1, 0
	s_branch .LBB18_83
.LBB18_82:                              ;   in Loop: Header=BB18_83 Depth=1
	s_or_b32 exec_lo, exec_lo, s14
	v_add_nc_u32_e32 v8, 2, v8
	s_waitcnt vmcnt(0)
	ds_store_b32 v4, v2
	v_add_nc_u32_e32 v4, 8, v4
	v_cmp_le_i32_e32 vcc_lo, s3, v8
	s_or_b32 s5, vcc_lo, s5
	s_delay_alu instid0(SALU_CYCLE_1)
	s_and_not1_b32 exec_lo, exec_lo, s5
	s_cbranch_execz .LBB18_93
.LBB18_83:                              ; =>This Inner Loop Header: Depth=1
	s_and_b32 vcc_lo, exec_lo, s12
	s_cbranch_vccz .LBB18_88
; %bb.84:                               ;   in Loop: Header=BB18_83 Depth=1
	s_mov_b32 s14, 0
	s_mov_b32 s13, 0
                                        ; implicit-def: $vgpr1
	s_and_saveexec_b32 s15, s1
	s_delay_alu instid0(SALU_CYCLE_1)
	s_xor_b32 s15, exec_lo, s15
; %bb.85:                               ;   in Loop: Header=BB18_83 Depth=1
	v_add_nc_u32_e32 v9, s4, v8
	s_mov_b32 s13, exec_lo
	s_delay_alu instid0(VALU_DEP_1)
	v_mad_u64_u32 v[1:2], null, v9, s3, v[0:1]
; %bb.86:                               ;   in Loop: Header=BB18_83 Depth=1
	s_or_b32 exec_lo, exec_lo, s15
	s_delay_alu instid0(SALU_CYCLE_1)
	s_and_b32 vcc_lo, exec_lo, s14
	s_cbranch_vccnz .LBB18_89
.LBB18_87:                              ;   in Loop: Header=BB18_83 Depth=1
	v_mov_b32_e32 v2, s14
	s_and_saveexec_b32 s14, s13
	s_cbranch_execz .LBB18_82
	s_branch .LBB18_92
.LBB18_88:                              ;   in Loop: Header=BB18_83 Depth=1
	s_mov_b32 s14, -1
	s_mov_b32 s13, 0
                                        ; implicit-def: $vgpr1
	s_cbranch_execz .LBB18_87
.LBB18_89:                              ;   in Loop: Header=BB18_83 Depth=1
                                        ; implicit-def: $vgpr1
	s_and_saveexec_b32 s14, s1
; %bb.90:                               ;   in Loop: Header=BB18_83 Depth=1
	v_add_nc_u32_e32 v1, v3, v8
	s_or_b32 s13, s13, exec_lo
; %bb.91:                               ;   in Loop: Header=BB18_83 Depth=1
	s_or_b32 exec_lo, exec_lo, s14
	s_mov_b32 s14, 0
	s_delay_alu instid0(SALU_CYCLE_1)
	v_mov_b32_e32 v2, s14
	s_and_saveexec_b32 s14, s13
	s_cbranch_execz .LBB18_82
.LBB18_92:                              ;   in Loop: Header=BB18_83 Depth=1
	v_ashrrev_i32_e32 v2, 31, v1
	s_delay_alu instid0(VALU_DEP_1) | instskip(NEXT) | instid1(VALU_DEP_1)
	v_lshlrev_b64 v[1:2], 2, v[1:2]
	v_add_co_u32 v1, vcc_lo, s18, v1
	s_delay_alu instid0(VALU_DEP_2)
	v_add_co_ci_u32_e32 v2, vcc_lo, s19, v2, vcc_lo
	global_load_b32 v2, v[1:2], off
	s_branch .LBB18_82
.LBB18_93:
	s_or_b32 exec_lo, exec_lo, s2
; %bb.94:
	s_cmp_lt_i32 s3, 1
	s_waitcnt lgkmcnt(0)
	buffer_gl0_inv
	s_cbranch_scc1 .LBB18_107
; %bb.95:
	v_dual_mov_b32 v8, 0 :: v_dual_lshlrev_b32 v1, 2, v0
	v_or_b32_e32 v3, v5, v0
	s_movk_i32 s1, 0x1080
	s_mov_b32 s4, 0
	s_delay_alu instid0(VALU_DEP_2)
	v_mad_u32_u24 v4, 0x84, v0, v1
	v_add3_u32 v1, v7, v6, 0x2100
	v_mad_u32_u24 v2, 0x84, v5, s1
	v_cmp_ne_u32_e64 s1, 0, v3
	s_add_i32 s5, s16, s17
	v_add_nc_u32_e32 v3, 0x1080, v4
	v_add_nc_u32_e32 v4, 0x2100, v4
	s_branch .LBB18_97
.LBB18_96:                              ;   in Loop: Header=BB18_97 Depth=1
	s_or_b32 exec_lo, exec_lo, s2
	v_add_nc_u32_e32 v2, 4, v2
	s_add_i32 s4, s4, 1
	s_waitcnt lgkmcnt(0)
	s_waitcnt_vscnt null, 0x0
	buffer_gl0_inv
	s_cmp_eq_u32 s4, s3
	s_cbranch_scc1 .LBB18_107
.LBB18_97:                              ; =>This Loop Header: Depth=1
                                        ;     Child Loop BB18_106 Depth 2
	s_mov_b32 s12, exec_lo
	v_cmpx_eq_u32_e64 s4, v0
	s_cbranch_execz .LBB18_99
; %bb.98:                               ;   in Loop: Header=BB18_97 Depth=1
	ds_load_b32 v9, v3
	ds_load_b32 v10, v4
	s_waitcnt lgkmcnt(0)
	v_sub_f32_e32 v9, v9, v10
	s_delay_alu instid0(VALU_DEP_1) | instskip(SKIP_1) | instid1(VALU_DEP_1)
	v_cmp_gt_f32_e32 vcc_lo, 0, v9
	v_cndmask_b32_e64 v9, v9, -v9, vcc_lo
	v_mul_f32_e32 v10, 0x4f800000, v9
	v_cmp_gt_f32_e32 vcc_lo, 0xf800000, v9
	s_delay_alu instid0(VALU_DEP_2) | instskip(NEXT) | instid1(VALU_DEP_1)
	v_cndmask_b32_e32 v9, v9, v10, vcc_lo
	v_sqrt_f32_e32 v10, v9
	s_waitcnt_depctr 0xfff
	v_add_nc_u32_e32 v11, -1, v10
	v_add_nc_u32_e32 v12, 1, v10
	s_delay_alu instid0(VALU_DEP_2) | instskip(NEXT) | instid1(VALU_DEP_2)
	v_fma_f32 v13, -v11, v10, v9
	v_fma_f32 v14, -v12, v10, v9
	s_delay_alu instid0(VALU_DEP_2) | instskip(NEXT) | instid1(VALU_DEP_1)
	v_cmp_ge_f32_e64 s2, 0, v13
	v_cndmask_b32_e64 v10, v10, v11, s2
	s_delay_alu instid0(VALU_DEP_3) | instskip(NEXT) | instid1(VALU_DEP_1)
	v_cmp_lt_f32_e64 s2, 0, v14
	v_cndmask_b32_e64 v10, v10, v12, s2
	s_delay_alu instid0(VALU_DEP_1) | instskip(NEXT) | instid1(VALU_DEP_1)
	v_mul_f32_e32 v11, 0x37800000, v10
	v_cndmask_b32_e32 v10, v10, v11, vcc_lo
	v_cmp_class_f32_e64 vcc_lo, v9, 0x260
	s_delay_alu instid0(VALU_DEP_2)
	v_cndmask_b32_e32 v9, v10, v9, vcc_lo
	ds_store_b32 v3, v9
.LBB18_99:                              ;   in Loop: Header=BB18_97 Depth=1
	s_or_b32 exec_lo, exec_lo, s12
	s_lshl_b32 s2, s4, 2
	s_mul_i32 s12, s4, 0x84
	s_waitcnt lgkmcnt(0)
	buffer_gl0_inv
	s_add_i32 s12, s12, s2
	s_delay_alu instid0(SALU_CYCLE_1)
	v_mov_b32_e32 v9, s12
	ds_load_b32 v11, v9 offset:4224
	v_mad_u32_u24 v9, 0x84, v0, s2
	ds_load_b32 v10, v9 offset:4224
	s_waitcnt lgkmcnt(1)
	v_cmp_neq_f32_e32 vcc_lo, 0, v11
	v_cndmask_b32_e32 v11, 1.0, v11, vcc_lo
	s_or_b32 s2, vcc_lo, s1
	s_delay_alu instid0(SALU_CYCLE_1) | instskip(NEXT) | instid1(SALU_CYCLE_1)
	s_xor_b32 s12, s2, -1
	s_and_saveexec_b32 s2, s12
	s_cbranch_execz .LBB18_103
; %bb.100:                              ;   in Loop: Header=BB18_97 Depth=1
	v_mbcnt_lo_u32_b32 v11, exec_lo, 0
	s_mov_b32 s12, exec_lo
	s_delay_alu instid0(VALU_DEP_1)
	v_cmpx_eq_u32_e32 0, v11
	s_cbranch_execz .LBB18_102
; %bb.101:                              ;   in Loop: Header=BB18_97 Depth=1
	v_mov_b32_e32 v11, s5
	global_atomic_min_i32 v8, v11, s[10:11]
.LBB18_102:                             ;   in Loop: Header=BB18_97 Depth=1
	s_or_b32 exec_lo, exec_lo, s12
	v_mov_b32_e32 v11, 1.0
.LBB18_103:                             ;   in Loop: Header=BB18_97 Depth=1
	s_or_b32 exec_lo, exec_lo, s2
	s_delay_alu instid0(SALU_CYCLE_1)
	s_mov_b32 s2, exec_lo
	v_cmpx_lt_u32_e64 s4, v0
	s_cbranch_execz .LBB18_96
; %bb.104:                              ;   in Loop: Header=BB18_97 Depth=1
	v_lshl_add_u32 v12, s4, 2, v7
	ds_load_b32 v12, v12 offset:8448
	s_waitcnt lgkmcnt(0)
	v_sub_f32_e32 v10, v10, v12
	s_delay_alu instid0(VALU_DEP_1) | instskip(SKIP_1) | instid1(VALU_DEP_2)
	v_div_scale_f32 v12, null, v11, v11, v10
	v_div_scale_f32 v15, vcc_lo, v10, v11, v10
	v_rcp_f32_e32 v13, v12
	s_waitcnt_depctr 0xfff
	v_fma_f32 v14, -v12, v13, 1.0
	s_delay_alu instid0(VALU_DEP_1) | instskip(NEXT) | instid1(VALU_DEP_1)
	v_fmac_f32_e32 v13, v14, v13
	v_mul_f32_e32 v14, v15, v13
	s_delay_alu instid0(VALU_DEP_1) | instskip(NEXT) | instid1(VALU_DEP_1)
	v_fma_f32 v16, -v12, v14, v15
	v_fmac_f32_e32 v14, v16, v13
	s_delay_alu instid0(VALU_DEP_1) | instskip(NEXT) | instid1(VALU_DEP_1)
	v_fma_f32 v12, -v12, v14, v15
	v_div_fmas_f32 v12, v12, v13, v14
	v_add_nc_u32_e32 v13, 0x1080, v9
	s_delay_alu instid0(VALU_DEP_2)
	v_div_fixup_f32 v9, v12, v11, v10
	ds_store_b32 v13, v9
	s_waitcnt lgkmcnt(0)
	s_waitcnt_vscnt null, 0x0
	buffer_gl0_inv
	s_and_b32 exec_lo, exec_lo, s0
	s_cbranch_execz .LBB18_96
; %bb.105:                              ;   in Loop: Header=BB18_97 Depth=1
	v_dual_mov_b32 v10, v1 :: v_dual_mov_b32 v11, v2
	v_mov_b32_e32 v12, v5
	s_mov_b32 s12, 0
.LBB18_106:                             ;   Parent Loop BB18_97 Depth=1
                                        ; =>  This Inner Loop Header: Depth=2
	ds_load_b32 v13, v11
	ds_load_b32 v14, v10
	v_add_nc_u32_e32 v12, 2, v12
	v_add_nc_u32_e32 v11, 0x108, v11
	s_delay_alu instid0(VALU_DEP_2)
	v_cmp_le_i32_e32 vcc_lo, s3, v12
	s_or_b32 s12, vcc_lo, s12
	s_waitcnt lgkmcnt(0)
	v_fmac_f32_e32 v14, v9, v13
	ds_store_b32 v10, v14
	v_add_nc_u32_e32 v10, 8, v10
	s_and_not1_b32 exec_lo, exec_lo, s12
	s_cbranch_execnz .LBB18_106
	s_branch .LBB18_96
.LBB18_107:
	s_and_saveexec_b32 s1, s0
	s_cbranch_execz .LBB18_116
; %bb.108:
	s_mul_i32 s28, s28, s3
	v_add3_u32 v4, v7, v6, 0x1080
	v_dual_mov_b32 v6, v5 :: v_dual_add_nc_u32 v1, s28, v0
	v_cmp_gt_i32_e64 s0, s3, v0
	s_cmp_lg_u32 s29, 0
	s_mov_b32 s2, 0
	s_delay_alu instid0(VALU_DEP_2)
	v_mul_lo_u32 v3, v1, s3
	s_cselect_b32 s4, -1, 0
	s_set_inst_prefetch_distance 0x1
	s_branch .LBB18_111
	.p2align	6
.LBB18_109:                             ;   in Loop: Header=BB18_111 Depth=1
	s_delay_alu instid0(VALU_DEP_1) | instskip(NEXT) | instid1(VALU_DEP_1)
	v_ashrrev_i32_e32 v2, 31, v1
	v_lshlrev_b64 v[1:2], 2, v[1:2]
	s_delay_alu instid0(VALU_DEP_1) | instskip(NEXT) | instid1(VALU_DEP_2)
	v_add_co_u32 v1, vcc_lo, s18, v1
	v_add_co_ci_u32_e32 v2, vcc_lo, s19, v2, vcc_lo
	s_waitcnt lgkmcnt(0)
	global_store_b32 v[1:2], v7, off
.LBB18_110:                             ;   in Loop: Header=BB18_111 Depth=1
	s_or_b32 exec_lo, exec_lo, s5
	v_add_nc_u32_e32 v6, 2, v6
	v_add_nc_u32_e32 v4, 8, v4
	s_delay_alu instid0(VALU_DEP_2) | instskip(SKIP_1) | instid1(SALU_CYCLE_1)
	v_cmp_le_i32_e32 vcc_lo, s3, v6
	s_or_b32 s2, vcc_lo, s2
	s_and_not1_b32 exec_lo, exec_lo, s2
	s_cbranch_execz .LBB18_116
.LBB18_111:                             ; =>This Inner Loop Header: Depth=1
	s_and_saveexec_b32 s5, s0
	s_cbranch_execz .LBB18_110
; %bb.112:                              ;   in Loop: Header=BB18_111 Depth=1
	ds_load_b32 v7, v4
	s_and_b32 vcc_lo, exec_lo, s4
	s_cbranch_vccz .LBB18_114
; %bb.113:                              ;   in Loop: Header=BB18_111 Depth=1
	v_add_nc_u32_e32 v8, s28, v6
	s_delay_alu instid0(VALU_DEP_1)
	v_mad_u64_u32 v[1:2], null, v8, s3, v[0:1]
	s_cbranch_execnz .LBB18_109
	s_branch .LBB18_115
.LBB18_114:                             ;   in Loop: Header=BB18_111 Depth=1
                                        ; implicit-def: $vgpr1
.LBB18_115:                             ;   in Loop: Header=BB18_111 Depth=1
	v_add_nc_u32_e32 v1, v3, v6
	s_branch .LBB18_109
.LBB18_116:
	s_set_inst_prefetch_distance 0x2
	s_or_b32 exec_lo, exec_lo, s1
	v_or_b32_e32 v1, v5, v0
	s_delay_alu instid0(VALU_DEP_1)
	v_cmp_eq_u32_e64 s3, 0, v1
.LBB18_117:
	s_delay_alu instid0(VALU_DEP_1)
	s_and_saveexec_b32 s0, s3
	s_cbranch_execnz .LBB18_125
.LBB18_118:
	s_nop 0
	s_sendmsg sendmsg(MSG_DEALLOC_VGPRS)
	s_endpgm
.LBB18_119:
	s_cbranch_execz .LBB18_117
; %bb.120:
	v_or_b32_e32 v0, v5, v0
	s_mov_b32 s0, exec_lo
	s_delay_alu instid0(VALU_DEP_1)
	v_cmpx_eq_u32_e32 0, v0
	s_cbranch_execz .LBB18_124
; %bb.121:
	v_mbcnt_lo_u32_b32 v0, exec_lo, 0
	s_mov_b32 s1, exec_lo
	s_delay_alu instid0(VALU_DEP_1)
	v_cmpx_eq_u32_e32 0, v0
	s_cbranch_execz .LBB18_123
; %bb.122:
	s_add_i32 s2, s16, s17
	s_delay_alu instid0(SALU_CYCLE_1)
	v_dual_mov_b32 v0, 0 :: v_dual_mov_b32 v1, s2
	global_atomic_min_i32 v0, v1, s[10:11]
.LBB18_123:
	s_or_b32 exec_lo, exec_lo, s1
	s_delay_alu instid0(SALU_CYCLE_1)
	s_or_b32 s3, s3, exec_lo
.LBB18_124:
	s_or_b32 exec_lo, exec_lo, s0
	s_and_saveexec_b32 s0, s3
	s_cbranch_execz .LBB18_118
.LBB18_125:
	v_dual_mov_b32 v0, 0 :: v_dual_mov_b32 v1, 1
	s_add_u32 s0, s6, s8
	s_addc_u32 s1, s7, s9
	s_waitcnt_vscnt null, 0x0
	global_store_b32 v0, v1, s[0:1]
	s_nop 0
	s_sendmsg sendmsg(MSG_DEALLOC_VGPRS)
	s_endpgm
	.section	.rodata,"a",@progbits
	.p2align	6, 0x0
	.amdhsa_kernel _ZN9rocsparseL19bsric0_17_32_kernelILi64ELi128ELi32EfEEv20rocsparse_direction_iiPKiS3_PT2_S3_PiS3_S6_21rocsparse_index_base_
		.amdhsa_group_segment_fixed_size 14208
		.amdhsa_private_segment_fixed_size 0
		.amdhsa_kernarg_size 76
		.amdhsa_user_sgpr_count 15
		.amdhsa_user_sgpr_dispatch_ptr 0
		.amdhsa_user_sgpr_queue_ptr 0
		.amdhsa_user_sgpr_kernarg_segment_ptr 1
		.amdhsa_user_sgpr_dispatch_id 0
		.amdhsa_user_sgpr_private_segment_size 0
		.amdhsa_wavefront_size32 1
		.amdhsa_uses_dynamic_stack 0
		.amdhsa_enable_private_segment 0
		.amdhsa_system_sgpr_workgroup_id_x 1
		.amdhsa_system_sgpr_workgroup_id_y 0
		.amdhsa_system_sgpr_workgroup_id_z 0
		.amdhsa_system_sgpr_workgroup_info 0
		.amdhsa_system_vgpr_workitem_id 1
		.amdhsa_next_free_vgpr 25
		.amdhsa_next_free_sgpr 45
		.amdhsa_reserve_vcc 1
		.amdhsa_float_round_mode_32 0
		.amdhsa_float_round_mode_16_64 0
		.amdhsa_float_denorm_mode_32 3
		.amdhsa_float_denorm_mode_16_64 3
		.amdhsa_dx10_clamp 1
		.amdhsa_ieee_mode 1
		.amdhsa_fp16_overflow 0
		.amdhsa_workgroup_processor_mode 1
		.amdhsa_memory_ordered 1
		.amdhsa_forward_progress 0
		.amdhsa_shared_vgpr_count 0
		.amdhsa_exception_fp_ieee_invalid_op 0
		.amdhsa_exception_fp_denorm_src 0
		.amdhsa_exception_fp_ieee_div_zero 0
		.amdhsa_exception_fp_ieee_overflow 0
		.amdhsa_exception_fp_ieee_underflow 0
		.amdhsa_exception_fp_ieee_inexact 0
		.amdhsa_exception_int_div_zero 0
	.end_amdhsa_kernel
	.section	.text._ZN9rocsparseL19bsric0_17_32_kernelILi64ELi128ELi32EfEEv20rocsparse_direction_iiPKiS3_PT2_S3_PiS3_S6_21rocsparse_index_base_,"axG",@progbits,_ZN9rocsparseL19bsric0_17_32_kernelILi64ELi128ELi32EfEEv20rocsparse_direction_iiPKiS3_PT2_S3_PiS3_S6_21rocsparse_index_base_,comdat
.Lfunc_end18:
	.size	_ZN9rocsparseL19bsric0_17_32_kernelILi64ELi128ELi32EfEEv20rocsparse_direction_iiPKiS3_PT2_S3_PiS3_S6_21rocsparse_index_base_, .Lfunc_end18-_ZN9rocsparseL19bsric0_17_32_kernelILi64ELi128ELi32EfEEv20rocsparse_direction_iiPKiS3_PT2_S3_PiS3_S6_21rocsparse_index_base_
                                        ; -- End function
	.section	.AMDGPU.csdata,"",@progbits
; Kernel info:
; codeLenInByte = 4004
; NumSgprs: 47
; NumVgprs: 25
; ScratchSize: 0
; MemoryBound: 0
; FloatMode: 240
; IeeeMode: 1
; LDSByteSize: 14208 bytes/workgroup (compile time only)
; SGPRBlocks: 5
; VGPRBlocks: 3
; NumSGPRsForWavesPerEU: 47
; NumVGPRsForWavesPerEU: 25
; Occupancy: 5
; WaveLimiterHint : 1
; COMPUTE_PGM_RSRC2:SCRATCH_EN: 0
; COMPUTE_PGM_RSRC2:USER_SGPR: 15
; COMPUTE_PGM_RSRC2:TRAP_HANDLER: 0
; COMPUTE_PGM_RSRC2:TGID_X_EN: 1
; COMPUTE_PGM_RSRC2:TGID_Y_EN: 0
; COMPUTE_PGM_RSRC2:TGID_Z_EN: 0
; COMPUTE_PGM_RSRC2:TIDIG_COMP_CNT: 1
	.section	.text._ZN9rocsparseL23bsric0_binsearch_kernelILj32ELj32ELb0EdEEv20rocsparse_direction_iiPKiS3_PT2_S3_PiS3_S6_21rocsparse_index_base_,"axG",@progbits,_ZN9rocsparseL23bsric0_binsearch_kernelILj32ELj32ELb0EdEEv20rocsparse_direction_iiPKiS3_PT2_S3_PiS3_S6_21rocsparse_index_base_,comdat
	.globl	_ZN9rocsparseL23bsric0_binsearch_kernelILj32ELj32ELb0EdEEv20rocsparse_direction_iiPKiS3_PT2_S3_PiS3_S6_21rocsparse_index_base_ ; -- Begin function _ZN9rocsparseL23bsric0_binsearch_kernelILj32ELj32ELb0EdEEv20rocsparse_direction_iiPKiS3_PT2_S3_PiS3_S6_21rocsparse_index_base_
	.p2align	8
	.type	_ZN9rocsparseL23bsric0_binsearch_kernelILj32ELj32ELb0EdEEv20rocsparse_direction_iiPKiS3_PT2_S3_PiS3_S6_21rocsparse_index_base_,@function
_ZN9rocsparseL23bsric0_binsearch_kernelILj32ELj32ELb0EdEEv20rocsparse_direction_iiPKiS3_PT2_S3_PiS3_S6_21rocsparse_index_base_: ; @_ZN9rocsparseL23bsric0_binsearch_kernelILj32ELj32ELb0EdEEv20rocsparse_direction_iiPKiS3_PT2_S3_PiS3_S6_21rocsparse_index_base_
; %bb.0:
	s_mov_b32 s2, s15
	s_load_b256 s[8:15], s[0:1], 0x28
	s_ashr_i32 s3, s2, 31
	s_delay_alu instid0(SALU_CYCLE_1)
	s_lshl_b64 s[2:3], s[2:3], 2
	s_waitcnt lgkmcnt(0)
	s_add_u32 s2, s12, s2
	s_addc_u32 s3, s13, s3
	s_load_b32 s12, s[2:3], 0x0
	s_waitcnt lgkmcnt(0)
	s_ashr_i32 s13, s12, 31
	s_delay_alu instid0(SALU_CYCLE_1) | instskip(SKIP_1) | instid1(SALU_CYCLE_1)
	v_dual_mov_b32 v2, s12 :: v_dual_mov_b32 v3, s13
	s_lshl_b64 s[2:3], s[12:13], 2
	s_add_u32 s2, s8, s2
	s_addc_u32 s3, s9, s3
	s_load_b32 s25, s[2:3], 0x0
	s_load_b32 s23, s[0:1], 0x48
	s_mov_b32 s2, 0
	s_waitcnt lgkmcnt(0)
	s_cmp_lg_u32 s25, -1
	s_cselect_b32 s3, -1, 0
	s_delay_alu instid0(SALU_CYCLE_1) | instskip(NEXT) | instid1(SALU_CYCLE_1)
	s_and_saveexec_b32 s4, s3
	s_xor_b32 s24, exec_lo, s4
	s_cbranch_execnz .LBB19_4
; %bb.1:
	s_and_not1_saveexec_b32 s0, s24
	s_cbranch_execnz .LBB19_70
.LBB19_2:
	s_or_b32 exec_lo, exec_lo, s0
	s_and_saveexec_b32 s0, s2
	s_cbranch_execnz .LBB19_77
.LBB19_3:
	s_nop 0
	s_sendmsg sendmsg(MSG_DEALLOC_VGPRS)
	s_endpgm
.LBB19_4:
	s_load_b32 s26, s[0:1], 0x8
	s_mov_b32 s27, exec_lo
	s_waitcnt lgkmcnt(0)
	v_cmpx_gt_i32_e64 s26, v0
	s_cbranch_execz .LBB19_69
; %bb.5:
	s_clause 0x1
	s_load_b128 s[16:19], s[0:1], 0x10
	s_load_b32 s5, s[0:1], 0x0
	v_lshlrev_b64 v[3:4], 2, s[12:13]
	s_load_b64 s[20:21], s[0:1], 0x20
	v_dual_mov_b32 v28, v0 :: v_dual_add_nc_u32 v23, s23, v2
	s_mul_i32 s28, s26, s26
	v_cmp_ne_u32_e64 s0, 0, v0
	v_mul_lo_u32 v26, s25, s28
	s_mov_b32 s29, 0
	v_mov_b32_e32 v24, 0
	s_waitcnt lgkmcnt(0)
	v_add_co_u32 v3, vcc_lo, s16, v3
	v_add_co_ci_u32_e32 v4, vcc_lo, s17, v4, vcc_lo
	s_cmp_eq_u32 s5, 0
	s_cselect_b32 s1, -1, 0
	global_load_b64 v[3:4], v[3:4], off
	s_cmp_lg_u32 s5, 0
	s_cselect_b32 s30, -1, 0
	s_waitcnt vmcnt(0)
	v_subrev_nc_u32_e32 v21, s23, v3
	v_xad_u32 v22, s23, -1, v4
	s_delay_alu instid0(VALU_DEP_2) | instskip(NEXT) | instid1(VALU_DEP_2)
	v_mul_lo_u32 v25, s28, v21
	v_add_nc_u32_e32 v1, v22, v21
	v_cmp_gt_i32_e64 s2, s25, v21
	v_cmp_le_i32_e64 s3, s25, v21
	v_cmp_lt_i32_e64 s4, v21, v22
	s_delay_alu instid0(VALU_DEP_4) | instskip(SKIP_1) | instid1(VALU_DEP_2)
	v_ashrrev_i32_e32 v1, 1, v1
	v_add_nc_u32_e32 v27, v25, v0
	v_ashrrev_i32_e32 v2, 31, v1
	s_delay_alu instid0(VALU_DEP_1) | instskip(NEXT) | instid1(VALU_DEP_1)
	v_lshlrev_b64 v[2:3], 2, v[1:2]
	v_add_co_u32 v2, vcc_lo, s18, v2
	s_delay_alu instid0(VALU_DEP_2)
	v_add_co_ci_u32_e32 v3, vcc_lo, s19, v3, vcc_lo
	s_branch .LBB19_7
.LBB19_6:                               ;   in Loop: Header=BB19_7 Depth=1
	v_add_nc_u32_e32 v28, 32, v28
	v_add_nc_u32_e32 v27, 32, v27
	s_delay_alu instid0(VALU_DEP_2) | instskip(SKIP_1) | instid1(SALU_CYCLE_1)
	v_cmp_le_i32_e32 vcc_lo, s26, v28
	s_or_b32 s29, vcc_lo, s29
	s_and_not1_b32 exec_lo, exec_lo, s29
	s_cbranch_execz .LBB19_69
.LBB19_7:                               ; =>This Loop Header: Depth=1
                                        ;     Child Loop BB19_12 Depth 2
                                        ;       Child Loop BB19_15 Depth 3
                                        ;       Child Loop BB19_19 Depth 3
                                        ;         Child Loop BB19_21 Depth 4
                                        ;         Child Loop BB19_28 Depth 4
                                        ;           Child Loop BB19_30 Depth 5
                                        ;           Child Loop BB19_36 Depth 5
                                        ;     Child Loop BB19_43 Depth 2
                                        ;       Child Loop BB19_47 Depth 3
                                        ;       Child Loop BB19_55 Depth 3
                                        ;         Child Loop BB19_57 Depth 4
                                        ;       Child Loop BB19_65 Depth 3
	v_mul_lo_u32 v29, v28, s26
                                        ; implicit-def: $sgpr6_sgpr7
	s_and_saveexec_b32 s5, s3
	s_delay_alu instid0(SALU_CYCLE_1)
	s_xor_b32 s5, exec_lo, s5
; %bb.8:                                ;   in Loop: Header=BB19_7 Depth=1
	v_mul_lo_u32 v29, v28, s26
	s_mov_b64 s[6:7], 0
; %bb.9:                                ;   in Loop: Header=BB19_7 Depth=1
	s_or_saveexec_b32 s31, s5
	v_dual_mov_b32 v4, s6 :: v_dual_mov_b32 v5, s7
	s_xor_b32 exec_lo, exec_lo, s31
	s_cbranch_execz .LBB19_40
; %bb.10:                               ;   in Loop: Header=BB19_7 Depth=1
	v_mov_b32_e32 v4, 0
	v_dual_mov_b32 v5, 0 :: v_dual_mov_b32 v6, v21
	s_mov_b32 s7, 0
	s_branch .LBB19_12
.LBB19_11:                              ;   in Loop: Header=BB19_12 Depth=2
	s_or_b32 exec_lo, exec_lo, s33
	v_add_nc_u32_e32 v6, 1, v6
	s_xor_b32 s5, s5, -1
	s_delay_alu instid0(VALU_DEP_1) | instskip(SKIP_1) | instid1(SALU_CYCLE_1)
	v_cmp_le_i32_e32 vcc_lo, s25, v6
	s_or_b32 s5, s5, vcc_lo
	s_and_b32 s5, exec_lo, s5
	s_delay_alu instid0(SALU_CYCLE_1) | instskip(NEXT) | instid1(SALU_CYCLE_1)
	s_or_b32 s7, s5, s7
	s_and_not1_b32 exec_lo, exec_lo, s7
	s_cbranch_execz .LBB19_39
.LBB19_12:                              ;   Parent Loop BB19_7 Depth=1
                                        ; =>  This Loop Header: Depth=2
                                        ;       Child Loop BB19_15 Depth 3
                                        ;       Child Loop BB19_19 Depth 3
                                        ;         Child Loop BB19_21 Depth 4
                                        ;         Child Loop BB19_28 Depth 4
                                        ;           Child Loop BB19_30 Depth 5
                                        ;           Child Loop BB19_36 Depth 5
	s_delay_alu instid0(VALU_DEP_1) | instskip(NEXT) | instid1(VALU_DEP_1)
	v_ashrrev_i32_e32 v7, 31, v6
	v_lshlrev_b64 v[7:8], 2, v[6:7]
	s_delay_alu instid0(VALU_DEP_1) | instskip(NEXT) | instid1(VALU_DEP_2)
	v_add_co_u32 v7, vcc_lo, s18, v7
	v_add_co_ci_u32_e32 v8, vcc_lo, s19, v8, vcc_lo
	global_load_b32 v30, v[7:8], off
	s_waitcnt vmcnt(0)
	v_subrev_nc_u32_e32 v7, s23, v30
	s_delay_alu instid0(VALU_DEP_1) | instskip(NEXT) | instid1(VALU_DEP_1)
	v_ashrrev_i32_e32 v8, 31, v7
	v_lshlrev_b64 v[8:9], 2, v[7:8]
	s_delay_alu instid0(VALU_DEP_1) | instskip(NEXT) | instid1(VALU_DEP_2)
	v_add_co_u32 v10, vcc_lo, s8, v8
	v_add_co_ci_u32_e32 v11, vcc_lo, s9, v9, vcc_lo
	global_load_b32 v31, v[10:11], off
	s_waitcnt vmcnt(0)
	v_cmp_ne_u32_e64 s5, -1, v31
	s_delay_alu instid0(VALU_DEP_1)
	s_and_saveexec_b32 s33, s5
	s_cbranch_execz .LBB19_11
; %bb.13:                               ;   in Loop: Header=BB19_12 Depth=2
	v_add_co_u32 v10, vcc_lo, s16, v8
	v_add_co_ci_u32_e32 v11, vcc_lo, s17, v9, vcc_lo
	v_add_co_u32 v8, vcc_lo, s10, v8
	v_add_co_ci_u32_e32 v9, vcc_lo, s11, v9, vcc_lo
	s_mov_b32 s6, exec_lo
	global_load_b32 v10, v[10:11], off
	global_load_b32 v11, v[8:9], off glc
	s_waitcnt vmcnt(0)
	v_cmpx_eq_u32_e32 0, v11
	s_cbranch_execz .LBB19_16
; %bb.14:                               ;   in Loop: Header=BB19_12 Depth=2
	s_mov_b32 s22, 0
.LBB19_15:                              ;   Parent Loop BB19_7 Depth=1
                                        ;     Parent Loop BB19_12 Depth=2
                                        ; =>    This Inner Loop Header: Depth=3
	global_load_b32 v11, v[8:9], off glc
	s_waitcnt vmcnt(0)
	v_cmp_ne_u32_e32 vcc_lo, 0, v11
	s_or_b32 s22, vcc_lo, s22
	s_delay_alu instid0(SALU_CYCLE_1)
	s_and_not1_b32 exec_lo, exec_lo, s22
	s_cbranch_execnz .LBB19_15
.LBB19_16:                              ;   in Loop: Header=BB19_12 Depth=2
	s_or_b32 exec_lo, exec_lo, s6
	v_mul_lo_u32 v8, v6, s28
	v_subrev_nc_u32_e32 v32, s23, v10
	v_mul_lo_u32 v33, v7, s26
	v_mul_lo_u32 v34, v31, s28
	s_mov_b32 s34, 0
	buffer_gl1_inv
	buffer_gl0_inv
	v_mul_lo_u32 v35, s28, v32
	v_cmp_le_i32_e64 s6, v32, v31
	v_add_nc_u32_e32 v36, v8, v28
	v_add_nc_u32_e32 v37, v8, v29
	s_branch .LBB19_19
.LBB19_17:                              ;   in Loop: Header=BB19_19 Depth=3
	s_or_b32 exec_lo, exec_lo, s36
.LBB19_18:                              ;   in Loop: Header=BB19_19 Depth=3
	s_delay_alu instid0(SALU_CYCLE_1) | instskip(SKIP_4) | instid1(SALU_CYCLE_1)
	s_or_b32 exec_lo, exec_lo, s35
	s_waitcnt vmcnt(0)
	v_add_f64 v[11:12], v[11:12], -v[13:14]
	v_add_nc_u32_e32 v35, 1, v35
	s_add_i32 s34, s34, 1
	s_cmp_eq_u32 s34, s26
	s_delay_alu instid0(VALU_DEP_2) | instskip(NEXT) | instid1(VALU_DEP_1)
	v_div_scale_f64 v[13:14], null, v[7:8], v[7:8], v[11:12]
	v_rcp_f64_e32 v[15:16], v[13:14]
	s_waitcnt_depctr 0xfff
	v_fma_f64 v[17:18], -v[13:14], v[15:16], 1.0
	s_delay_alu instid0(VALU_DEP_1) | instskip(NEXT) | instid1(VALU_DEP_1)
	v_fma_f64 v[15:16], v[15:16], v[17:18], v[15:16]
	v_fma_f64 v[17:18], -v[13:14], v[15:16], 1.0
	s_delay_alu instid0(VALU_DEP_1) | instskip(SKIP_1) | instid1(VALU_DEP_1)
	v_fma_f64 v[15:16], v[15:16], v[17:18], v[15:16]
	v_div_scale_f64 v[17:18], vcc_lo, v[11:12], v[7:8], v[11:12]
	v_mul_f64 v[19:20], v[17:18], v[15:16]
	s_delay_alu instid0(VALU_DEP_1) | instskip(NEXT) | instid1(VALU_DEP_1)
	v_fma_f64 v[13:14], -v[13:14], v[19:20], v[17:18]
	v_div_fmas_f64 v[13:14], v[13:14], v[15:16], v[19:20]
	s_delay_alu instid0(VALU_DEP_1) | instskip(NEXT) | instid1(VALU_DEP_1)
	v_div_fixup_f64 v[7:8], v[13:14], v[7:8], v[11:12]
	v_fma_f64 v[4:5], v[7:8], v[7:8], v[4:5]
	global_store_b64 v[9:10], v[7:8], off
	s_cbranch_scc1 .LBB19_11
.LBB19_19:                              ;   Parent Loop BB19_7 Depth=1
                                        ;     Parent Loop BB19_12 Depth=2
                                        ; =>    This Loop Header: Depth=3
                                        ;         Child Loop BB19_21 Depth 4
                                        ;         Child Loop BB19_28 Depth 4
                                        ;           Child Loop BB19_30 Depth 5
                                        ;           Child Loop BB19_36 Depth 5
	s_mul_i32 s22, s34, s26
	s_delay_alu instid0(SALU_CYCLE_1) | instskip(NEXT) | instid1(VALU_DEP_1)
	v_add3_u32 v7, s22, s34, v34
	v_ashrrev_i32_e32 v8, 31, v7
	s_delay_alu instid0(VALU_DEP_1) | instskip(NEXT) | instid1(VALU_DEP_1)
	v_lshlrev_b64 v[7:8], 3, v[7:8]
	v_add_co_u32 v7, vcc_lo, s20, v7
	s_delay_alu instid0(VALU_DEP_2)
	v_add_co_ci_u32_e32 v8, vcc_lo, s21, v8, vcc_lo
	global_load_b64 v[7:8], v[7:8], off
	s_waitcnt vmcnt(0)
	v_cmp_neq_f64_e32 vcc_lo, 0, v[7:8]
	v_cndmask_b32_e32 v8, 0x3ff00000, v8, vcc_lo
	v_cndmask_b32_e32 v7, 0, v7, vcc_lo
	s_or_b32 s35, vcc_lo, s0
	s_delay_alu instid0(SALU_CYCLE_1) | instskip(NEXT) | instid1(SALU_CYCLE_1)
	s_xor_b32 s36, s35, -1
	s_and_saveexec_b32 s35, s36
	s_cbranch_execz .LBB19_25
; %bb.20:                               ;   in Loop: Header=BB19_19 Depth=3
	s_mov_b32 s37, exec_lo
	s_brev_b32 s36, -2
.LBB19_21:                              ;   Parent Loop BB19_7 Depth=1
                                        ;     Parent Loop BB19_12 Depth=2
                                        ;       Parent Loop BB19_19 Depth=3
                                        ; =>      This Inner Loop Header: Depth=4
	s_ctz_i32_b32 s38, s37
	s_delay_alu instid0(SALU_CYCLE_1) | instskip(SKIP_1) | instid1(SALU_CYCLE_1)
	v_readlane_b32 s39, v30, s38
	s_lshl_b32 s38, 1, s38
	s_and_not1_b32 s37, s37, s38
	s_delay_alu instid0(VALU_DEP_1)
	s_min_i32 s36, s36, s39
	s_cmp_lg_u32 s37, 0
	s_cbranch_scc1 .LBB19_21
; %bb.22:                               ;   in Loop: Header=BB19_19 Depth=3
	v_mbcnt_lo_u32_b32 v7, exec_lo, 0
	s_mov_b32 s37, exec_lo
	s_delay_alu instid0(VALU_DEP_1)
	v_cmpx_eq_u32_e32 0, v7
	s_xor_b32 s37, exec_lo, s37
	s_cbranch_execz .LBB19_24
; %bb.23:                               ;   in Loop: Header=BB19_19 Depth=3
	v_mov_b32_e32 v7, s36
	global_atomic_min_i32 v24, v7, s[14:15]
.LBB19_24:                              ;   in Loop: Header=BB19_19 Depth=3
	s_or_b32 exec_lo, exec_lo, s37
	v_mov_b32_e32 v7, 0
	v_mov_b32_e32 v8, 0x3ff00000
.LBB19_25:                              ;   in Loop: Header=BB19_19 Depth=3
	s_or_b32 exec_lo, exec_lo, s35
	v_add_nc_u32_e32 v9, s22, v36
	v_dual_mov_b32 v13, 0 :: v_dual_add_nc_u32 v10, s34, v37
	v_mov_b32_e32 v14, 0
	s_delay_alu instid0(VALU_DEP_2) | instskip(NEXT) | instid1(VALU_DEP_1)
	v_cndmask_b32_e64 v9, v9, v10, s1
	v_ashrrev_i32_e32 v10, 31, v9
	s_delay_alu instid0(VALU_DEP_1) | instskip(NEXT) | instid1(VALU_DEP_1)
	v_lshlrev_b64 v[9:10], 3, v[9:10]
	v_add_co_u32 v9, vcc_lo, s20, v9
	s_delay_alu instid0(VALU_DEP_2)
	v_add_co_ci_u32_e32 v10, vcc_lo, s21, v10, vcc_lo
	global_load_b64 v[11:12], v[9:10], off
	s_and_saveexec_b32 s35, s6
	s_cbranch_execz .LBB19_18
; %bb.26:                               ;   in Loop: Header=BB19_19 Depth=3
	global_load_b32 v38, v[2:3], off
	v_dual_mov_b32 v13, 0 :: v_dual_mov_b32 v40, v35
	v_dual_mov_b32 v14, 0 :: v_dual_add_nc_u32 v39, s34, v33
	v_mov_b32_e32 v15, v32
	s_mov_b32 s36, 0
	s_branch .LBB19_28
.LBB19_27:                              ;   in Loop: Header=BB19_28 Depth=4
	s_set_inst_prefetch_distance 0x2
	s_or_b32 exec_lo, exec_lo, s37
	v_add_nc_u32_e32 v16, 1, v15
	v_cmp_ge_i32_e32 vcc_lo, v15, v31
	s_delay_alu instid0(VALU_DEP_2) | instskip(SKIP_1) | instid1(SALU_CYCLE_1)
	v_dual_mov_b32 v15, v16 :: v_dual_add_nc_u32 v40, s28, v40
	s_or_b32 s36, vcc_lo, s36
	s_and_not1_b32 exec_lo, exec_lo, s36
	s_cbranch_execz .LBB19_17
.LBB19_28:                              ;   Parent Loop BB19_7 Depth=1
                                        ;     Parent Loop BB19_12 Depth=2
                                        ;       Parent Loop BB19_19 Depth=3
                                        ; =>      This Loop Header: Depth=4
                                        ;           Child Loop BB19_30 Depth 5
                                        ;           Child Loop BB19_36 Depth 5
	s_delay_alu instid0(VALU_DEP_1) | instskip(NEXT) | instid1(VALU_DEP_1)
	v_ashrrev_i32_e32 v16, 31, v15
	v_lshlrev_b64 v[16:17], 2, v[15:16]
	s_delay_alu instid0(VALU_DEP_1) | instskip(NEXT) | instid1(VALU_DEP_2)
	v_add_co_u32 v16, vcc_lo, s18, v16
	v_add_co_ci_u32_e32 v17, vcc_lo, s19, v17, vcc_lo
	global_load_b32 v18, v[16:17], off
	s_waitcnt vmcnt(1)
	v_dual_mov_b32 v17, v38 :: v_dual_mov_b32 v16, v1
	s_and_saveexec_b32 s37, s4
	s_cbranch_execz .LBB19_32
; %bb.29:                               ;   in Loop: Header=BB19_28 Depth=4
	v_dual_mov_b32 v17, v38 :: v_dual_mov_b32 v16, v1
	v_dual_mov_b32 v19, v22 :: v_dual_mov_b32 v20, v21
	s_mov_b32 s38, 0
	.p2align	6
.LBB19_30:                              ;   Parent Loop BB19_7 Depth=1
                                        ;     Parent Loop BB19_12 Depth=2
                                        ;       Parent Loop BB19_19 Depth=3
                                        ;         Parent Loop BB19_28 Depth=4
                                        ; =>        This Inner Loop Header: Depth=5
	s_delay_alu instid0(VALU_DEP_2) | instskip(SKIP_2) | instid1(VALU_DEP_2)
	v_add_nc_u32_e32 v41, 1, v16
	s_waitcnt vmcnt(0)
	v_cmp_lt_i32_e32 vcc_lo, v17, v18
	v_cndmask_b32_e32 v20, v20, v41, vcc_lo
	v_cndmask_b32_e32 v19, v16, v19, vcc_lo
	s_delay_alu instid0(VALU_DEP_1) | instskip(NEXT) | instid1(VALU_DEP_1)
	v_add_nc_u32_e32 v16, v19, v20
	v_ashrrev_i32_e32 v16, 1, v16
	s_delay_alu instid0(VALU_DEP_1) | instskip(NEXT) | instid1(VALU_DEP_1)
	v_ashrrev_i32_e32 v17, 31, v16
	v_lshlrev_b64 v[41:42], 2, v[16:17]
	s_delay_alu instid0(VALU_DEP_1) | instskip(NEXT) | instid1(VALU_DEP_2)
	v_add_co_u32 v41, vcc_lo, s18, v41
	v_add_co_ci_u32_e32 v42, vcc_lo, s19, v42, vcc_lo
	v_cmp_ge_i32_e32 vcc_lo, v20, v19
	global_load_b32 v17, v[41:42], off
	s_or_b32 s38, vcc_lo, s38
	s_delay_alu instid0(SALU_CYCLE_1)
	s_and_not1_b32 exec_lo, exec_lo, s38
	s_cbranch_execnz .LBB19_30
; %bb.31:                               ;   in Loop: Header=BB19_28 Depth=4
	s_or_b32 exec_lo, exec_lo, s38
.LBB19_32:                              ;   in Loop: Header=BB19_28 Depth=4
	s_delay_alu instid0(SALU_CYCLE_1) | instskip(NEXT) | instid1(SALU_CYCLE_1)
	s_or_b32 exec_lo, exec_lo, s37
	s_mov_b32 s37, exec_lo
	s_waitcnt vmcnt(0)
	v_cmpx_eq_u32_e64 v17, v18
	s_cbranch_execz .LBB19_27
; %bb.33:                               ;   in Loop: Header=BB19_28 Depth=4
	v_mul_lo_u32 v19, v16, s28
	v_subrev_nc_u32_e32 v18, s23, v18
	v_mad_u64_u32 v[16:17], null, v15, s28, s[22:23]
	v_mov_b32_e32 v44, v40
	s_mov_b32 s38, 0
	s_delay_alu instid0(VALU_DEP_3)
	v_mul_lo_u32 v41, v18, s26
	v_add_nc_u32_e32 v42, v19, v29
	v_add_nc_u32_e32 v43, v28, v19
	s_set_inst_prefetch_distance 0x1
	s_branch .LBB19_36
	.p2align	6
.LBB19_34:                              ;   in Loop: Header=BB19_36 Depth=5
	s_delay_alu instid0(VALU_DEP_1) | instskip(NEXT) | instid1(VALU_DEP_2)
	v_ashrrev_i32_e32 v20, 31, v19
	v_ashrrev_i32_e32 v18, 31, v17
	s_delay_alu instid0(VALU_DEP_2) | instskip(NEXT) | instid1(VALU_DEP_2)
	v_lshlrev_b64 v[19:20], 3, v[19:20]
	v_lshlrev_b64 v[17:18], 3, v[17:18]
	s_delay_alu instid0(VALU_DEP_2) | instskip(NEXT) | instid1(VALU_DEP_3)
	v_add_co_u32 v19, vcc_lo, s20, v19
	v_add_co_ci_u32_e32 v20, vcc_lo, s21, v20, vcc_lo
	s_delay_alu instid0(VALU_DEP_3) | instskip(NEXT) | instid1(VALU_DEP_4)
	v_add_co_u32 v17, vcc_lo, s20, v17
	v_add_co_ci_u32_e32 v18, vcc_lo, s21, v18, vcc_lo
	s_clause 0x1
	global_load_b64 v[19:20], v[19:20], off
	global_load_b64 v[17:18], v[17:18], off
	s_waitcnt vmcnt(0)
	v_fma_f64 v[13:14], v[19:20], v[17:18], v[13:14]
.LBB19_35:                              ;   in Loop: Header=BB19_36 Depth=5
	s_or_b32 exec_lo, exec_lo, s39
	v_add_nc_u32_e32 v43, s26, v43
	v_add_nc_u32_e32 v44, s26, v44
	s_add_i32 s38, s38, 1
	s_delay_alu instid0(SALU_CYCLE_1)
	s_cmp_lg_u32 s26, s38
	s_cbranch_scc0 .LBB19_27
.LBB19_36:                              ;   Parent Loop BB19_7 Depth=1
                                        ;     Parent Loop BB19_12 Depth=2
                                        ;       Parent Loop BB19_19 Depth=3
                                        ;         Parent Loop BB19_28 Depth=4
                                        ; =>        This Inner Loop Header: Depth=5
	s_delay_alu instid0(VALU_DEP_3) | instskip(SKIP_1) | instid1(VALU_DEP_1)
	v_add_nc_u32_e32 v17, s38, v41
	s_mov_b32 s39, exec_lo
	v_cmpx_lt_i32_e64 v17, v39
	s_cbranch_execz .LBB19_35
; %bb.37:                               ;   in Loop: Header=BB19_36 Depth=5
	v_mov_b32_e32 v17, v43
	v_mov_b32_e32 v19, v44
	s_and_not1_b32 vcc_lo, exec_lo, s1
	s_cbranch_vccnz .LBB19_34
; %bb.38:                               ;   in Loop: Header=BB19_36 Depth=5
	v_add_nc_u32_e32 v19, s38, v16
	v_add_nc_u32_e32 v17, s38, v42
	s_branch .LBB19_34
.LBB19_39:                              ;   in Loop: Header=BB19_7 Depth=1
	s_or_b32 exec_lo, exec_lo, s7
.LBB19_40:                              ;   in Loop: Header=BB19_7 Depth=1
	s_delay_alu instid0(SALU_CYCLE_1) | instskip(NEXT) | instid1(VALU_DEP_2)
	s_or_b32 exec_lo, exec_lo, s31
	v_add_nc_u32_e32 v18, v29, v26
	v_mov_b32_e32 v19, v25
	s_mov_b32 s5, 0
	s_branch .LBB19_43
.LBB19_41:                              ;   in Loop: Header=BB19_43 Depth=2
	s_set_inst_prefetch_distance 0x2
	s_waitcnt vmcnt(0)
	s_delay_alu instid0(VALU_DEP_1) | instskip(NEXT) | instid1(VALU_DEP_1)
	v_add_f64 v[10:11], v[10:11], -v[12:13]
	v_div_scale_f64 v[12:13], null, v[6:7], v[6:7], v[10:11]
	s_delay_alu instid0(VALU_DEP_1) | instskip(SKIP_2) | instid1(VALU_DEP_1)
	v_rcp_f64_e32 v[14:15], v[12:13]
	s_waitcnt_depctr 0xfff
	v_fma_f64 v[16:17], -v[12:13], v[14:15], 1.0
	v_fma_f64 v[14:15], v[14:15], v[16:17], v[14:15]
	s_delay_alu instid0(VALU_DEP_1) | instskip(NEXT) | instid1(VALU_DEP_1)
	v_fma_f64 v[16:17], -v[12:13], v[14:15], 1.0
	v_fma_f64 v[14:15], v[14:15], v[16:17], v[14:15]
	v_div_scale_f64 v[16:17], vcc_lo, v[10:11], v[6:7], v[10:11]
	s_delay_alu instid0(VALU_DEP_1) | instskip(NEXT) | instid1(VALU_DEP_1)
	v_mul_f64 v[30:31], v[16:17], v[14:15]
	v_fma_f64 v[12:13], -v[12:13], v[30:31], v[16:17]
	s_delay_alu instid0(VALU_DEP_1) | instskip(NEXT) | instid1(VALU_DEP_1)
	v_div_fmas_f64 v[12:13], v[12:13], v[14:15], v[30:31]
	v_div_fixup_f64 v[6:7], v[12:13], v[6:7], v[10:11]
	s_delay_alu instid0(VALU_DEP_1)
	v_fma_f64 v[4:5], v[6:7], v[6:7], v[4:5]
	global_store_b64 v[8:9], v[6:7], off
.LBB19_42:                              ;   in Loop: Header=BB19_43 Depth=2
	s_or_b32 exec_lo, exec_lo, s7
	v_add_nc_u32_e32 v19, 1, v19
	s_add_i32 s5, s5, 1
	s_waitcnt_vscnt null, 0x0
	buffer_gl1_inv
	buffer_gl0_inv
	s_cmp_eq_u32 s5, s26
	s_cbranch_scc1 .LBB19_6
.LBB19_43:                              ;   Parent Loop BB19_7 Depth=1
                                        ; =>  This Loop Header: Depth=2
                                        ;       Child Loop BB19_47 Depth 3
                                        ;       Child Loop BB19_55 Depth 3
                                        ;         Child Loop BB19_57 Depth 4
                                        ;       Child Loop BB19_65 Depth 3
	s_mul_i32 s6, s5, s26
	s_mov_b32 s7, exec_lo
	v_add_nc_u32_e32 v20, s6, v26
	s_delay_alu instid0(VALU_DEP_1) | instskip(NEXT) | instid1(VALU_DEP_1)
	v_add_nc_u32_e32 v6, s5, v20
	v_ashrrev_i32_e32 v7, 31, v6
	s_delay_alu instid0(VALU_DEP_1)
	v_lshlrev_b64 v[6:7], 3, v[6:7]
	v_cmpx_eq_u32_e64 s5, v28
	s_cbranch_execz .LBB19_45
; %bb.44:                               ;   in Loop: Header=BB19_43 Depth=2
	s_delay_alu instid0(VALU_DEP_2) | instskip(NEXT) | instid1(VALU_DEP_3)
	v_add_co_u32 v8, vcc_lo, s20, v6
	v_add_co_ci_u32_e32 v9, vcc_lo, s21, v7, vcc_lo
	global_load_b64 v[10:11], v[8:9], off
	s_waitcnt vmcnt(0)
	v_add_f64 v[10:11], v[10:11], -v[4:5]
	s_delay_alu instid0(VALU_DEP_1) | instskip(SKIP_1) | instid1(VALU_DEP_1)
	v_cmp_gt_f64_e32 vcc_lo, 0, v[10:11]
	v_xor_b32_e32 v12, 0x80000000, v11
	v_dual_cndmask_b32 v11, v11, v12 :: v_dual_cndmask_b32 v10, v10, v10
	s_delay_alu instid0(VALU_DEP_1) | instskip(SKIP_1) | instid1(VALU_DEP_1)
	v_cmp_gt_f64_e32 vcc_lo, 0x10000000, v[10:11]
	v_cndmask_b32_e64 v12, 0, 1, vcc_lo
	v_lshlrev_b32_e32 v12, 8, v12
	s_delay_alu instid0(VALU_DEP_1) | instskip(NEXT) | instid1(VALU_DEP_1)
	v_ldexp_f64 v[10:11], v[10:11], v12
	v_rsq_f64_e32 v[12:13], v[10:11]
	s_waitcnt_depctr 0xfff
	v_mul_f64 v[14:15], v[10:11], v[12:13]
	v_mul_f64 v[12:13], v[12:13], 0.5
	s_delay_alu instid0(VALU_DEP_1) | instskip(NEXT) | instid1(VALU_DEP_1)
	v_fma_f64 v[16:17], -v[12:13], v[14:15], 0.5
	v_fma_f64 v[14:15], v[14:15], v[16:17], v[14:15]
	v_fma_f64 v[12:13], v[12:13], v[16:17], v[12:13]
	s_delay_alu instid0(VALU_DEP_2) | instskip(NEXT) | instid1(VALU_DEP_1)
	v_fma_f64 v[16:17], -v[14:15], v[14:15], v[10:11]
	v_fma_f64 v[14:15], v[16:17], v[12:13], v[14:15]
	s_delay_alu instid0(VALU_DEP_1) | instskip(NEXT) | instid1(VALU_DEP_1)
	v_fma_f64 v[16:17], -v[14:15], v[14:15], v[10:11]
	v_fma_f64 v[12:13], v[16:17], v[12:13], v[14:15]
	v_cndmask_b32_e64 v14, 0, 0xffffff80, vcc_lo
	v_cmp_class_f64_e64 vcc_lo, v[10:11], 0x260
	s_delay_alu instid0(VALU_DEP_2) | instskip(NEXT) | instid1(VALU_DEP_1)
	v_ldexp_f64 v[12:13], v[12:13], v14
	v_dual_cndmask_b32 v11, v13, v11 :: v_dual_cndmask_b32 v10, v12, v10
	global_store_b64 v[8:9], v[10:11], off
.LBB19_45:                              ;   in Loop: Header=BB19_43 Depth=2
	s_or_b32 exec_lo, exec_lo, s7
	s_delay_alu instid0(VALU_DEP_2) | instskip(NEXT) | instid1(VALU_DEP_3)
	v_add_co_u32 v6, vcc_lo, s20, v6
	v_add_co_ci_u32_e32 v7, vcc_lo, s21, v7, vcc_lo
	s_waitcnt_vscnt null, 0x0
	buffer_gl1_inv
	buffer_gl0_inv
	global_load_b64 v[6:7], v[6:7], off
	s_waitcnt vmcnt(0)
	v_cmp_neq_f64_e32 vcc_lo, 0, v[6:7]
	v_cndmask_b32_e32 v7, 0x3ff00000, v7, vcc_lo
	v_cndmask_b32_e32 v6, 0, v6, vcc_lo
	s_or_b32 s7, vcc_lo, s0
	s_delay_alu instid0(SALU_CYCLE_1) | instskip(NEXT) | instid1(SALU_CYCLE_1)
	s_xor_b32 s22, s7, -1
	s_and_saveexec_b32 s7, s22
	s_cbranch_execz .LBB19_51
; %bb.46:                               ;   in Loop: Header=BB19_43 Depth=2
	s_mov_b32 s31, exec_lo
	s_brev_b32 s22, -2
.LBB19_47:                              ;   Parent Loop BB19_7 Depth=1
                                        ;     Parent Loop BB19_43 Depth=2
                                        ; =>    This Inner Loop Header: Depth=3
	s_ctz_i32_b32 s33, s31
	s_delay_alu instid0(SALU_CYCLE_1) | instskip(SKIP_1) | instid1(SALU_CYCLE_1)
	v_readlane_b32 s34, v23, s33
	s_lshl_b32 s33, 1, s33
	s_and_not1_b32 s31, s31, s33
	s_delay_alu instid0(VALU_DEP_1)
	s_min_i32 s22, s22, s34
	s_cmp_lg_u32 s31, 0
	s_cbranch_scc1 .LBB19_47
; %bb.48:                               ;   in Loop: Header=BB19_43 Depth=2
	v_mbcnt_lo_u32_b32 v6, exec_lo, 0
	s_mov_b32 s31, exec_lo
	s_delay_alu instid0(VALU_DEP_1)
	v_cmpx_eq_u32_e32 0, v6
	s_xor_b32 s31, exec_lo, s31
	s_cbranch_execz .LBB19_50
; %bb.49:                               ;   in Loop: Header=BB19_43 Depth=2
	v_mov_b32_e32 v6, s22
	global_atomic_min_i32 v24, v6, s[14:15]
.LBB19_50:                              ;   in Loop: Header=BB19_43 Depth=2
	s_or_b32 exec_lo, exec_lo, s31
	v_mov_b32_e32 v6, 0
	v_mov_b32_e32 v7, 0x3ff00000
.LBB19_51:                              ;   in Loop: Header=BB19_43 Depth=2
	s_or_b32 exec_lo, exec_lo, s7
	s_delay_alu instid0(SALU_CYCLE_1)
	s_mov_b32 s7, exec_lo
	v_cmpx_lt_i32_e64 s5, v28
	s_cbranch_execz .LBB19_42
; %bb.52:                               ;   in Loop: Header=BB19_43 Depth=2
	v_add_nc_u32_e32 v8, v20, v28
	v_dual_mov_b32 v12, 0 :: v_dual_add_nc_u32 v9, s5, v18
	v_mov_b32_e32 v13, 0
	s_delay_alu instid0(VALU_DEP_2) | instskip(NEXT) | instid1(VALU_DEP_1)
	v_cndmask_b32_e64 v8, v8, v9, s1
	v_ashrrev_i32_e32 v9, 31, v8
	s_delay_alu instid0(VALU_DEP_1) | instskip(NEXT) | instid1(VALU_DEP_1)
	v_lshlrev_b64 v[8:9], 3, v[8:9]
	v_add_co_u32 v8, vcc_lo, s20, v8
	s_delay_alu instid0(VALU_DEP_2)
	v_add_co_ci_u32_e32 v9, vcc_lo, s21, v9, vcc_lo
	global_load_b64 v[10:11], v[8:9], off
	s_and_saveexec_b32 s22, s2
	s_cbranch_execz .LBB19_62
; %bb.53:                               ;   in Loop: Header=BB19_43 Depth=2
	v_dual_mov_b32 v12, 0 :: v_dual_mov_b32 v31, v27
	v_dual_mov_b32 v13, 0 :: v_dual_mov_b32 v30, v19
	v_mov_b32_e32 v32, v21
	s_mov_b32 s31, 0
	s_branch .LBB19_55
.LBB19_54:                              ;   in Loop: Header=BB19_55 Depth=3
	s_set_inst_prefetch_distance 0x2
	v_add_nc_u32_e32 v32, 1, v32
	v_add_nc_u32_e32 v31, s28, v31
	v_add_nc_u32_e32 v30, s28, v30
	s_delay_alu instid0(VALU_DEP_3) | instskip(SKIP_1) | instid1(SALU_CYCLE_1)
	v_cmp_le_i32_e32 vcc_lo, s25, v32
	s_or_b32 s31, vcc_lo, s31
	s_and_not1_b32 exec_lo, exec_lo, s31
	s_cbranch_execz .LBB19_61
.LBB19_55:                              ;   Parent Loop BB19_7 Depth=1
                                        ;     Parent Loop BB19_43 Depth=2
                                        ; =>    This Loop Header: Depth=3
                                        ;         Child Loop BB19_57 Depth 4
	s_delay_alu instid0(VALU_DEP_1) | instskip(SKIP_3) | instid1(VALU_DEP_1)
	v_mul_lo_u32 v14, v32, s28
	s_mov_b32 s33, s26
	s_mov_b32 s34, 0
	;; [unrolled: 1-line block ×3, first 2 shown]
	v_add_nc_u32_e32 v33, s6, v14
	v_add_nc_u32_e32 v34, v14, v29
	s_set_inst_prefetch_distance 0x1
	s_branch .LBB19_57
	.p2align	6
.LBB19_56:                              ;   in Loop: Header=BB19_57 Depth=4
	s_delay_alu instid0(VALU_DEP_2) | instskip(NEXT) | instid1(VALU_DEP_2)
	v_ashrrev_i32_e32 v15, 31, v14
	v_ashrrev_i32_e32 v17, 31, v16
	s_add_i32 s33, s33, -1
	s_add_i32 s35, s35, 1
	s_add_i32 s34, s34, s26
	v_lshlrev_b64 v[14:15], 3, v[14:15]
	v_lshlrev_b64 v[16:17], 3, v[16:17]
	s_cmp_eq_u32 s33, 0
	s_delay_alu instid0(VALU_DEP_2) | instskip(NEXT) | instid1(VALU_DEP_3)
	v_add_co_u32 v14, vcc_lo, s20, v14
	v_add_co_ci_u32_e32 v15, vcc_lo, s21, v15, vcc_lo
	s_delay_alu instid0(VALU_DEP_3) | instskip(NEXT) | instid1(VALU_DEP_4)
	v_add_co_u32 v16, vcc_lo, s20, v16
	v_add_co_ci_u32_e32 v17, vcc_lo, s21, v17, vcc_lo
	s_clause 0x1
	global_load_b64 v[14:15], v[14:15], off
	global_load_b64 v[16:17], v[16:17], off
	s_waitcnt vmcnt(0)
	v_fma_f64 v[12:13], v[14:15], v[16:17], v[12:13]
	s_cbranch_scc1 .LBB19_54
.LBB19_57:                              ;   Parent Loop BB19_7 Depth=1
                                        ;     Parent Loop BB19_43 Depth=2
                                        ;       Parent Loop BB19_55 Depth=3
                                        ; =>      This Inner Loop Header: Depth=4
	s_and_b32 vcc_lo, exec_lo, s30
	s_cbranch_vccz .LBB19_59
; %bb.58:                               ;   in Loop: Header=BB19_57 Depth=4
	v_add_nc_u32_e32 v14, s34, v30
	v_add_nc_u32_e32 v16, s34, v31
	s_cbranch_execnz .LBB19_56
	s_branch .LBB19_60
	.p2align	6
.LBB19_59:                              ;   in Loop: Header=BB19_57 Depth=4
                                        ; implicit-def: $vgpr14
                                        ; implicit-def: $vgpr16
.LBB19_60:                              ;   in Loop: Header=BB19_57 Depth=4
	v_add_nc_u32_e32 v14, s35, v33
	v_add_nc_u32_e32 v16, s35, v34
	s_branch .LBB19_56
.LBB19_61:                              ;   in Loop: Header=BB19_43 Depth=2
	s_or_b32 exec_lo, exec_lo, s31
.LBB19_62:                              ;   in Loop: Header=BB19_43 Depth=2
	s_delay_alu instid0(SALU_CYCLE_1)
	s_or_b32 exec_lo, exec_lo, s22
	s_cmp_eq_u32 s5, 0
	s_cbranch_scc1 .LBB19_41
; %bb.63:                               ;   in Loop: Header=BB19_43 Depth=2
	v_mov_b32_e32 v30, v26
	s_mov_b32 s6, 0
	s_set_inst_prefetch_distance 0x1
	s_branch .LBB19_65
	.p2align	6
.LBB19_64:                              ;   in Loop: Header=BB19_65 Depth=3
	s_delay_alu instid0(VALU_DEP_2) | instskip(NEXT) | instid1(VALU_DEP_2)
	v_ashrrev_i32_e32 v15, 31, v14
	v_ashrrev_i32_e32 v17, 31, v16
	v_add_nc_u32_e32 v30, s26, v30
	s_add_i32 s6, s6, 1
	s_delay_alu instid0(SALU_CYCLE_1) | instskip(SKIP_2) | instid1(VALU_DEP_2)
	s_cmp_ge_u32 s6, s5
	v_lshlrev_b64 v[14:15], 3, v[14:15]
	v_lshlrev_b64 v[16:17], 3, v[16:17]
	v_add_co_u32 v14, vcc_lo, s20, v14
	s_delay_alu instid0(VALU_DEP_3) | instskip(NEXT) | instid1(VALU_DEP_3)
	v_add_co_ci_u32_e32 v15, vcc_lo, s21, v15, vcc_lo
	v_add_co_u32 v16, vcc_lo, s20, v16
	s_delay_alu instid0(VALU_DEP_4)
	v_add_co_ci_u32_e32 v17, vcc_lo, s21, v17, vcc_lo
	s_clause 0x1
	global_load_b64 v[14:15], v[14:15], off
	global_load_b64 v[16:17], v[16:17], off
	s_waitcnt vmcnt(0)
	v_fma_f64 v[12:13], v[14:15], v[16:17], v[12:13]
	s_cbranch_scc1 .LBB19_41
.LBB19_65:                              ;   Parent Loop BB19_7 Depth=1
                                        ;     Parent Loop BB19_43 Depth=2
                                        ; =>    This Inner Loop Header: Depth=3
	s_and_b32 vcc_lo, exec_lo, s30
	s_cbranch_vccz .LBB19_67
; %bb.66:                               ;   in Loop: Header=BB19_65 Depth=3
	v_add_nc_u32_e32 v14, s5, v30
	v_add_nc_u32_e32 v16, v28, v30
	s_cbranch_execnz .LBB19_64
	s_branch .LBB19_68
	.p2align	6
.LBB19_67:                              ;   in Loop: Header=BB19_65 Depth=3
                                        ; implicit-def: $vgpr14
                                        ; implicit-def: $vgpr16
.LBB19_68:                              ;   in Loop: Header=BB19_65 Depth=3
	v_add_nc_u32_e32 v14, s6, v20
	v_add_nc_u32_e32 v16, s6, v18
	s_branch .LBB19_64
.LBB19_69:
	s_or_b32 exec_lo, exec_lo, s27
	v_cmp_eq_u32_e32 vcc_lo, 31, v0
                                        ; implicit-def: $vgpr0
                                        ; implicit-def: $vgpr2_vgpr3
	s_and_b32 s2, vcc_lo, exec_lo
	s_and_not1_saveexec_b32 s0, s24
	s_cbranch_execz .LBB19_2
.LBB19_70:
	s_mov_b32 s3, s2
	s_mov_b32 s1, exec_lo
	v_cmpx_eq_u32_e32 31, v0
	s_cbranch_execz .LBB19_76
; %bb.71:
	v_add_nc_u32_e32 v0, s23, v2
	s_mov_b32 s4, exec_lo
	s_brev_b32 s3, -2
.LBB19_72:                              ; =>This Inner Loop Header: Depth=1
	s_ctz_i32_b32 s5, s4
	s_delay_alu instid0(VALU_DEP_1) | instid1(SALU_CYCLE_1)
	v_readlane_b32 s6, v0, s5
	s_lshl_b32 s5, 1, s5
	s_delay_alu instid0(SALU_CYCLE_1) | instskip(NEXT) | instid1(VALU_DEP_1)
	s_and_not1_b32 s4, s4, s5
	s_min_i32 s3, s3, s6
	s_cmp_lg_u32 s4, 0
	s_cbranch_scc1 .LBB19_72
; %bb.73:
	v_mbcnt_lo_u32_b32 v0, exec_lo, 0
	s_mov_b32 s4, exec_lo
	s_delay_alu instid0(VALU_DEP_1)
	v_cmpx_eq_u32_e32 0, v0
	s_xor_b32 s4, exec_lo, s4
	s_cbranch_execz .LBB19_75
; %bb.74:
	v_dual_mov_b32 v0, 0 :: v_dual_mov_b32 v1, s3
	global_atomic_min_i32 v0, v1, s[14:15]
.LBB19_75:
	s_or_b32 exec_lo, exec_lo, s4
	s_delay_alu instid0(SALU_CYCLE_1)
	s_or_b32 s3, s2, exec_lo
.LBB19_76:
	s_or_b32 exec_lo, exec_lo, s1
	s_delay_alu instid0(SALU_CYCLE_1) | instskip(SKIP_1) | instid1(SALU_CYCLE_1)
	s_and_not1_b32 s1, s2, exec_lo
	s_and_b32 s2, s3, exec_lo
	s_or_b32 s2, s1, s2
	s_or_b32 exec_lo, exec_lo, s0
	s_and_saveexec_b32 s0, s2
	s_cbranch_execz .LBB19_3
.LBB19_77:
	v_lshlrev_b64 v[0:1], 2, s[12:13]
	v_mov_b32_e32 v2, 1
	s_delay_alu instid0(VALU_DEP_2) | instskip(NEXT) | instid1(VALU_DEP_3)
	v_add_co_u32 v0, vcc_lo, s10, v0
	v_add_co_ci_u32_e32 v1, vcc_lo, s11, v1, vcc_lo
	s_waitcnt_vscnt null, 0x0
	global_store_b32 v[0:1], v2, off
	s_nop 0
	s_sendmsg sendmsg(MSG_DEALLOC_VGPRS)
	s_endpgm
	.section	.rodata,"a",@progbits
	.p2align	6, 0x0
	.amdhsa_kernel _ZN9rocsparseL23bsric0_binsearch_kernelILj32ELj32ELb0EdEEv20rocsparse_direction_iiPKiS3_PT2_S3_PiS3_S6_21rocsparse_index_base_
		.amdhsa_group_segment_fixed_size 0
		.amdhsa_private_segment_fixed_size 0
		.amdhsa_kernarg_size 76
		.amdhsa_user_sgpr_count 15
		.amdhsa_user_sgpr_dispatch_ptr 0
		.amdhsa_user_sgpr_queue_ptr 0
		.amdhsa_user_sgpr_kernarg_segment_ptr 1
		.amdhsa_user_sgpr_dispatch_id 0
		.amdhsa_user_sgpr_private_segment_size 0
		.amdhsa_wavefront_size32 1
		.amdhsa_uses_dynamic_stack 0
		.amdhsa_enable_private_segment 0
		.amdhsa_system_sgpr_workgroup_id_x 1
		.amdhsa_system_sgpr_workgroup_id_y 0
		.amdhsa_system_sgpr_workgroup_id_z 0
		.amdhsa_system_sgpr_workgroup_info 0
		.amdhsa_system_vgpr_workitem_id 0
		.amdhsa_next_free_vgpr 45
		.amdhsa_next_free_sgpr 40
		.amdhsa_reserve_vcc 1
		.amdhsa_float_round_mode_32 0
		.amdhsa_float_round_mode_16_64 0
		.amdhsa_float_denorm_mode_32 3
		.amdhsa_float_denorm_mode_16_64 3
		.amdhsa_dx10_clamp 1
		.amdhsa_ieee_mode 1
		.amdhsa_fp16_overflow 0
		.amdhsa_workgroup_processor_mode 1
		.amdhsa_memory_ordered 1
		.amdhsa_forward_progress 0
		.amdhsa_shared_vgpr_count 0
		.amdhsa_exception_fp_ieee_invalid_op 0
		.amdhsa_exception_fp_denorm_src 0
		.amdhsa_exception_fp_ieee_div_zero 0
		.amdhsa_exception_fp_ieee_overflow 0
		.amdhsa_exception_fp_ieee_underflow 0
		.amdhsa_exception_fp_ieee_inexact 0
		.amdhsa_exception_int_div_zero 0
	.end_amdhsa_kernel
	.section	.text._ZN9rocsparseL23bsric0_binsearch_kernelILj32ELj32ELb0EdEEv20rocsparse_direction_iiPKiS3_PT2_S3_PiS3_S6_21rocsparse_index_base_,"axG",@progbits,_ZN9rocsparseL23bsric0_binsearch_kernelILj32ELj32ELb0EdEEv20rocsparse_direction_iiPKiS3_PT2_S3_PiS3_S6_21rocsparse_index_base_,comdat
.Lfunc_end19:
	.size	_ZN9rocsparseL23bsric0_binsearch_kernelILj32ELj32ELb0EdEEv20rocsparse_direction_iiPKiS3_PT2_S3_PiS3_S6_21rocsparse_index_base_, .Lfunc_end19-_ZN9rocsparseL23bsric0_binsearch_kernelILj32ELj32ELb0EdEEv20rocsparse_direction_iiPKiS3_PT2_S3_PiS3_S6_21rocsparse_index_base_
                                        ; -- End function
	.section	.AMDGPU.csdata,"",@progbits
; Kernel info:
; codeLenInByte = 3244
; NumSgprs: 42
; NumVgprs: 45
; ScratchSize: 0
; MemoryBound: 0
; FloatMode: 240
; IeeeMode: 1
; LDSByteSize: 0 bytes/workgroup (compile time only)
; SGPRBlocks: 5
; VGPRBlocks: 5
; NumSGPRsForWavesPerEU: 42
; NumVGPRsForWavesPerEU: 45
; Occupancy: 16
; WaveLimiterHint : 1
; COMPUTE_PGM_RSRC2:SCRATCH_EN: 0
; COMPUTE_PGM_RSRC2:USER_SGPR: 15
; COMPUTE_PGM_RSRC2:TRAP_HANDLER: 0
; COMPUTE_PGM_RSRC2:TGID_X_EN: 1
; COMPUTE_PGM_RSRC2:TGID_Y_EN: 0
; COMPUTE_PGM_RSRC2:TGID_Z_EN: 0
; COMPUTE_PGM_RSRC2:TIDIG_COMP_CNT: 0
	.section	.text._ZN9rocsparseL23bsric0_binsearch_kernelILj64ELj64ELb1EdEEv20rocsparse_direction_iiPKiS3_PT2_S3_PiS3_S6_21rocsparse_index_base_,"axG",@progbits,_ZN9rocsparseL23bsric0_binsearch_kernelILj64ELj64ELb1EdEEv20rocsparse_direction_iiPKiS3_PT2_S3_PiS3_S6_21rocsparse_index_base_,comdat
	.globl	_ZN9rocsparseL23bsric0_binsearch_kernelILj64ELj64ELb1EdEEv20rocsparse_direction_iiPKiS3_PT2_S3_PiS3_S6_21rocsparse_index_base_ ; -- Begin function _ZN9rocsparseL23bsric0_binsearch_kernelILj64ELj64ELb1EdEEv20rocsparse_direction_iiPKiS3_PT2_S3_PiS3_S6_21rocsparse_index_base_
	.p2align	8
	.type	_ZN9rocsparseL23bsric0_binsearch_kernelILj64ELj64ELb1EdEEv20rocsparse_direction_iiPKiS3_PT2_S3_PiS3_S6_21rocsparse_index_base_,@function
_ZN9rocsparseL23bsric0_binsearch_kernelILj64ELj64ELb1EdEEv20rocsparse_direction_iiPKiS3_PT2_S3_PiS3_S6_21rocsparse_index_base_: ; @_ZN9rocsparseL23bsric0_binsearch_kernelILj64ELj64ELb1EdEEv20rocsparse_direction_iiPKiS3_PT2_S3_PiS3_S6_21rocsparse_index_base_
; %bb.0:
	s_mov_b32 s2, s15
	s_load_b256 s[8:15], s[0:1], 0x28
	s_ashr_i32 s3, s2, 31
	s_delay_alu instid0(SALU_CYCLE_1)
	s_lshl_b64 s[2:3], s[2:3], 2
	s_waitcnt lgkmcnt(0)
	s_add_u32 s2, s12, s2
	s_addc_u32 s3, s13, s3
	s_load_b32 s12, s[2:3], 0x0
	s_waitcnt lgkmcnt(0)
	s_ashr_i32 s13, s12, 31
	s_delay_alu instid0(SALU_CYCLE_1) | instskip(SKIP_1) | instid1(SALU_CYCLE_1)
	v_dual_mov_b32 v2, s12 :: v_dual_mov_b32 v3, s13
	s_lshl_b64 s[2:3], s[12:13], 2
	s_add_u32 s2, s8, s2
	s_addc_u32 s3, s9, s3
	s_load_b32 s25, s[2:3], 0x0
	s_load_b32 s23, s[0:1], 0x48
	s_mov_b32 s2, 0
	s_waitcnt lgkmcnt(0)
	s_cmp_lg_u32 s25, -1
	s_cselect_b32 s3, -1, 0
	s_delay_alu instid0(SALU_CYCLE_1) | instskip(NEXT) | instid1(SALU_CYCLE_1)
	s_and_saveexec_b32 s4, s3
	s_xor_b32 s24, exec_lo, s4
	s_cbranch_execnz .LBB20_4
; %bb.1:
	s_and_not1_saveexec_b32 s0, s24
	s_cbranch_execnz .LBB20_72
.LBB20_2:
	s_or_b32 exec_lo, exec_lo, s0
	s_and_saveexec_b32 s0, s2
	s_cbranch_execnz .LBB20_79
.LBB20_3:
	s_nop 0
	s_sendmsg sendmsg(MSG_DEALLOC_VGPRS)
	s_endpgm
.LBB20_4:
	s_load_b32 s26, s[0:1], 0x8
	s_mov_b32 s27, exec_lo
	s_waitcnt lgkmcnt(0)
	v_cmpx_gt_i32_e64 s26, v0
	s_cbranch_execz .LBB20_71
; %bb.5:
	s_clause 0x1
	s_load_b128 s[16:19], s[0:1], 0x10
	s_load_b32 s5, s[0:1], 0x0
	v_lshlrev_b64 v[3:4], 2, s[12:13]
	s_load_b64 s[20:21], s[0:1], 0x20
	v_dual_mov_b32 v28, v0 :: v_dual_add_nc_u32 v23, s23, v2
	s_mul_i32 s28, s26, s26
	v_cmp_ne_u32_e64 s0, 0, v0
	v_mul_lo_u32 v26, s25, s28
	s_mov_b32 s29, 0
	v_mov_b32_e32 v24, 0
	s_waitcnt lgkmcnt(0)
	v_add_co_u32 v3, vcc_lo, s16, v3
	v_add_co_ci_u32_e32 v4, vcc_lo, s17, v4, vcc_lo
	s_cmp_eq_u32 s5, 0
	s_cselect_b32 s1, -1, 0
	global_load_b64 v[3:4], v[3:4], off
	s_cmp_lg_u32 s5, 0
	s_cselect_b32 s30, -1, 0
	s_waitcnt vmcnt(0)
	v_subrev_nc_u32_e32 v21, s23, v3
	v_xad_u32 v22, s23, -1, v4
	s_delay_alu instid0(VALU_DEP_2) | instskip(NEXT) | instid1(VALU_DEP_2)
	v_mul_lo_u32 v25, s28, v21
	v_add_nc_u32_e32 v1, v22, v21
	v_cmp_gt_i32_e64 s2, s25, v21
	v_cmp_le_i32_e64 s3, s25, v21
	v_cmp_lt_i32_e64 s4, v21, v22
	s_delay_alu instid0(VALU_DEP_4) | instskip(SKIP_1) | instid1(VALU_DEP_2)
	v_ashrrev_i32_e32 v1, 1, v1
	v_add_nc_u32_e32 v27, v25, v0
	v_ashrrev_i32_e32 v2, 31, v1
	s_delay_alu instid0(VALU_DEP_1) | instskip(NEXT) | instid1(VALU_DEP_1)
	v_lshlrev_b64 v[2:3], 2, v[1:2]
	v_add_co_u32 v2, vcc_lo, s18, v2
	s_delay_alu instid0(VALU_DEP_2)
	v_add_co_ci_u32_e32 v3, vcc_lo, s19, v3, vcc_lo
	s_branch .LBB20_7
.LBB20_6:                               ;   in Loop: Header=BB20_7 Depth=1
	v_add_nc_u32_e32 v28, 64, v28
	v_add_nc_u32_e32 v27, 64, v27
	s_delay_alu instid0(VALU_DEP_2) | instskip(SKIP_1) | instid1(SALU_CYCLE_1)
	v_cmp_le_i32_e32 vcc_lo, s26, v28
	s_or_b32 s29, vcc_lo, s29
	s_and_not1_b32 exec_lo, exec_lo, s29
	s_cbranch_execz .LBB20_71
.LBB20_7:                               ; =>This Loop Header: Depth=1
                                        ;     Child Loop BB20_12 Depth 2
                                        ;       Child Loop BB20_16 Depth 3
                                        ;         Child Loop BB20_17 Depth 4
                                        ;       Child Loop BB20_21 Depth 3
                                        ;         Child Loop BB20_23 Depth 4
                                        ;         Child Loop BB20_30 Depth 4
                                        ;           Child Loop BB20_32 Depth 5
                                        ;           Child Loop BB20_38 Depth 5
                                        ;     Child Loop BB20_45 Depth 2
                                        ;       Child Loop BB20_49 Depth 3
                                        ;       Child Loop BB20_57 Depth 3
                                        ;         Child Loop BB20_59 Depth 4
                                        ;       Child Loop BB20_67 Depth 3
	v_mul_lo_u32 v29, v28, s26
                                        ; implicit-def: $sgpr6_sgpr7
	s_and_saveexec_b32 s5, s3
	s_delay_alu instid0(SALU_CYCLE_1)
	s_xor_b32 s5, exec_lo, s5
; %bb.8:                                ;   in Loop: Header=BB20_7 Depth=1
	v_mul_lo_u32 v29, v28, s26
	s_mov_b64 s[6:7], 0
; %bb.9:                                ;   in Loop: Header=BB20_7 Depth=1
	s_or_saveexec_b32 s31, s5
	v_dual_mov_b32 v4, s6 :: v_dual_mov_b32 v5, s7
	s_xor_b32 exec_lo, exec_lo, s31
	s_cbranch_execz .LBB20_42
; %bb.10:                               ;   in Loop: Header=BB20_7 Depth=1
	v_mov_b32_e32 v4, 0
	v_dual_mov_b32 v5, 0 :: v_dual_mov_b32 v6, v21
	s_mov_b32 s7, 0
	s_branch .LBB20_12
.LBB20_11:                              ;   in Loop: Header=BB20_12 Depth=2
	s_or_b32 exec_lo, exec_lo, s33
	v_add_nc_u32_e32 v6, 1, v6
	s_xor_b32 s5, s5, -1
	s_delay_alu instid0(VALU_DEP_1) | instskip(SKIP_1) | instid1(SALU_CYCLE_1)
	v_cmp_le_i32_e32 vcc_lo, s25, v6
	s_or_b32 s5, s5, vcc_lo
	s_and_b32 s5, exec_lo, s5
	s_delay_alu instid0(SALU_CYCLE_1) | instskip(NEXT) | instid1(SALU_CYCLE_1)
	s_or_b32 s7, s5, s7
	s_and_not1_b32 exec_lo, exec_lo, s7
	s_cbranch_execz .LBB20_41
.LBB20_12:                              ;   Parent Loop BB20_7 Depth=1
                                        ; =>  This Loop Header: Depth=2
                                        ;       Child Loop BB20_16 Depth 3
                                        ;         Child Loop BB20_17 Depth 4
                                        ;       Child Loop BB20_21 Depth 3
                                        ;         Child Loop BB20_23 Depth 4
                                        ;         Child Loop BB20_30 Depth 4
                                        ;           Child Loop BB20_32 Depth 5
                                        ;           Child Loop BB20_38 Depth 5
	s_delay_alu instid0(VALU_DEP_1) | instskip(NEXT) | instid1(VALU_DEP_1)
	v_ashrrev_i32_e32 v7, 31, v6
	v_lshlrev_b64 v[7:8], 2, v[6:7]
	s_delay_alu instid0(VALU_DEP_1) | instskip(NEXT) | instid1(VALU_DEP_2)
	v_add_co_u32 v7, vcc_lo, s18, v7
	v_add_co_ci_u32_e32 v8, vcc_lo, s19, v8, vcc_lo
	global_load_b32 v30, v[7:8], off
	s_waitcnt vmcnt(0)
	v_subrev_nc_u32_e32 v7, s23, v30
	s_delay_alu instid0(VALU_DEP_1) | instskip(NEXT) | instid1(VALU_DEP_1)
	v_ashrrev_i32_e32 v8, 31, v7
	v_lshlrev_b64 v[8:9], 2, v[7:8]
	s_delay_alu instid0(VALU_DEP_1) | instskip(NEXT) | instid1(VALU_DEP_2)
	v_add_co_u32 v10, vcc_lo, s8, v8
	v_add_co_ci_u32_e32 v11, vcc_lo, s9, v9, vcc_lo
	global_load_b32 v31, v[10:11], off
	s_waitcnt vmcnt(0)
	v_cmp_ne_u32_e64 s5, -1, v31
	s_delay_alu instid0(VALU_DEP_1)
	s_and_saveexec_b32 s33, s5
	s_cbranch_execz .LBB20_11
; %bb.13:                               ;   in Loop: Header=BB20_12 Depth=2
	v_add_co_u32 v10, vcc_lo, s16, v8
	v_add_co_ci_u32_e32 v11, vcc_lo, s17, v9, vcc_lo
	v_add_co_u32 v8, vcc_lo, s10, v8
	v_add_co_ci_u32_e32 v9, vcc_lo, s11, v9, vcc_lo
	s_mov_b32 s6, exec_lo
	global_load_b32 v10, v[10:11], off
	global_load_b32 v11, v[8:9], off glc
	s_waitcnt vmcnt(0)
	v_cmpx_eq_u32_e32 0, v11
	s_cbranch_execz .LBB20_18
; %bb.14:                               ;   in Loop: Header=BB20_12 Depth=2
	s_mov_b32 s22, 0
	s_mov_b32 s34, 0
	s_branch .LBB20_16
	.p2align	6
.LBB20_15:                              ;   in Loop: Header=BB20_16 Depth=3
	global_load_b32 v11, v[8:9], off glc
	s_cmpk_lt_u32 s34, 0xf43
	s_cselect_b32 s35, -1, 0
	s_delay_alu instid0(SALU_CYCLE_1) | instskip(SKIP_4) | instid1(SALU_CYCLE_1)
	s_cmp_lg_u32 s35, 0
	s_addc_u32 s34, s34, 0
	s_waitcnt vmcnt(0)
	v_cmp_ne_u32_e32 vcc_lo, 0, v11
	s_or_b32 s22, vcc_lo, s22
	s_and_not1_b32 exec_lo, exec_lo, s22
	s_cbranch_execz .LBB20_18
.LBB20_16:                              ;   Parent Loop BB20_7 Depth=1
                                        ;     Parent Loop BB20_12 Depth=2
                                        ; =>    This Loop Header: Depth=3
                                        ;         Child Loop BB20_17 Depth 4
	s_cmp_eq_u32 s34, 0
	s_mov_b32 s35, s34
	s_cbranch_scc1 .LBB20_15
.LBB20_17:                              ;   Parent Loop BB20_7 Depth=1
                                        ;     Parent Loop BB20_12 Depth=2
                                        ;       Parent Loop BB20_16 Depth=3
                                        ; =>      This Inner Loop Header: Depth=4
	s_add_i32 s35, s35, -1
	s_sleep 1
	s_cmp_eq_u32 s35, 0
	s_cbranch_scc0 .LBB20_17
	s_branch .LBB20_15
.LBB20_18:                              ;   in Loop: Header=BB20_12 Depth=2
	s_or_b32 exec_lo, exec_lo, s6
	v_mul_lo_u32 v8, v6, s28
	v_subrev_nc_u32_e32 v32, s23, v10
	v_mul_lo_u32 v33, v7, s26
	v_mul_lo_u32 v34, v31, s28
	s_mov_b32 s34, 0
	buffer_gl1_inv
	buffer_gl0_inv
	v_mul_lo_u32 v35, s28, v32
	v_cmp_le_i32_e64 s6, v32, v31
	v_add_nc_u32_e32 v36, v8, v28
	v_add_nc_u32_e32 v37, v8, v29
	s_branch .LBB20_21
.LBB20_19:                              ;   in Loop: Header=BB20_21 Depth=3
	s_or_b32 exec_lo, exec_lo, s36
.LBB20_20:                              ;   in Loop: Header=BB20_21 Depth=3
	s_delay_alu instid0(SALU_CYCLE_1) | instskip(SKIP_4) | instid1(SALU_CYCLE_1)
	s_or_b32 exec_lo, exec_lo, s35
	s_waitcnt vmcnt(0)
	v_add_f64 v[11:12], v[11:12], -v[13:14]
	v_add_nc_u32_e32 v35, 1, v35
	s_add_i32 s34, s34, 1
	s_cmp_eq_u32 s34, s26
	s_delay_alu instid0(VALU_DEP_2) | instskip(NEXT) | instid1(VALU_DEP_1)
	v_div_scale_f64 v[13:14], null, v[7:8], v[7:8], v[11:12]
	v_rcp_f64_e32 v[15:16], v[13:14]
	s_waitcnt_depctr 0xfff
	v_fma_f64 v[17:18], -v[13:14], v[15:16], 1.0
	s_delay_alu instid0(VALU_DEP_1) | instskip(NEXT) | instid1(VALU_DEP_1)
	v_fma_f64 v[15:16], v[15:16], v[17:18], v[15:16]
	v_fma_f64 v[17:18], -v[13:14], v[15:16], 1.0
	s_delay_alu instid0(VALU_DEP_1) | instskip(SKIP_1) | instid1(VALU_DEP_1)
	v_fma_f64 v[15:16], v[15:16], v[17:18], v[15:16]
	v_div_scale_f64 v[17:18], vcc_lo, v[11:12], v[7:8], v[11:12]
	v_mul_f64 v[19:20], v[17:18], v[15:16]
	s_delay_alu instid0(VALU_DEP_1) | instskip(NEXT) | instid1(VALU_DEP_1)
	v_fma_f64 v[13:14], -v[13:14], v[19:20], v[17:18]
	v_div_fmas_f64 v[13:14], v[13:14], v[15:16], v[19:20]
	s_delay_alu instid0(VALU_DEP_1) | instskip(NEXT) | instid1(VALU_DEP_1)
	v_div_fixup_f64 v[7:8], v[13:14], v[7:8], v[11:12]
	v_fma_f64 v[4:5], v[7:8], v[7:8], v[4:5]
	global_store_b64 v[9:10], v[7:8], off
	s_cbranch_scc1 .LBB20_11
.LBB20_21:                              ;   Parent Loop BB20_7 Depth=1
                                        ;     Parent Loop BB20_12 Depth=2
                                        ; =>    This Loop Header: Depth=3
                                        ;         Child Loop BB20_23 Depth 4
                                        ;         Child Loop BB20_30 Depth 4
                                        ;           Child Loop BB20_32 Depth 5
                                        ;           Child Loop BB20_38 Depth 5
	s_mul_i32 s22, s34, s26
	s_delay_alu instid0(SALU_CYCLE_1) | instskip(NEXT) | instid1(VALU_DEP_1)
	v_add3_u32 v7, s22, s34, v34
	v_ashrrev_i32_e32 v8, 31, v7
	s_delay_alu instid0(VALU_DEP_1) | instskip(NEXT) | instid1(VALU_DEP_1)
	v_lshlrev_b64 v[7:8], 3, v[7:8]
	v_add_co_u32 v7, vcc_lo, s20, v7
	s_delay_alu instid0(VALU_DEP_2)
	v_add_co_ci_u32_e32 v8, vcc_lo, s21, v8, vcc_lo
	global_load_b64 v[7:8], v[7:8], off
	s_waitcnt vmcnt(0)
	v_cmp_neq_f64_e32 vcc_lo, 0, v[7:8]
	v_cndmask_b32_e32 v8, 0x3ff00000, v8, vcc_lo
	v_cndmask_b32_e32 v7, 0, v7, vcc_lo
	s_or_b32 s35, vcc_lo, s0
	s_delay_alu instid0(SALU_CYCLE_1) | instskip(NEXT) | instid1(SALU_CYCLE_1)
	s_xor_b32 s36, s35, -1
	s_and_saveexec_b32 s35, s36
	s_cbranch_execz .LBB20_27
; %bb.22:                               ;   in Loop: Header=BB20_21 Depth=3
	s_mov_b32 s37, exec_lo
	s_brev_b32 s36, -2
.LBB20_23:                              ;   Parent Loop BB20_7 Depth=1
                                        ;     Parent Loop BB20_12 Depth=2
                                        ;       Parent Loop BB20_21 Depth=3
                                        ; =>      This Inner Loop Header: Depth=4
	s_ctz_i32_b32 s38, s37
	s_delay_alu instid0(SALU_CYCLE_1) | instskip(SKIP_1) | instid1(SALU_CYCLE_1)
	v_readlane_b32 s39, v30, s38
	s_lshl_b32 s38, 1, s38
	s_and_not1_b32 s37, s37, s38
	s_delay_alu instid0(VALU_DEP_1)
	s_min_i32 s36, s36, s39
	s_cmp_lg_u32 s37, 0
	s_cbranch_scc1 .LBB20_23
; %bb.24:                               ;   in Loop: Header=BB20_21 Depth=3
	v_mbcnt_lo_u32_b32 v7, exec_lo, 0
	s_mov_b32 s37, exec_lo
	s_delay_alu instid0(VALU_DEP_1)
	v_cmpx_eq_u32_e32 0, v7
	s_xor_b32 s37, exec_lo, s37
	s_cbranch_execz .LBB20_26
; %bb.25:                               ;   in Loop: Header=BB20_21 Depth=3
	v_mov_b32_e32 v7, s36
	global_atomic_min_i32 v24, v7, s[14:15]
.LBB20_26:                              ;   in Loop: Header=BB20_21 Depth=3
	s_or_b32 exec_lo, exec_lo, s37
	v_mov_b32_e32 v7, 0
	v_mov_b32_e32 v8, 0x3ff00000
.LBB20_27:                              ;   in Loop: Header=BB20_21 Depth=3
	s_or_b32 exec_lo, exec_lo, s35
	v_add_nc_u32_e32 v9, s22, v36
	v_dual_mov_b32 v13, 0 :: v_dual_add_nc_u32 v10, s34, v37
	v_mov_b32_e32 v14, 0
	s_delay_alu instid0(VALU_DEP_2) | instskip(NEXT) | instid1(VALU_DEP_1)
	v_cndmask_b32_e64 v9, v9, v10, s1
	v_ashrrev_i32_e32 v10, 31, v9
	s_delay_alu instid0(VALU_DEP_1) | instskip(NEXT) | instid1(VALU_DEP_1)
	v_lshlrev_b64 v[9:10], 3, v[9:10]
	v_add_co_u32 v9, vcc_lo, s20, v9
	s_delay_alu instid0(VALU_DEP_2)
	v_add_co_ci_u32_e32 v10, vcc_lo, s21, v10, vcc_lo
	global_load_b64 v[11:12], v[9:10], off
	s_and_saveexec_b32 s35, s6
	s_cbranch_execz .LBB20_20
; %bb.28:                               ;   in Loop: Header=BB20_21 Depth=3
	global_load_b32 v38, v[2:3], off
	v_dual_mov_b32 v13, 0 :: v_dual_mov_b32 v40, v35
	v_dual_mov_b32 v14, 0 :: v_dual_add_nc_u32 v39, s34, v33
	v_mov_b32_e32 v15, v32
	s_mov_b32 s36, 0
	s_branch .LBB20_30
.LBB20_29:                              ;   in Loop: Header=BB20_30 Depth=4
	s_set_inst_prefetch_distance 0x2
	s_or_b32 exec_lo, exec_lo, s37
	v_add_nc_u32_e32 v16, 1, v15
	v_cmp_ge_i32_e32 vcc_lo, v15, v31
	s_delay_alu instid0(VALU_DEP_2) | instskip(SKIP_1) | instid1(SALU_CYCLE_1)
	v_dual_mov_b32 v15, v16 :: v_dual_add_nc_u32 v40, s28, v40
	s_or_b32 s36, vcc_lo, s36
	s_and_not1_b32 exec_lo, exec_lo, s36
	s_cbranch_execz .LBB20_19
.LBB20_30:                              ;   Parent Loop BB20_7 Depth=1
                                        ;     Parent Loop BB20_12 Depth=2
                                        ;       Parent Loop BB20_21 Depth=3
                                        ; =>      This Loop Header: Depth=4
                                        ;           Child Loop BB20_32 Depth 5
                                        ;           Child Loop BB20_38 Depth 5
	s_delay_alu instid0(VALU_DEP_1) | instskip(NEXT) | instid1(VALU_DEP_1)
	v_ashrrev_i32_e32 v16, 31, v15
	v_lshlrev_b64 v[16:17], 2, v[15:16]
	s_delay_alu instid0(VALU_DEP_1) | instskip(NEXT) | instid1(VALU_DEP_2)
	v_add_co_u32 v16, vcc_lo, s18, v16
	v_add_co_ci_u32_e32 v17, vcc_lo, s19, v17, vcc_lo
	global_load_b32 v18, v[16:17], off
	s_waitcnt vmcnt(1)
	v_dual_mov_b32 v17, v38 :: v_dual_mov_b32 v16, v1
	s_and_saveexec_b32 s37, s4
	s_cbranch_execz .LBB20_34
; %bb.31:                               ;   in Loop: Header=BB20_30 Depth=4
	v_dual_mov_b32 v17, v38 :: v_dual_mov_b32 v16, v1
	v_dual_mov_b32 v19, v22 :: v_dual_mov_b32 v20, v21
	s_mov_b32 s38, 0
	.p2align	6
.LBB20_32:                              ;   Parent Loop BB20_7 Depth=1
                                        ;     Parent Loop BB20_12 Depth=2
                                        ;       Parent Loop BB20_21 Depth=3
                                        ;         Parent Loop BB20_30 Depth=4
                                        ; =>        This Inner Loop Header: Depth=5
	s_delay_alu instid0(VALU_DEP_2) | instskip(SKIP_2) | instid1(VALU_DEP_2)
	v_add_nc_u32_e32 v41, 1, v16
	s_waitcnt vmcnt(0)
	v_cmp_lt_i32_e32 vcc_lo, v17, v18
	v_cndmask_b32_e32 v20, v20, v41, vcc_lo
	v_cndmask_b32_e32 v19, v16, v19, vcc_lo
	s_delay_alu instid0(VALU_DEP_1) | instskip(NEXT) | instid1(VALU_DEP_1)
	v_add_nc_u32_e32 v16, v19, v20
	v_ashrrev_i32_e32 v16, 1, v16
	s_delay_alu instid0(VALU_DEP_1) | instskip(NEXT) | instid1(VALU_DEP_1)
	v_ashrrev_i32_e32 v17, 31, v16
	v_lshlrev_b64 v[41:42], 2, v[16:17]
	s_delay_alu instid0(VALU_DEP_1) | instskip(NEXT) | instid1(VALU_DEP_2)
	v_add_co_u32 v41, vcc_lo, s18, v41
	v_add_co_ci_u32_e32 v42, vcc_lo, s19, v42, vcc_lo
	v_cmp_ge_i32_e32 vcc_lo, v20, v19
	global_load_b32 v17, v[41:42], off
	s_or_b32 s38, vcc_lo, s38
	s_delay_alu instid0(SALU_CYCLE_1)
	s_and_not1_b32 exec_lo, exec_lo, s38
	s_cbranch_execnz .LBB20_32
; %bb.33:                               ;   in Loop: Header=BB20_30 Depth=4
	s_or_b32 exec_lo, exec_lo, s38
.LBB20_34:                              ;   in Loop: Header=BB20_30 Depth=4
	s_delay_alu instid0(SALU_CYCLE_1) | instskip(NEXT) | instid1(SALU_CYCLE_1)
	s_or_b32 exec_lo, exec_lo, s37
	s_mov_b32 s37, exec_lo
	s_waitcnt vmcnt(0)
	v_cmpx_eq_u32_e64 v17, v18
	s_cbranch_execz .LBB20_29
; %bb.35:                               ;   in Loop: Header=BB20_30 Depth=4
	v_mul_lo_u32 v19, v16, s28
	v_subrev_nc_u32_e32 v18, s23, v18
	v_mad_u64_u32 v[16:17], null, v15, s28, s[22:23]
	v_mov_b32_e32 v44, v40
	s_mov_b32 s38, 0
	s_delay_alu instid0(VALU_DEP_3)
	v_mul_lo_u32 v41, v18, s26
	v_add_nc_u32_e32 v42, v19, v29
	v_add_nc_u32_e32 v43, v28, v19
	s_set_inst_prefetch_distance 0x1
	s_branch .LBB20_38
	.p2align	6
.LBB20_36:                              ;   in Loop: Header=BB20_38 Depth=5
	s_delay_alu instid0(VALU_DEP_1) | instskip(NEXT) | instid1(VALU_DEP_2)
	v_ashrrev_i32_e32 v20, 31, v19
	v_ashrrev_i32_e32 v18, 31, v17
	s_delay_alu instid0(VALU_DEP_2) | instskip(NEXT) | instid1(VALU_DEP_2)
	v_lshlrev_b64 v[19:20], 3, v[19:20]
	v_lshlrev_b64 v[17:18], 3, v[17:18]
	s_delay_alu instid0(VALU_DEP_2) | instskip(NEXT) | instid1(VALU_DEP_3)
	v_add_co_u32 v19, vcc_lo, s20, v19
	v_add_co_ci_u32_e32 v20, vcc_lo, s21, v20, vcc_lo
	s_delay_alu instid0(VALU_DEP_3) | instskip(NEXT) | instid1(VALU_DEP_4)
	v_add_co_u32 v17, vcc_lo, s20, v17
	v_add_co_ci_u32_e32 v18, vcc_lo, s21, v18, vcc_lo
	s_clause 0x1
	global_load_b64 v[19:20], v[19:20], off
	global_load_b64 v[17:18], v[17:18], off
	s_waitcnt vmcnt(0)
	v_fma_f64 v[13:14], v[19:20], v[17:18], v[13:14]
.LBB20_37:                              ;   in Loop: Header=BB20_38 Depth=5
	s_or_b32 exec_lo, exec_lo, s39
	v_add_nc_u32_e32 v43, s26, v43
	v_add_nc_u32_e32 v44, s26, v44
	s_add_i32 s38, s38, 1
	s_delay_alu instid0(SALU_CYCLE_1)
	s_cmp_lg_u32 s26, s38
	s_cbranch_scc0 .LBB20_29
.LBB20_38:                              ;   Parent Loop BB20_7 Depth=1
                                        ;     Parent Loop BB20_12 Depth=2
                                        ;       Parent Loop BB20_21 Depth=3
                                        ;         Parent Loop BB20_30 Depth=4
                                        ; =>        This Inner Loop Header: Depth=5
	s_delay_alu instid0(VALU_DEP_3) | instskip(SKIP_1) | instid1(VALU_DEP_1)
	v_add_nc_u32_e32 v17, s38, v41
	s_mov_b32 s39, exec_lo
	v_cmpx_lt_i32_e64 v17, v39
	s_cbranch_execz .LBB20_37
; %bb.39:                               ;   in Loop: Header=BB20_38 Depth=5
	v_mov_b32_e32 v17, v43
	v_mov_b32_e32 v19, v44
	s_and_not1_b32 vcc_lo, exec_lo, s1
	s_cbranch_vccnz .LBB20_36
; %bb.40:                               ;   in Loop: Header=BB20_38 Depth=5
	v_add_nc_u32_e32 v19, s38, v16
	v_add_nc_u32_e32 v17, s38, v42
	s_branch .LBB20_36
.LBB20_41:                              ;   in Loop: Header=BB20_7 Depth=1
	s_or_b32 exec_lo, exec_lo, s7
.LBB20_42:                              ;   in Loop: Header=BB20_7 Depth=1
	s_delay_alu instid0(SALU_CYCLE_1) | instskip(NEXT) | instid1(VALU_DEP_2)
	s_or_b32 exec_lo, exec_lo, s31
	v_add_nc_u32_e32 v18, v29, v26
	v_mov_b32_e32 v19, v25
	s_mov_b32 s5, 0
	s_branch .LBB20_45
.LBB20_43:                              ;   in Loop: Header=BB20_45 Depth=2
	s_set_inst_prefetch_distance 0x2
	s_waitcnt vmcnt(0)
	s_delay_alu instid0(VALU_DEP_1) | instskip(NEXT) | instid1(VALU_DEP_1)
	v_add_f64 v[10:11], v[10:11], -v[12:13]
	v_div_scale_f64 v[12:13], null, v[6:7], v[6:7], v[10:11]
	s_delay_alu instid0(VALU_DEP_1) | instskip(SKIP_2) | instid1(VALU_DEP_1)
	v_rcp_f64_e32 v[14:15], v[12:13]
	s_waitcnt_depctr 0xfff
	v_fma_f64 v[16:17], -v[12:13], v[14:15], 1.0
	v_fma_f64 v[14:15], v[14:15], v[16:17], v[14:15]
	s_delay_alu instid0(VALU_DEP_1) | instskip(NEXT) | instid1(VALU_DEP_1)
	v_fma_f64 v[16:17], -v[12:13], v[14:15], 1.0
	v_fma_f64 v[14:15], v[14:15], v[16:17], v[14:15]
	v_div_scale_f64 v[16:17], vcc_lo, v[10:11], v[6:7], v[10:11]
	s_delay_alu instid0(VALU_DEP_1) | instskip(NEXT) | instid1(VALU_DEP_1)
	v_mul_f64 v[30:31], v[16:17], v[14:15]
	v_fma_f64 v[12:13], -v[12:13], v[30:31], v[16:17]
	s_delay_alu instid0(VALU_DEP_1) | instskip(NEXT) | instid1(VALU_DEP_1)
	v_div_fmas_f64 v[12:13], v[12:13], v[14:15], v[30:31]
	v_div_fixup_f64 v[6:7], v[12:13], v[6:7], v[10:11]
	s_delay_alu instid0(VALU_DEP_1)
	v_fma_f64 v[4:5], v[6:7], v[6:7], v[4:5]
	global_store_b64 v[8:9], v[6:7], off
.LBB20_44:                              ;   in Loop: Header=BB20_45 Depth=2
	s_or_b32 exec_lo, exec_lo, s7
	v_add_nc_u32_e32 v19, 1, v19
	s_add_i32 s5, s5, 1
	s_waitcnt_vscnt null, 0x0
	buffer_gl1_inv
	buffer_gl0_inv
	s_cmp_eq_u32 s5, s26
	s_cbranch_scc1 .LBB20_6
.LBB20_45:                              ;   Parent Loop BB20_7 Depth=1
                                        ; =>  This Loop Header: Depth=2
                                        ;       Child Loop BB20_49 Depth 3
                                        ;       Child Loop BB20_57 Depth 3
                                        ;         Child Loop BB20_59 Depth 4
                                        ;       Child Loop BB20_67 Depth 3
	s_mul_i32 s6, s5, s26
	s_mov_b32 s7, exec_lo
	v_add_nc_u32_e32 v20, s6, v26
	s_delay_alu instid0(VALU_DEP_1) | instskip(NEXT) | instid1(VALU_DEP_1)
	v_add_nc_u32_e32 v6, s5, v20
	v_ashrrev_i32_e32 v7, 31, v6
	s_delay_alu instid0(VALU_DEP_1)
	v_lshlrev_b64 v[6:7], 3, v[6:7]
	v_cmpx_eq_u32_e64 s5, v28
	s_cbranch_execz .LBB20_47
; %bb.46:                               ;   in Loop: Header=BB20_45 Depth=2
	s_delay_alu instid0(VALU_DEP_2) | instskip(NEXT) | instid1(VALU_DEP_3)
	v_add_co_u32 v8, vcc_lo, s20, v6
	v_add_co_ci_u32_e32 v9, vcc_lo, s21, v7, vcc_lo
	global_load_b64 v[10:11], v[8:9], off
	s_waitcnt vmcnt(0)
	v_add_f64 v[10:11], v[10:11], -v[4:5]
	s_delay_alu instid0(VALU_DEP_1) | instskip(SKIP_1) | instid1(VALU_DEP_1)
	v_cmp_gt_f64_e32 vcc_lo, 0, v[10:11]
	v_xor_b32_e32 v12, 0x80000000, v11
	v_dual_cndmask_b32 v11, v11, v12 :: v_dual_cndmask_b32 v10, v10, v10
	s_delay_alu instid0(VALU_DEP_1) | instskip(SKIP_1) | instid1(VALU_DEP_1)
	v_cmp_gt_f64_e32 vcc_lo, 0x10000000, v[10:11]
	v_cndmask_b32_e64 v12, 0, 1, vcc_lo
	v_lshlrev_b32_e32 v12, 8, v12
	s_delay_alu instid0(VALU_DEP_1) | instskip(NEXT) | instid1(VALU_DEP_1)
	v_ldexp_f64 v[10:11], v[10:11], v12
	v_rsq_f64_e32 v[12:13], v[10:11]
	s_waitcnt_depctr 0xfff
	v_mul_f64 v[14:15], v[10:11], v[12:13]
	v_mul_f64 v[12:13], v[12:13], 0.5
	s_delay_alu instid0(VALU_DEP_1) | instskip(NEXT) | instid1(VALU_DEP_1)
	v_fma_f64 v[16:17], -v[12:13], v[14:15], 0.5
	v_fma_f64 v[14:15], v[14:15], v[16:17], v[14:15]
	v_fma_f64 v[12:13], v[12:13], v[16:17], v[12:13]
	s_delay_alu instid0(VALU_DEP_2) | instskip(NEXT) | instid1(VALU_DEP_1)
	v_fma_f64 v[16:17], -v[14:15], v[14:15], v[10:11]
	v_fma_f64 v[14:15], v[16:17], v[12:13], v[14:15]
	s_delay_alu instid0(VALU_DEP_1) | instskip(NEXT) | instid1(VALU_DEP_1)
	v_fma_f64 v[16:17], -v[14:15], v[14:15], v[10:11]
	v_fma_f64 v[12:13], v[16:17], v[12:13], v[14:15]
	v_cndmask_b32_e64 v14, 0, 0xffffff80, vcc_lo
	v_cmp_class_f64_e64 vcc_lo, v[10:11], 0x260
	s_delay_alu instid0(VALU_DEP_2) | instskip(NEXT) | instid1(VALU_DEP_1)
	v_ldexp_f64 v[12:13], v[12:13], v14
	v_dual_cndmask_b32 v11, v13, v11 :: v_dual_cndmask_b32 v10, v12, v10
	global_store_b64 v[8:9], v[10:11], off
.LBB20_47:                              ;   in Loop: Header=BB20_45 Depth=2
	s_or_b32 exec_lo, exec_lo, s7
	s_delay_alu instid0(VALU_DEP_2) | instskip(NEXT) | instid1(VALU_DEP_3)
	v_add_co_u32 v6, vcc_lo, s20, v6
	v_add_co_ci_u32_e32 v7, vcc_lo, s21, v7, vcc_lo
	s_waitcnt_vscnt null, 0x0
	buffer_gl1_inv
	buffer_gl0_inv
	global_load_b64 v[6:7], v[6:7], off
	s_waitcnt vmcnt(0)
	v_cmp_neq_f64_e32 vcc_lo, 0, v[6:7]
	v_cndmask_b32_e32 v7, 0x3ff00000, v7, vcc_lo
	v_cndmask_b32_e32 v6, 0, v6, vcc_lo
	s_or_b32 s7, vcc_lo, s0
	s_delay_alu instid0(SALU_CYCLE_1) | instskip(NEXT) | instid1(SALU_CYCLE_1)
	s_xor_b32 s22, s7, -1
	s_and_saveexec_b32 s7, s22
	s_cbranch_execz .LBB20_53
; %bb.48:                               ;   in Loop: Header=BB20_45 Depth=2
	s_mov_b32 s31, exec_lo
	s_brev_b32 s22, -2
.LBB20_49:                              ;   Parent Loop BB20_7 Depth=1
                                        ;     Parent Loop BB20_45 Depth=2
                                        ; =>    This Inner Loop Header: Depth=3
	s_ctz_i32_b32 s33, s31
	s_delay_alu instid0(SALU_CYCLE_1) | instskip(SKIP_1) | instid1(SALU_CYCLE_1)
	v_readlane_b32 s34, v23, s33
	s_lshl_b32 s33, 1, s33
	s_and_not1_b32 s31, s31, s33
	s_delay_alu instid0(VALU_DEP_1)
	s_min_i32 s22, s22, s34
	s_cmp_lg_u32 s31, 0
	s_cbranch_scc1 .LBB20_49
; %bb.50:                               ;   in Loop: Header=BB20_45 Depth=2
	v_mbcnt_lo_u32_b32 v6, exec_lo, 0
	s_mov_b32 s31, exec_lo
	s_delay_alu instid0(VALU_DEP_1)
	v_cmpx_eq_u32_e32 0, v6
	s_xor_b32 s31, exec_lo, s31
	s_cbranch_execz .LBB20_52
; %bb.51:                               ;   in Loop: Header=BB20_45 Depth=2
	v_mov_b32_e32 v6, s22
	global_atomic_min_i32 v24, v6, s[14:15]
.LBB20_52:                              ;   in Loop: Header=BB20_45 Depth=2
	s_or_b32 exec_lo, exec_lo, s31
	v_mov_b32_e32 v6, 0
	v_mov_b32_e32 v7, 0x3ff00000
.LBB20_53:                              ;   in Loop: Header=BB20_45 Depth=2
	s_or_b32 exec_lo, exec_lo, s7
	s_delay_alu instid0(SALU_CYCLE_1)
	s_mov_b32 s7, exec_lo
	v_cmpx_lt_i32_e64 s5, v28
	s_cbranch_execz .LBB20_44
; %bb.54:                               ;   in Loop: Header=BB20_45 Depth=2
	v_add_nc_u32_e32 v8, v20, v28
	v_dual_mov_b32 v12, 0 :: v_dual_add_nc_u32 v9, s5, v18
	v_mov_b32_e32 v13, 0
	s_delay_alu instid0(VALU_DEP_2) | instskip(NEXT) | instid1(VALU_DEP_1)
	v_cndmask_b32_e64 v8, v8, v9, s1
	v_ashrrev_i32_e32 v9, 31, v8
	s_delay_alu instid0(VALU_DEP_1) | instskip(NEXT) | instid1(VALU_DEP_1)
	v_lshlrev_b64 v[8:9], 3, v[8:9]
	v_add_co_u32 v8, vcc_lo, s20, v8
	s_delay_alu instid0(VALU_DEP_2)
	v_add_co_ci_u32_e32 v9, vcc_lo, s21, v9, vcc_lo
	global_load_b64 v[10:11], v[8:9], off
	s_and_saveexec_b32 s22, s2
	s_cbranch_execz .LBB20_64
; %bb.55:                               ;   in Loop: Header=BB20_45 Depth=2
	v_dual_mov_b32 v12, 0 :: v_dual_mov_b32 v31, v27
	v_dual_mov_b32 v13, 0 :: v_dual_mov_b32 v30, v19
	v_mov_b32_e32 v32, v21
	s_mov_b32 s31, 0
	s_branch .LBB20_57
.LBB20_56:                              ;   in Loop: Header=BB20_57 Depth=3
	s_set_inst_prefetch_distance 0x2
	v_add_nc_u32_e32 v32, 1, v32
	v_add_nc_u32_e32 v31, s28, v31
	v_add_nc_u32_e32 v30, s28, v30
	s_delay_alu instid0(VALU_DEP_3) | instskip(SKIP_1) | instid1(SALU_CYCLE_1)
	v_cmp_le_i32_e32 vcc_lo, s25, v32
	s_or_b32 s31, vcc_lo, s31
	s_and_not1_b32 exec_lo, exec_lo, s31
	s_cbranch_execz .LBB20_63
.LBB20_57:                              ;   Parent Loop BB20_7 Depth=1
                                        ;     Parent Loop BB20_45 Depth=2
                                        ; =>    This Loop Header: Depth=3
                                        ;         Child Loop BB20_59 Depth 4
	s_delay_alu instid0(VALU_DEP_1) | instskip(SKIP_3) | instid1(VALU_DEP_1)
	v_mul_lo_u32 v14, v32, s28
	s_mov_b32 s33, s26
	s_mov_b32 s34, 0
	;; [unrolled: 1-line block ×3, first 2 shown]
	v_add_nc_u32_e32 v33, s6, v14
	v_add_nc_u32_e32 v34, v14, v29
	s_set_inst_prefetch_distance 0x1
	s_branch .LBB20_59
	.p2align	6
.LBB20_58:                              ;   in Loop: Header=BB20_59 Depth=4
	s_delay_alu instid0(VALU_DEP_2) | instskip(NEXT) | instid1(VALU_DEP_2)
	v_ashrrev_i32_e32 v15, 31, v14
	v_ashrrev_i32_e32 v17, 31, v16
	s_add_i32 s33, s33, -1
	s_add_i32 s35, s35, 1
	s_add_i32 s34, s34, s26
	v_lshlrev_b64 v[14:15], 3, v[14:15]
	v_lshlrev_b64 v[16:17], 3, v[16:17]
	s_cmp_eq_u32 s33, 0
	s_delay_alu instid0(VALU_DEP_2) | instskip(NEXT) | instid1(VALU_DEP_3)
	v_add_co_u32 v14, vcc_lo, s20, v14
	v_add_co_ci_u32_e32 v15, vcc_lo, s21, v15, vcc_lo
	s_delay_alu instid0(VALU_DEP_3) | instskip(NEXT) | instid1(VALU_DEP_4)
	v_add_co_u32 v16, vcc_lo, s20, v16
	v_add_co_ci_u32_e32 v17, vcc_lo, s21, v17, vcc_lo
	s_clause 0x1
	global_load_b64 v[14:15], v[14:15], off
	global_load_b64 v[16:17], v[16:17], off
	s_waitcnt vmcnt(0)
	v_fma_f64 v[12:13], v[14:15], v[16:17], v[12:13]
	s_cbranch_scc1 .LBB20_56
.LBB20_59:                              ;   Parent Loop BB20_7 Depth=1
                                        ;     Parent Loop BB20_45 Depth=2
                                        ;       Parent Loop BB20_57 Depth=3
                                        ; =>      This Inner Loop Header: Depth=4
	s_and_b32 vcc_lo, exec_lo, s30
	s_cbranch_vccz .LBB20_61
; %bb.60:                               ;   in Loop: Header=BB20_59 Depth=4
	v_add_nc_u32_e32 v14, s34, v30
	v_add_nc_u32_e32 v16, s34, v31
	s_cbranch_execnz .LBB20_58
	s_branch .LBB20_62
	.p2align	6
.LBB20_61:                              ;   in Loop: Header=BB20_59 Depth=4
                                        ; implicit-def: $vgpr14
                                        ; implicit-def: $vgpr16
.LBB20_62:                              ;   in Loop: Header=BB20_59 Depth=4
	v_add_nc_u32_e32 v14, s35, v33
	v_add_nc_u32_e32 v16, s35, v34
	s_branch .LBB20_58
.LBB20_63:                              ;   in Loop: Header=BB20_45 Depth=2
	s_or_b32 exec_lo, exec_lo, s31
.LBB20_64:                              ;   in Loop: Header=BB20_45 Depth=2
	s_delay_alu instid0(SALU_CYCLE_1)
	s_or_b32 exec_lo, exec_lo, s22
	s_cmp_eq_u32 s5, 0
	s_cbranch_scc1 .LBB20_43
; %bb.65:                               ;   in Loop: Header=BB20_45 Depth=2
	v_mov_b32_e32 v30, v26
	s_mov_b32 s6, 0
	s_set_inst_prefetch_distance 0x1
	s_branch .LBB20_67
	.p2align	6
.LBB20_66:                              ;   in Loop: Header=BB20_67 Depth=3
	s_delay_alu instid0(VALU_DEP_2) | instskip(NEXT) | instid1(VALU_DEP_2)
	v_ashrrev_i32_e32 v15, 31, v14
	v_ashrrev_i32_e32 v17, 31, v16
	v_add_nc_u32_e32 v30, s26, v30
	s_add_i32 s6, s6, 1
	s_delay_alu instid0(SALU_CYCLE_1) | instskip(SKIP_2) | instid1(VALU_DEP_2)
	s_cmp_ge_u32 s6, s5
	v_lshlrev_b64 v[14:15], 3, v[14:15]
	v_lshlrev_b64 v[16:17], 3, v[16:17]
	v_add_co_u32 v14, vcc_lo, s20, v14
	s_delay_alu instid0(VALU_DEP_3) | instskip(NEXT) | instid1(VALU_DEP_3)
	v_add_co_ci_u32_e32 v15, vcc_lo, s21, v15, vcc_lo
	v_add_co_u32 v16, vcc_lo, s20, v16
	s_delay_alu instid0(VALU_DEP_4)
	v_add_co_ci_u32_e32 v17, vcc_lo, s21, v17, vcc_lo
	s_clause 0x1
	global_load_b64 v[14:15], v[14:15], off
	global_load_b64 v[16:17], v[16:17], off
	s_waitcnt vmcnt(0)
	v_fma_f64 v[12:13], v[14:15], v[16:17], v[12:13]
	s_cbranch_scc1 .LBB20_43
.LBB20_67:                              ;   Parent Loop BB20_7 Depth=1
                                        ;     Parent Loop BB20_45 Depth=2
                                        ; =>    This Inner Loop Header: Depth=3
	s_and_b32 vcc_lo, exec_lo, s30
	s_cbranch_vccz .LBB20_69
; %bb.68:                               ;   in Loop: Header=BB20_67 Depth=3
	v_add_nc_u32_e32 v14, s5, v30
	v_add_nc_u32_e32 v16, v28, v30
	s_cbranch_execnz .LBB20_66
	s_branch .LBB20_70
	.p2align	6
.LBB20_69:                              ;   in Loop: Header=BB20_67 Depth=3
                                        ; implicit-def: $vgpr14
                                        ; implicit-def: $vgpr16
.LBB20_70:                              ;   in Loop: Header=BB20_67 Depth=3
	v_add_nc_u32_e32 v14, s6, v20
	v_add_nc_u32_e32 v16, s6, v18
	s_branch .LBB20_66
.LBB20_71:
	s_or_b32 exec_lo, exec_lo, s27
	v_cmp_eq_u32_e32 vcc_lo, 63, v0
                                        ; implicit-def: $vgpr0
                                        ; implicit-def: $vgpr2_vgpr3
	s_and_b32 s2, vcc_lo, exec_lo
	s_and_not1_saveexec_b32 s0, s24
	s_cbranch_execz .LBB20_2
.LBB20_72:
	s_mov_b32 s3, s2
	s_mov_b32 s1, exec_lo
	v_cmpx_eq_u32_e32 63, v0
	s_cbranch_execz .LBB20_78
; %bb.73:
	v_add_nc_u32_e32 v0, s23, v2
	s_mov_b32 s4, exec_lo
	s_brev_b32 s3, -2
.LBB20_74:                              ; =>This Inner Loop Header: Depth=1
	s_ctz_i32_b32 s5, s4
	s_delay_alu instid0(VALU_DEP_1) | instid1(SALU_CYCLE_1)
	v_readlane_b32 s6, v0, s5
	s_lshl_b32 s5, 1, s5
	s_delay_alu instid0(SALU_CYCLE_1) | instskip(NEXT) | instid1(VALU_DEP_1)
	s_and_not1_b32 s4, s4, s5
	s_min_i32 s3, s3, s6
	s_cmp_lg_u32 s4, 0
	s_cbranch_scc1 .LBB20_74
; %bb.75:
	v_mbcnt_lo_u32_b32 v0, exec_lo, 0
	s_mov_b32 s4, exec_lo
	s_delay_alu instid0(VALU_DEP_1)
	v_cmpx_eq_u32_e32 0, v0
	s_xor_b32 s4, exec_lo, s4
	s_cbranch_execz .LBB20_77
; %bb.76:
	v_dual_mov_b32 v0, 0 :: v_dual_mov_b32 v1, s3
	global_atomic_min_i32 v0, v1, s[14:15]
.LBB20_77:
	s_or_b32 exec_lo, exec_lo, s4
	s_delay_alu instid0(SALU_CYCLE_1)
	s_or_b32 s3, s2, exec_lo
.LBB20_78:
	s_or_b32 exec_lo, exec_lo, s1
	s_delay_alu instid0(SALU_CYCLE_1) | instskip(SKIP_1) | instid1(SALU_CYCLE_1)
	s_and_not1_b32 s1, s2, exec_lo
	s_and_b32 s2, s3, exec_lo
	s_or_b32 s2, s1, s2
	s_or_b32 exec_lo, exec_lo, s0
	s_and_saveexec_b32 s0, s2
	s_cbranch_execz .LBB20_3
.LBB20_79:
	v_lshlrev_b64 v[0:1], 2, s[12:13]
	v_mov_b32_e32 v2, 1
	s_delay_alu instid0(VALU_DEP_2) | instskip(NEXT) | instid1(VALU_DEP_3)
	v_add_co_u32 v0, vcc_lo, s10, v0
	v_add_co_ci_u32_e32 v1, vcc_lo, s11, v1, vcc_lo
	s_waitcnt_vscnt null, 0x0
	global_store_b32 v[0:1], v2, off
	s_nop 0
	s_sendmsg sendmsg(MSG_DEALLOC_VGPRS)
	s_endpgm
	.section	.rodata,"a",@progbits
	.p2align	6, 0x0
	.amdhsa_kernel _ZN9rocsparseL23bsric0_binsearch_kernelILj64ELj64ELb1EdEEv20rocsparse_direction_iiPKiS3_PT2_S3_PiS3_S6_21rocsparse_index_base_
		.amdhsa_group_segment_fixed_size 0
		.amdhsa_private_segment_fixed_size 0
		.amdhsa_kernarg_size 76
		.amdhsa_user_sgpr_count 15
		.amdhsa_user_sgpr_dispatch_ptr 0
		.amdhsa_user_sgpr_queue_ptr 0
		.amdhsa_user_sgpr_kernarg_segment_ptr 1
		.amdhsa_user_sgpr_dispatch_id 0
		.amdhsa_user_sgpr_private_segment_size 0
		.amdhsa_wavefront_size32 1
		.amdhsa_uses_dynamic_stack 0
		.amdhsa_enable_private_segment 0
		.amdhsa_system_sgpr_workgroup_id_x 1
		.amdhsa_system_sgpr_workgroup_id_y 0
		.amdhsa_system_sgpr_workgroup_id_z 0
		.amdhsa_system_sgpr_workgroup_info 0
		.amdhsa_system_vgpr_workitem_id 0
		.amdhsa_next_free_vgpr 45
		.amdhsa_next_free_sgpr 40
		.amdhsa_reserve_vcc 1
		.amdhsa_float_round_mode_32 0
		.amdhsa_float_round_mode_16_64 0
		.amdhsa_float_denorm_mode_32 3
		.amdhsa_float_denorm_mode_16_64 3
		.amdhsa_dx10_clamp 1
		.amdhsa_ieee_mode 1
		.amdhsa_fp16_overflow 0
		.amdhsa_workgroup_processor_mode 1
		.amdhsa_memory_ordered 1
		.amdhsa_forward_progress 0
		.amdhsa_shared_vgpr_count 0
		.amdhsa_exception_fp_ieee_invalid_op 0
		.amdhsa_exception_fp_denorm_src 0
		.amdhsa_exception_fp_ieee_div_zero 0
		.amdhsa_exception_fp_ieee_overflow 0
		.amdhsa_exception_fp_ieee_underflow 0
		.amdhsa_exception_fp_ieee_inexact 0
		.amdhsa_exception_int_div_zero 0
	.end_amdhsa_kernel
	.section	.text._ZN9rocsparseL23bsric0_binsearch_kernelILj64ELj64ELb1EdEEv20rocsparse_direction_iiPKiS3_PT2_S3_PiS3_S6_21rocsparse_index_base_,"axG",@progbits,_ZN9rocsparseL23bsric0_binsearch_kernelILj64ELj64ELb1EdEEv20rocsparse_direction_iiPKiS3_PT2_S3_PiS3_S6_21rocsparse_index_base_,comdat
.Lfunc_end20:
	.size	_ZN9rocsparseL23bsric0_binsearch_kernelILj64ELj64ELb1EdEEv20rocsparse_direction_iiPKiS3_PT2_S3_PiS3_S6_21rocsparse_index_base_, .Lfunc_end20-_ZN9rocsparseL23bsric0_binsearch_kernelILj64ELj64ELb1EdEEv20rocsparse_direction_iiPKiS3_PT2_S3_PiS3_S6_21rocsparse_index_base_
                                        ; -- End function
	.section	.AMDGPU.csdata,"",@progbits
; Kernel info:
; codeLenInByte = 3300
; NumSgprs: 42
; NumVgprs: 45
; ScratchSize: 0
; MemoryBound: 0
; FloatMode: 240
; IeeeMode: 1
; LDSByteSize: 0 bytes/workgroup (compile time only)
; SGPRBlocks: 5
; VGPRBlocks: 5
; NumSGPRsForWavesPerEU: 42
; NumVGPRsForWavesPerEU: 45
; Occupancy: 16
; WaveLimiterHint : 1
; COMPUTE_PGM_RSRC2:SCRATCH_EN: 0
; COMPUTE_PGM_RSRC2:USER_SGPR: 15
; COMPUTE_PGM_RSRC2:TRAP_HANDLER: 0
; COMPUTE_PGM_RSRC2:TGID_X_EN: 1
; COMPUTE_PGM_RSRC2:TGID_Y_EN: 0
; COMPUTE_PGM_RSRC2:TGID_Z_EN: 0
; COMPUTE_PGM_RSRC2:TIDIG_COMP_CNT: 0
	.section	.text._ZN9rocsparseL26bsric0_2_8_unrolled_kernelILi1ELi32ELi1EdEEv20rocsparse_direction_iiPKiS3_PT2_S3_PiS3_S6_21rocsparse_index_base_,"axG",@progbits,_ZN9rocsparseL26bsric0_2_8_unrolled_kernelILi1ELi32ELi1EdEEv20rocsparse_direction_iiPKiS3_PT2_S3_PiS3_S6_21rocsparse_index_base_,comdat
	.globl	_ZN9rocsparseL26bsric0_2_8_unrolled_kernelILi1ELi32ELi1EdEEv20rocsparse_direction_iiPKiS3_PT2_S3_PiS3_S6_21rocsparse_index_base_ ; -- Begin function _ZN9rocsparseL26bsric0_2_8_unrolled_kernelILi1ELi32ELi1EdEEv20rocsparse_direction_iiPKiS3_PT2_S3_PiS3_S6_21rocsparse_index_base_
	.p2align	8
	.type	_ZN9rocsparseL26bsric0_2_8_unrolled_kernelILi1ELi32ELi1EdEEv20rocsparse_direction_iiPKiS3_PT2_S3_PiS3_S6_21rocsparse_index_base_,@function
_ZN9rocsparseL26bsric0_2_8_unrolled_kernelILi1ELi32ELi1EdEEv20rocsparse_direction_iiPKiS3_PT2_S3_PiS3_S6_21rocsparse_index_base_: ; @_ZN9rocsparseL26bsric0_2_8_unrolled_kernelILi1ELi32ELi1EdEEv20rocsparse_direction_iiPKiS3_PT2_S3_PiS3_S6_21rocsparse_index_base_
; %bb.0:
	s_load_b256 s[4:11], s[0:1], 0x28
	s_mov_b32 s12, s15
	s_mov_b32 s13, 0
	s_delay_alu instid0(SALU_CYCLE_1)
	s_lshl_b64 s[2:3], s[12:13], 2
	s_waitcnt lgkmcnt(0)
	s_add_u32 s2, s8, s2
	s_addc_u32 s3, s9, s3
	s_load_b32 s8, s[2:3], 0x0
	s_waitcnt lgkmcnt(0)
	s_ashr_i32 s9, s8, 31
	s_delay_alu instid0(SALU_CYCLE_1) | instskip(NEXT) | instid1(SALU_CYCLE_1)
	s_lshl_b64 s[2:3], s[8:9], 2
	s_add_u32 s14, s4, s2
	s_addc_u32 s15, s5, s3
	s_load_b32 s16, s[14:15], 0x0
	s_load_b32 s9, s[0:1], 0x48
	s_waitcnt lgkmcnt(0)
	s_cmp_lg_u32 s16, -1
	s_cbranch_scc0 .LBB21_56
; %bb.1:
	s_clause 0x1
	s_load_b128 s[12:15], s[0:1], 0x10
	s_load_b64 s[18:19], s[0:1], 0x20
	s_waitcnt lgkmcnt(0)
	s_add_u32 s20, s12, s2
	s_addc_u32 s21, s13, s3
	s_load_b32 s17, s[20:21], 0x0
	s_waitcnt lgkmcnt(0)
	s_sub_i32 s20, s17, s9
	s_delay_alu instid0(SALU_CYCLE_1)
	s_cmp_gt_i32 s20, s16
	s_cbranch_scc1 .LBB21_4
; %bb.2:
	s_not_b32 s22, s9
	s_ashr_i32 s21, s20, 31
	s_add_i32 s17, s22, s17
	s_lshl_b64 s[22:23], s[20:21], 2
	s_movk_i32 s21, 0x100
	s_add_u32 s22, s14, s22
	s_addc_u32 s23, s15, s23
.LBB21_3:                               ; =>This Inner Loop Header: Depth=1
	s_load_b32 s24, s[22:23], 0x0
	s_add_i32 s17, s17, 1
	s_waitcnt lgkmcnt(0)
	s_sub_i32 s24, s24, s9
	s_delay_alu instid0(SALU_CYCLE_1)
	v_dual_mov_b32 v0, s21 :: v_dual_mov_b32 v1, s24
	s_add_i32 s21, s21, 4
	s_add_u32 s22, s22, 4
	s_addc_u32 s23, s23, 0
	s_cmp_ge_i32 s17, s16
	ds_store_b32 v0, v1
	s_cbranch_scc0 .LBB21_3
.LBB21_4:
	v_mov_b32_e32 v0, 0
	s_cmp_ge_i32 s20, s16
	s_delay_alu instid0(VALU_DEP_1)
	v_mov_b32_e32 v1, v0
	ds_store_b64 v0, v[0:1] offset:432
	s_waitcnt lgkmcnt(0)
	buffer_gl0_inv
	s_cbranch_scc1 .LBB21_46
; %bb.5:
	s_load_b32 s0, s[0:1], 0x0
	v_mov_b32_e32 v5, 0x1a0
	v_mov_b32_e32 v6, 0x190
	;; [unrolled: 1-line block ×4, first 2 shown]
	s_mov_b32 s22, s20
	s_waitcnt lgkmcnt(0)
	s_cmp_lg_u32 s0, 0
	s_cselect_b32 s0, -1, 0
	s_delay_alu instid0(SALU_CYCLE_1) | instskip(NEXT) | instid1(VALU_DEP_1)
	v_cndmask_b32_e64 v1, 0, 1, s0
	v_cmp_ne_u32_e64 s0, 1, v1
	s_branch .LBB21_9
.LBB21_6:                               ;   in Loop: Header=BB21_9 Depth=1
	v_cmp_neq_f64_e32 vcc_lo, 0, v[3:4]
	v_cndmask_b32_e32 v4, 0x3ff00000, v4, vcc_lo
	v_cndmask_b32_e32 v3, 0, v3, vcc_lo
.LBB21_7:                               ;   in Loop: Header=BB21_9 Depth=1
	ds_load_b64 v[9:10], v6
	s_add_i32 s22, s22, 1
	s_delay_alu instid0(SALU_CYCLE_1) | instskip(SKIP_3) | instid1(VALU_DEP_1)
	s_cmp_ge_i32 s22, s16
	s_cselect_b32 s17, -1, 0
	s_waitcnt lgkmcnt(0)
	v_add_f64 v[1:2], v[1:2], -v[9:10]
	v_div_scale_f64 v[9:10], null, v[3:4], v[3:4], v[1:2]
	v_div_scale_f64 v[15:16], vcc_lo, v[1:2], v[3:4], v[1:2]
	s_delay_alu instid0(VALU_DEP_2) | instskip(SKIP_2) | instid1(VALU_DEP_1)
	v_rcp_f64_e32 v[11:12], v[9:10]
	s_waitcnt_depctr 0xfff
	v_fma_f64 v[13:14], -v[9:10], v[11:12], 1.0
	v_fma_f64 v[11:12], v[11:12], v[13:14], v[11:12]
	s_delay_alu instid0(VALU_DEP_1) | instskip(NEXT) | instid1(VALU_DEP_1)
	v_fma_f64 v[13:14], -v[9:10], v[11:12], 1.0
	v_fma_f64 v[11:12], v[11:12], v[13:14], v[11:12]
	s_delay_alu instid0(VALU_DEP_1) | instskip(NEXT) | instid1(VALU_DEP_1)
	v_mul_f64 v[13:14], v[15:16], v[11:12]
	v_fma_f64 v[9:10], -v[9:10], v[13:14], v[15:16]
	s_delay_alu instid0(VALU_DEP_1) | instskip(NEXT) | instid1(VALU_DEP_1)
	v_div_fmas_f64 v[9:10], v[9:10], v[11:12], v[13:14]
	v_div_fixup_f64 v[1:2], v[9:10], v[3:4], v[1:2]
	ds_store_b64 v5, v[1:2]
	s_waitcnt lgkmcnt(0)
	s_waitcnt_vscnt null, 0x0
	buffer_gl0_inv
	ds_load_b64 v[3:4], v5
	ds_load_b64 v[9:10], v8
	s_waitcnt lgkmcnt(0)
	v_fma_f64 v[1:2], v[1:2], v[3:4], v[9:10]
	ds_store_b64 v8, v[1:2]
	s_waitcnt lgkmcnt(0)
	buffer_gl0_inv
	ds_load_b64 v[1:2], v5
	s_waitcnt lgkmcnt(0)
	global_store_b64 v0, v[1:2], s[24:25]
	s_waitcnt_vscnt null, 0x0
	buffer_gl1_inv
	buffer_gl0_inv
.LBB21_8:                               ;   in Loop: Header=BB21_9 Depth=1
	s_and_b32 vcc_lo, exec_lo, s17
	s_cbranch_vccnz .LBB21_46
.LBB21_9:                               ; =>This Loop Header: Depth=1
                                        ;     Child Loop BB21_12 Depth 2
                                        ;     Child Loop BB21_23 Depth 2
	;; [unrolled: 1-line block ×6, first 2 shown]
	s_ashr_i32 s23, s22, 31
	s_mov_b32 s17, -1
	s_lshl_b64 s[24:25], s[22:23], 2
	s_delay_alu instid0(SALU_CYCLE_1) | instskip(SKIP_4) | instid1(SALU_CYCLE_1)
	s_add_u32 s24, s14, s24
	s_addc_u32 s25, s15, s25
	s_load_b32 s1, s[24:25], 0x0
	s_waitcnt lgkmcnt(0)
	s_sub_i32 s30, s1, s9
	s_ashr_i32 s31, s30, 31
	s_delay_alu instid0(SALU_CYCLE_1) | instskip(NEXT) | instid1(SALU_CYCLE_1)
	s_lshl_b64 s[28:29], s[30:31], 2
	s_add_u32 s24, s4, s28
	s_addc_u32 s25, s5, s29
	s_load_b32 s26, s[24:25], 0x0
	s_waitcnt lgkmcnt(0)
	s_cmp_eq_u32 s26, -1
	s_cbranch_scc1 .LBB21_8
; %bb.10:                               ;   in Loop: Header=BB21_9 Depth=1
	s_add_u32 s24, s12, s28
	s_addc_u32 s25, s13, s29
	s_mov_b32 s21, 0
	s_load_b32 s17, s[24:25], 0x0
	s_lshl_b64 s[24:25], s[22:23], 3
	ds_load_b32 v3, v0 offset:256
	s_waitcnt lgkmcnt(0)
	s_sub_i32 s34, s17, s9
	s_add_u32 s24, s18, s24
	s_addc_u32 s25, s19, s25
	s_cmp_le_i32 s34, s26
	global_load_b64 v[1:2], v0, s[24:25]
	s_cselect_b32 s17, -1, 0
	v_cmp_ge_i32_e32 vcc_lo, s30, v3
	s_and_b32 s17, s17, vcc_lo
	s_delay_alu instid0(SALU_CYCLE_1)
	s_and_not1_b32 vcc_lo, exec_lo, s17
	s_waitcnt vmcnt(0)
	ds_store_b64 v5, v[1:2]
	s_cbranch_vccnz .LBB21_22
; %bb.11:                               ;   in Loop: Header=BB21_9 Depth=1
	s_mov_b32 s17, 0
	s_mov_b32 s23, 0
.LBB21_12:                              ;   Parent Loop BB21_9 Depth=1
                                        ; =>  This Inner Loop Header: Depth=2
	s_ashr_i32 s35, s34, 31
                                        ; implicit-def: $sgpr33
                                        ; implicit-def: $sgpr31
	s_delay_alu instid0(SALU_CYCLE_1) | instskip(SKIP_4) | instid1(SALU_CYCLE_1)
	s_lshl_b64 s[36:37], s[34:35], 2
	s_mov_b32 s35, -1
	s_add_u32 s36, s14, s36
	s_addc_u32 s37, s15, s37
	s_lshl_b32 s21, s23, 2
	v_mov_b32_e32 v1, s21
	s_load_b32 s21, s[36:37], 0x0
	ds_load_b32 v1, v1 offset:256
	s_waitcnt lgkmcnt(0)
	s_sub_i32 s36, s21, s9
                                        ; implicit-def: $sgpr21
	s_delay_alu instid0(SALU_CYCLE_1)
	v_cmp_ge_i32_e32 vcc_lo, s36, v1
	v_readfirstlane_b32 s27, v1
	s_cbranch_vccz .LBB21_18
; %bb.13:                               ;   in Loop: Header=BB21_12 Depth=2
	s_delay_alu instid0(VALU_DEP_1)
	s_cmp_le_i32 s36, s27
                                        ; implicit-def: $sgpr21
                                        ; implicit-def: $sgpr33
                                        ; implicit-def: $sgpr31
	s_cbranch_scc0 .LBB21_15
; %bb.14:                               ;   in Loop: Header=BB21_12 Depth=2
	s_lshl_b32 s21, s17, 2
	s_add_i32 s31, s23, s20
	s_delay_alu instid0(SALU_CYCLE_1)
	v_dual_mov_b32 v1, s21 :: v_dual_mov_b32 v2, s31
	v_mov_b32_e32 v3, s34
	s_add_i32 s31, s23, 1
	s_add_i32 s33, s34, 1
	;; [unrolled: 1-line block ×3, first 2 shown]
	s_mov_b32 s35, 0
	ds_store_2addr_b32 v1, v3, v2 offset1:32
.LBB21_15:                              ;   in Loop: Header=BB21_12 Depth=2
	s_and_not1_b32 vcc_lo, exec_lo, s35
	s_cbranch_vccnz .LBB21_17
; %bb.16:                               ;   in Loop: Header=BB21_12 Depth=2
	s_add_i32 s31, s23, 1
	s_mov_b32 s21, s17
	s_mov_b32 s33, s34
.LBB21_17:                              ;   in Loop: Header=BB21_12 Depth=2
	s_mov_b32 s35, 0
.LBB21_18:                              ;   in Loop: Header=BB21_12 Depth=2
	s_delay_alu instid0(SALU_CYCLE_1)
	s_and_not1_b32 vcc_lo, exec_lo, s35
	s_cbranch_vccnz .LBB21_20
; %bb.19:                               ;   in Loop: Header=BB21_12 Depth=2
	s_add_i32 s33, s34, 1
	s_mov_b32 s31, s23
	s_mov_b32 s21, s17
.LBB21_20:                              ;   in Loop: Header=BB21_12 Depth=2
	s_cmp_le_i32 s33, s26
	s_cselect_b32 s17, -1, 0
	s_cmp_le_i32 s27, s30
	s_cselect_b32 s23, -1, 0
	s_delay_alu instid0(SALU_CYCLE_1) | instskip(NEXT) | instid1(SALU_CYCLE_1)
	s_and_b32 s17, s17, s23
	s_and_b32 vcc_lo, exec_lo, s17
	s_cbranch_vccz .LBB21_22
; %bb.21:                               ;   in Loop: Header=BB21_12 Depth=2
	s_mov_b32 s17, s21
	s_mov_b32 s34, s33
	s_mov_b32 s23, s31
	s_branch .LBB21_12
.LBB21_22:                              ;   in Loop: Header=BB21_9 Depth=1
	s_add_u32 s28, s6, s28
	s_addc_u32 s29, s7, s29
	s_waitcnt lgkmcnt(0)
	buffer_gl0_inv
.LBB21_23:                              ;   Parent Loop BB21_9 Depth=1
                                        ; =>  This Inner Loop Header: Depth=2
	global_load_b32 v1, v0, s[28:29] glc
	s_waitcnt vmcnt(0)
	v_cmp_eq_u32_e32 vcc_lo, 0, v1
	s_cbranch_vccnz .LBB21_23
; %bb.24:                               ;   in Loop: Header=BB21_9 Depth=1
	s_ashr_i32 s27, s26, 31
	buffer_gl1_inv
	buffer_gl0_inv
	s_lshl_b64 s[26:27], s[26:27], 3
	v_mov_b32_e32 v1, 0
	s_add_u32 s26, s18, s26
	s_addc_u32 s27, s19, s27
	v_mov_b32_e32 v2, 0
	global_load_b64 v[3:4], v0, s[26:27]
	s_cmp_lt_i32 s21, 2
	s_waitcnt vmcnt(0)
	ds_store_b64 v7, v[3:4]
	s_waitcnt lgkmcnt(0)
	buffer_gl0_inv
	s_cbranch_scc1 .LBB21_42
; %bb.25:                               ;   in Loop: Header=BB21_9 Depth=1
	s_and_b32 vcc_lo, exec_lo, s0
	s_add_i32 s17, s21, -1
	s_cbranch_vccnz .LBB21_30
; %bb.26:                               ;   in Loop: Header=BB21_9 Depth=1
	v_mov_b32_e32 v1, 0
	v_mov_b32_e32 v2, 0
	s_add_i32 s23, s21, -2
	s_delay_alu instid0(SALU_CYCLE_1)
	s_cmp_lt_u32 s23, 7
	s_cbranch_scc1 .LBB21_31
; %bb.27:                               ;   in Loop: Header=BB21_9 Depth=1
	s_and_b32 s23, s17, -8
	s_mov_b32 s26, 0
	s_mov_b32 s27, 0
.LBB21_28:                              ;   Parent Loop BB21_9 Depth=1
                                        ; =>  This Inner Loop Header: Depth=2
	v_mov_b32_e32 v3, s26
	s_add_i32 s27, s27, 8
	s_add_i32 s26, s26, 32
	s_cmp_eq_u32 s23, s27
	ds_load_b128 v[9:12], v3
	ds_load_b128 v[13:16], v3 offset:128
	ds_load_b128 v[17:20], v3 offset:16
	;; [unrolled: 1-line block ×3, first 2 shown]
	s_waitcnt lgkmcnt(3)
	v_ashrrev_i32_e32 v4, 31, v9
	v_mov_b32_e32 v3, v9
	s_waitcnt lgkmcnt(2)
	v_ashrrev_i32_e32 v26, 31, v13
	v_mov_b32_e32 v25, v13
	v_ashrrev_i32_e32 v28, 31, v10
	v_mov_b32_e32 v27, v10
	v_lshlrev_b64 v[3:4], 3, v[3:4]
	v_ashrrev_i32_e32 v10, 31, v14
	v_lshlrev_b64 v[25:26], 3, v[25:26]
	v_mov_b32_e32 v9, v14
	v_lshlrev_b64 v[13:14], 3, v[27:28]
	v_ashrrev_i32_e32 v28, 31, v11
	v_add_co_u32 v3, vcc_lo, s18, v3
	v_add_co_ci_u32_e32 v4, vcc_lo, s19, v4, vcc_lo
	v_add_co_u32 v25, vcc_lo, s18, v25
	v_add_co_ci_u32_e32 v26, vcc_lo, s19, v26, vcc_lo
	s_clause 0x1
	global_load_b64 v[3:4], v[3:4], off
	global_load_b64 v[25:26], v[25:26], off
	v_lshlrev_b64 v[9:10], 3, v[9:10]
	v_add_co_u32 v13, vcc_lo, s18, v13
	v_add_co_ci_u32_e32 v14, vcc_lo, s19, v14, vcc_lo
	v_mov_b32_e32 v27, v11
	s_delay_alu instid0(VALU_DEP_4)
	v_add_co_u32 v9, vcc_lo, s18, v9
	v_add_co_ci_u32_e32 v10, vcc_lo, s19, v10, vcc_lo
	s_clause 0x1
	global_load_b64 v[13:14], v[13:14], off
	global_load_b64 v[9:10], v[9:10], off
	v_ashrrev_i32_e32 v30, 31, v15
	v_mov_b32_e32 v29, v15
	v_lshlrev_b64 v[27:28], 3, v[27:28]
	v_ashrrev_i32_e32 v32, 31, v12
	v_mov_b32_e32 v31, v12
	v_ashrrev_i32_e32 v12, 31, v16
	v_lshlrev_b64 v[29:30], 3, v[29:30]
	v_mov_b32_e32 v11, v16
	v_add_co_u32 v27, vcc_lo, s18, v27
	v_add_co_ci_u32_e32 v28, vcc_lo, s19, v28, vcc_lo
	s_delay_alu instid0(VALU_DEP_4)
	v_add_co_u32 v29, vcc_lo, s18, v29
	v_add_co_ci_u32_e32 v30, vcc_lo, s19, v30, vcc_lo
	s_clause 0x1
	global_load_b64 v[27:28], v[27:28], off
	global_load_b64 v[29:30], v[29:30], off
	v_lshlrev_b64 v[15:16], 3, v[31:32]
	v_lshlrev_b64 v[11:12], 3, v[11:12]
	s_waitcnt lgkmcnt(1)
	v_ashrrev_i32_e32 v32, 31, v17
	v_mov_b32_e32 v31, v17
	s_waitcnt lgkmcnt(0)
	v_ashrrev_i32_e32 v34, 31, v21
	v_mov_b32_e32 v33, v21
	v_add_co_u32 v15, vcc_lo, s18, v15
	v_add_co_ci_u32_e32 v16, vcc_lo, s19, v16, vcc_lo
	v_add_co_u32 v11, vcc_lo, s18, v11
	v_add_co_ci_u32_e32 v12, vcc_lo, s19, v12, vcc_lo
	s_clause 0x1
	global_load_b64 v[15:16], v[15:16], off
	global_load_b64 v[11:12], v[11:12], off
	v_lshlrev_b64 v[31:32], 3, v[31:32]
	v_lshlrev_b64 v[33:34], 3, v[33:34]
	v_ashrrev_i32_e32 v36, 31, v18
	v_mov_b32_e32 v35, v18
	v_ashrrev_i32_e32 v18, 31, v22
	v_mov_b32_e32 v17, v22
	v_add_co_u32 v31, vcc_lo, s18, v31
	v_add_co_ci_u32_e32 v32, vcc_lo, s19, v32, vcc_lo
	v_add_co_u32 v33, vcc_lo, s18, v33
	v_add_co_ci_u32_e32 v34, vcc_lo, s19, v34, vcc_lo
	s_clause 0x1
	global_load_b64 v[31:32], v[31:32], off
	global_load_b64 v[33:34], v[33:34], off
	v_lshlrev_b64 v[21:22], 3, v[35:36]
	v_lshlrev_b64 v[17:18], 3, v[17:18]
	v_ashrrev_i32_e32 v36, 31, v19
	v_mov_b32_e32 v35, v19
	;; [unrolled: 13-line block ×3, first 2 shown]
	v_ashrrev_i32_e32 v20, 31, v24
	v_mov_b32_e32 v19, v24
	v_add_co_u32 v35, vcc_lo, s18, v35
	v_add_co_ci_u32_e32 v36, vcc_lo, s19, v36, vcc_lo
	v_add_co_u32 v37, vcc_lo, s18, v37
	v_add_co_ci_u32_e32 v38, vcc_lo, s19, v38, vcc_lo
	s_clause 0x1
	global_load_b64 v[35:36], v[35:36], off
	global_load_b64 v[37:38], v[37:38], off
	v_lshlrev_b64 v[23:24], 3, v[39:40]
	v_lshlrev_b64 v[19:20], 3, v[19:20]
	s_delay_alu instid0(VALU_DEP_2) | instskip(NEXT) | instid1(VALU_DEP_3)
	v_add_co_u32 v23, vcc_lo, s18, v23
	v_add_co_ci_u32_e32 v24, vcc_lo, s19, v24, vcc_lo
	s_delay_alu instid0(VALU_DEP_3) | instskip(NEXT) | instid1(VALU_DEP_4)
	v_add_co_u32 v19, vcc_lo, s18, v19
	v_add_co_ci_u32_e32 v20, vcc_lo, s19, v20, vcc_lo
	s_clause 0x1
	global_load_b64 v[23:24], v[23:24], off
	global_load_b64 v[19:20], v[19:20], off
	s_waitcnt vmcnt(14)
	v_fma_f64 v[1:2], v[3:4], v[25:26], v[1:2]
	s_waitcnt vmcnt(12)
	s_delay_alu instid0(VALU_DEP_1) | instskip(SKIP_1) | instid1(VALU_DEP_1)
	v_fma_f64 v[1:2], v[13:14], v[9:10], v[1:2]
	s_waitcnt vmcnt(10)
	v_fma_f64 v[1:2], v[27:28], v[29:30], v[1:2]
	s_waitcnt vmcnt(8)
	s_delay_alu instid0(VALU_DEP_1) | instskip(SKIP_1) | instid1(VALU_DEP_1)
	v_fma_f64 v[1:2], v[15:16], v[11:12], v[1:2]
	;; [unrolled: 5-line block ×3, first 2 shown]
	s_waitcnt vmcnt(2)
	v_fma_f64 v[1:2], v[35:36], v[37:38], v[1:2]
	s_waitcnt vmcnt(0)
	s_delay_alu instid0(VALU_DEP_1)
	v_fma_f64 v[1:2], v[23:24], v[19:20], v[1:2]
	s_cbranch_scc0 .LBB21_28
; %bb.29:                               ;   in Loop: Header=BB21_9 Depth=1
	s_and_b32 s26, s17, 7
	s_delay_alu instid0(SALU_CYCLE_1)
	s_cmp_eq_u32 s26, 0
	s_cbranch_scc0 .LBB21_32
	s_branch .LBB21_34
.LBB21_30:                              ;   in Loop: Header=BB21_9 Depth=1
                                        ; implicit-def: $vgpr1_vgpr2
	s_cbranch_execnz .LBB21_35
	s_branch .LBB21_42
.LBB21_31:                              ;   in Loop: Header=BB21_9 Depth=1
	s_mov_b32 s23, 0
	s_and_b32 s26, s17, 7
	s_delay_alu instid0(SALU_CYCLE_1)
	s_cmp_eq_u32 s26, 0
	s_cbranch_scc1 .LBB21_34
.LBB21_32:                              ;   in Loop: Header=BB21_9 Depth=1
	s_lshl_b32 s23, s23, 2
	.p2align	6
.LBB21_33:                              ;   Parent Loop BB21_9 Depth=1
                                        ; =>  This Inner Loop Header: Depth=2
	s_delay_alu instid0(SALU_CYCLE_1)
	v_mov_b32_e32 v3, s23
	s_add_i32 s26, s26, -1
	s_add_i32 s23, s23, 4
	s_cmp_lg_u32 s26, 0
	ds_load_2addr_b32 v[3:4], v3 offset1:32
	s_waitcnt lgkmcnt(0)
	v_ashrrev_i32_e32 v10, 31, v3
	v_mov_b32_e32 v9, v3
	v_ashrrev_i32_e32 v12, 31, v4
	v_mov_b32_e32 v11, v4
	s_delay_alu instid0(VALU_DEP_3) | instskip(NEXT) | instid1(VALU_DEP_2)
	v_lshlrev_b64 v[3:4], 3, v[9:10]
	v_lshlrev_b64 v[9:10], 3, v[11:12]
	s_delay_alu instid0(VALU_DEP_2) | instskip(NEXT) | instid1(VALU_DEP_3)
	v_add_co_u32 v3, vcc_lo, s18, v3
	v_add_co_ci_u32_e32 v4, vcc_lo, s19, v4, vcc_lo
	s_delay_alu instid0(VALU_DEP_3) | instskip(NEXT) | instid1(VALU_DEP_4)
	v_add_co_u32 v9, vcc_lo, s18, v9
	v_add_co_ci_u32_e32 v10, vcc_lo, s19, v10, vcc_lo
	s_clause 0x1
	global_load_b64 v[3:4], v[3:4], off
	global_load_b64 v[9:10], v[9:10], off
	s_waitcnt vmcnt(0)
	v_fma_f64 v[1:2], v[3:4], v[9:10], v[1:2]
	s_cbranch_scc1 .LBB21_33
.LBB21_34:                              ;   in Loop: Header=BB21_9 Depth=1
	s_branch .LBB21_42
.LBB21_35:                              ;   in Loop: Header=BB21_9 Depth=1
	v_mov_b32_e32 v1, 0
	v_mov_b32_e32 v2, 0
	s_add_i32 s21, s21, -2
	s_delay_alu instid0(SALU_CYCLE_1)
	s_cmp_lt_u32 s21, 7
	s_cbranch_scc1 .LBB21_39
; %bb.36:                               ;   in Loop: Header=BB21_9 Depth=1
	s_and_b32 s21, s17, -8
	s_mov_b32 s23, 0
	s_mov_b32 s26, 0
.LBB21_37:                              ;   Parent Loop BB21_9 Depth=1
                                        ; =>  This Inner Loop Header: Depth=2
	v_mov_b32_e32 v3, s23
	s_add_i32 s26, s26, 8
	s_add_i32 s23, s23, 32
	s_cmp_lg_u32 s21, s26
	ds_load_b128 v[9:12], v3
	ds_load_b128 v[13:16], v3 offset:128
	ds_load_b128 v[17:20], v3 offset:16
	ds_load_b128 v[21:24], v3 offset:144
	s_waitcnt lgkmcnt(3)
	v_ashrrev_i32_e32 v4, 31, v9
	v_mov_b32_e32 v3, v9
	s_waitcnt lgkmcnt(2)
	v_ashrrev_i32_e32 v26, 31, v13
	v_mov_b32_e32 v25, v13
	v_ashrrev_i32_e32 v28, 31, v10
	v_mov_b32_e32 v27, v10
	v_lshlrev_b64 v[3:4], 3, v[3:4]
	v_ashrrev_i32_e32 v10, 31, v14
	v_lshlrev_b64 v[25:26], 3, v[25:26]
	v_mov_b32_e32 v9, v14
	v_lshlrev_b64 v[13:14], 3, v[27:28]
	v_ashrrev_i32_e32 v28, 31, v11
	v_add_co_u32 v3, vcc_lo, s18, v3
	v_add_co_ci_u32_e32 v4, vcc_lo, s19, v4, vcc_lo
	v_add_co_u32 v25, vcc_lo, s18, v25
	v_add_co_ci_u32_e32 v26, vcc_lo, s19, v26, vcc_lo
	s_clause 0x1
	global_load_b64 v[3:4], v[3:4], off
	global_load_b64 v[25:26], v[25:26], off
	v_lshlrev_b64 v[9:10], 3, v[9:10]
	v_add_co_u32 v13, vcc_lo, s18, v13
	v_add_co_ci_u32_e32 v14, vcc_lo, s19, v14, vcc_lo
	v_mov_b32_e32 v27, v11
	s_delay_alu instid0(VALU_DEP_4)
	v_add_co_u32 v9, vcc_lo, s18, v9
	v_add_co_ci_u32_e32 v10, vcc_lo, s19, v10, vcc_lo
	s_clause 0x1
	global_load_b64 v[13:14], v[13:14], off
	global_load_b64 v[9:10], v[9:10], off
	v_ashrrev_i32_e32 v30, 31, v15
	v_mov_b32_e32 v29, v15
	v_lshlrev_b64 v[27:28], 3, v[27:28]
	v_ashrrev_i32_e32 v32, 31, v12
	v_mov_b32_e32 v31, v12
	v_ashrrev_i32_e32 v12, 31, v16
	v_lshlrev_b64 v[29:30], 3, v[29:30]
	v_mov_b32_e32 v11, v16
	v_add_co_u32 v27, vcc_lo, s18, v27
	v_add_co_ci_u32_e32 v28, vcc_lo, s19, v28, vcc_lo
	s_delay_alu instid0(VALU_DEP_4)
	v_add_co_u32 v29, vcc_lo, s18, v29
	v_add_co_ci_u32_e32 v30, vcc_lo, s19, v30, vcc_lo
	s_clause 0x1
	global_load_b64 v[27:28], v[27:28], off
	global_load_b64 v[29:30], v[29:30], off
	v_lshlrev_b64 v[15:16], 3, v[31:32]
	v_lshlrev_b64 v[11:12], 3, v[11:12]
	s_waitcnt lgkmcnt(1)
	v_ashrrev_i32_e32 v32, 31, v17
	v_mov_b32_e32 v31, v17
	s_waitcnt lgkmcnt(0)
	v_ashrrev_i32_e32 v34, 31, v21
	v_mov_b32_e32 v33, v21
	v_add_co_u32 v15, vcc_lo, s18, v15
	v_add_co_ci_u32_e32 v16, vcc_lo, s19, v16, vcc_lo
	v_add_co_u32 v11, vcc_lo, s18, v11
	v_add_co_ci_u32_e32 v12, vcc_lo, s19, v12, vcc_lo
	s_clause 0x1
	global_load_b64 v[15:16], v[15:16], off
	global_load_b64 v[11:12], v[11:12], off
	v_lshlrev_b64 v[31:32], 3, v[31:32]
	v_lshlrev_b64 v[33:34], 3, v[33:34]
	v_ashrrev_i32_e32 v36, 31, v18
	v_mov_b32_e32 v35, v18
	v_ashrrev_i32_e32 v18, 31, v22
	v_mov_b32_e32 v17, v22
	v_add_co_u32 v31, vcc_lo, s18, v31
	v_add_co_ci_u32_e32 v32, vcc_lo, s19, v32, vcc_lo
	v_add_co_u32 v33, vcc_lo, s18, v33
	v_add_co_ci_u32_e32 v34, vcc_lo, s19, v34, vcc_lo
	s_clause 0x1
	global_load_b64 v[31:32], v[31:32], off
	global_load_b64 v[33:34], v[33:34], off
	v_lshlrev_b64 v[21:22], 3, v[35:36]
	v_lshlrev_b64 v[17:18], 3, v[17:18]
	v_ashrrev_i32_e32 v36, 31, v19
	v_mov_b32_e32 v35, v19
	;; [unrolled: 13-line block ×3, first 2 shown]
	v_ashrrev_i32_e32 v20, 31, v24
	v_mov_b32_e32 v19, v24
	v_add_co_u32 v35, vcc_lo, s18, v35
	v_add_co_ci_u32_e32 v36, vcc_lo, s19, v36, vcc_lo
	v_add_co_u32 v37, vcc_lo, s18, v37
	v_add_co_ci_u32_e32 v38, vcc_lo, s19, v38, vcc_lo
	s_clause 0x1
	global_load_b64 v[35:36], v[35:36], off
	global_load_b64 v[37:38], v[37:38], off
	v_lshlrev_b64 v[23:24], 3, v[39:40]
	v_lshlrev_b64 v[19:20], 3, v[19:20]
	s_delay_alu instid0(VALU_DEP_2) | instskip(NEXT) | instid1(VALU_DEP_3)
	v_add_co_u32 v23, vcc_lo, s18, v23
	v_add_co_ci_u32_e32 v24, vcc_lo, s19, v24, vcc_lo
	s_delay_alu instid0(VALU_DEP_3) | instskip(NEXT) | instid1(VALU_DEP_4)
	v_add_co_u32 v19, vcc_lo, s18, v19
	v_add_co_ci_u32_e32 v20, vcc_lo, s19, v20, vcc_lo
	s_clause 0x1
	global_load_b64 v[23:24], v[23:24], off
	global_load_b64 v[19:20], v[19:20], off
	s_waitcnt vmcnt(14)
	v_fma_f64 v[1:2], v[3:4], v[25:26], v[1:2]
	s_waitcnt vmcnt(12)
	s_delay_alu instid0(VALU_DEP_1) | instskip(SKIP_1) | instid1(VALU_DEP_1)
	v_fma_f64 v[1:2], v[13:14], v[9:10], v[1:2]
	s_waitcnt vmcnt(10)
	v_fma_f64 v[1:2], v[27:28], v[29:30], v[1:2]
	s_waitcnt vmcnt(8)
	s_delay_alu instid0(VALU_DEP_1) | instskip(SKIP_1) | instid1(VALU_DEP_1)
	v_fma_f64 v[1:2], v[15:16], v[11:12], v[1:2]
	;; [unrolled: 5-line block ×3, first 2 shown]
	s_waitcnt vmcnt(2)
	v_fma_f64 v[1:2], v[35:36], v[37:38], v[1:2]
	s_waitcnt vmcnt(0)
	s_delay_alu instid0(VALU_DEP_1)
	v_fma_f64 v[1:2], v[23:24], v[19:20], v[1:2]
	s_cbranch_scc1 .LBB21_37
; %bb.38:                               ;   in Loop: Header=BB21_9 Depth=1
	s_and_b32 s17, s17, 7
	s_delay_alu instid0(SALU_CYCLE_1)
	s_cmp_eq_u32 s17, 0
	s_cbranch_scc0 .LBB21_40
	s_branch .LBB21_42
.LBB21_39:                              ;   in Loop: Header=BB21_9 Depth=1
	s_mov_b32 s21, 0
	s_and_b32 s17, s17, 7
	s_delay_alu instid0(SALU_CYCLE_1)
	s_cmp_eq_u32 s17, 0
	s_cbranch_scc1 .LBB21_42
.LBB21_40:                              ;   in Loop: Header=BB21_9 Depth=1
	s_lshl_b32 s21, s21, 2
	.p2align	6
.LBB21_41:                              ;   Parent Loop BB21_9 Depth=1
                                        ; =>  This Inner Loop Header: Depth=2
	s_delay_alu instid0(SALU_CYCLE_1)
	v_mov_b32_e32 v3, s21
	s_add_i32 s17, s17, -1
	s_add_i32 s21, s21, 4
	s_cmp_eq_u32 s17, 0
	ds_load_2addr_b32 v[3:4], v3 offset1:32
	s_waitcnt lgkmcnt(0)
	v_ashrrev_i32_e32 v10, 31, v3
	v_mov_b32_e32 v9, v3
	v_ashrrev_i32_e32 v12, 31, v4
	v_mov_b32_e32 v11, v4
	s_delay_alu instid0(VALU_DEP_3) | instskip(NEXT) | instid1(VALU_DEP_2)
	v_lshlrev_b64 v[3:4], 3, v[9:10]
	v_lshlrev_b64 v[9:10], 3, v[11:12]
	s_delay_alu instid0(VALU_DEP_2) | instskip(NEXT) | instid1(VALU_DEP_3)
	v_add_co_u32 v3, vcc_lo, s18, v3
	v_add_co_ci_u32_e32 v4, vcc_lo, s19, v4, vcc_lo
	s_delay_alu instid0(VALU_DEP_3) | instskip(NEXT) | instid1(VALU_DEP_4)
	v_add_co_u32 v9, vcc_lo, s18, v9
	v_add_co_ci_u32_e32 v10, vcc_lo, s19, v10, vcc_lo
	s_clause 0x1
	global_load_b64 v[3:4], v[3:4], off
	global_load_b64 v[9:10], v[9:10], off
	s_waitcnt vmcnt(0)
	v_fma_f64 v[1:2], v[3:4], v[9:10], v[1:2]
	s_cbranch_scc0 .LBB21_41
.LBB21_42:                              ;   in Loop: Header=BB21_9 Depth=1
	ds_store_b64 v6, v[1:2]
	s_waitcnt lgkmcnt(0)
	buffer_gl0_inv
	ds_load_b64 v[3:4], v0 offset:384
	ds_load_b64 v[1:2], v5
	s_waitcnt lgkmcnt(1)
	v_cmp_eq_f64_e32 vcc_lo, 0, v[3:4]
	s_cbranch_vccz .LBB21_6
; %bb.43:                               ;   in Loop: Header=BB21_9 Depth=1
	v_mbcnt_lo_u32_b32 v3, exec_lo, 0
	s_delay_alu instid0(VALU_DEP_1)
	v_cmp_ne_u32_e32 vcc_lo, 0, v3
	s_and_b32 s17, vcc_lo, exec_lo
	s_cbranch_scc1 .LBB21_45
; %bb.44:                               ;   in Loop: Header=BB21_9 Depth=1
	v_mov_b32_e32 v3, s1
	global_atomic_min_i32 v0, v3, s[10:11]
.LBB21_45:                              ;   in Loop: Header=BB21_9 Depth=1
	v_mov_b32_e32 v3, 0
	v_mov_b32_e32 v4, 0x3ff00000
	s_branch .LBB21_7
.LBB21_46:
	s_ashr_i32 s17, s16, 31
	s_mov_b32 vcc_lo, 0
	s_lshl_b64 s[0:1], s[16:17], 3
	s_delay_alu instid0(SALU_CYCLE_1)
	s_add_u32 s0, s18, s0
	s_addc_u32 s1, s19, s1
	global_load_b64 v[1:2], v0, s[0:1]
	s_waitcnt vmcnt(0)
	ds_store_b64 v0, v[1:2] offset:416
	s_waitcnt lgkmcnt(0)
	buffer_gl0_inv
	s_cbranch_vccnz .LBB21_48
; %bb.47:
	v_mov_b32_e32 v8, 0
	ds_load_2addr_b64 v[0:3], v8 offset0:52 offset1:54
	s_waitcnt lgkmcnt(0)
	v_add_f64 v[0:1], v[0:1], -v[2:3]
	s_delay_alu instid0(VALU_DEP_1) | instskip(SKIP_1) | instid1(VALU_DEP_1)
	v_cmp_gt_f64_e32 vcc_lo, 0, v[0:1]
	v_xor_b32_e32 v2, 0x80000000, v1
	v_dual_cndmask_b32 v1, v1, v2 :: v_dual_cndmask_b32 v0, v0, v0
	s_delay_alu instid0(VALU_DEP_1) | instskip(SKIP_3) | instid1(VALU_DEP_1)
	v_cmp_gt_f64_e32 vcc_lo, 0x10000000, v[0:1]
	v_cndmask_b32_e64 v2, 0, 1, vcc_lo
	s_and_b32 s4, vcc_lo, exec_lo
	s_cselect_b32 s4, 0xffffff80, 0
	v_lshlrev_b32_e32 v2, 8, v2
	s_delay_alu instid0(VALU_DEP_1) | instskip(NEXT) | instid1(VALU_DEP_1)
	v_ldexp_f64 v[0:1], v[0:1], v2
	v_rsq_f64_e32 v[2:3], v[0:1]
	v_cmp_class_f64_e64 vcc_lo, v[0:1], 0x260
	s_waitcnt_depctr 0xfff
	v_mul_f64 v[4:5], v[0:1], v[2:3]
	v_mul_f64 v[2:3], v[2:3], 0.5
	s_delay_alu instid0(VALU_DEP_1) | instskip(NEXT) | instid1(VALU_DEP_1)
	v_fma_f64 v[6:7], -v[2:3], v[4:5], 0.5
	v_fma_f64 v[4:5], v[4:5], v[6:7], v[4:5]
	v_fma_f64 v[2:3], v[2:3], v[6:7], v[2:3]
	s_delay_alu instid0(VALU_DEP_2) | instskip(NEXT) | instid1(VALU_DEP_1)
	v_fma_f64 v[6:7], -v[4:5], v[4:5], v[0:1]
	v_fma_f64 v[4:5], v[6:7], v[2:3], v[4:5]
	s_delay_alu instid0(VALU_DEP_1) | instskip(NEXT) | instid1(VALU_DEP_1)
	v_fma_f64 v[6:7], -v[4:5], v[4:5], v[0:1]
	v_fma_f64 v[2:3], v[6:7], v[2:3], v[4:5]
	s_delay_alu instid0(VALU_DEP_1) | instskip(NEXT) | instid1(VALU_DEP_1)
	v_ldexp_f64 v[2:3], v[2:3], s4
	v_dual_cndmask_b32 v1, v3, v1 :: v_dual_cndmask_b32 v0, v2, v0
	ds_store_b64 v8, v[0:1] offset:416
.LBB21_48:
	v_mov_b32_e32 v0, 0
	s_waitcnt lgkmcnt(0)
	buffer_gl0_inv
	ds_load_b64 v[0:1], v0 offset:416
	s_waitcnt lgkmcnt(0)
	v_cmp_neq_f64_e32 vcc_lo, 0, v[0:1]
	s_cbranch_vccnz .LBB21_53
; %bb.49:
	s_mov_b32 vcc_lo, 0
	s_cbranch_vccnz .LBB21_52
; %bb.50:
	v_mbcnt_lo_u32_b32 v0, exec_lo, 0
	s_delay_alu instid0(VALU_DEP_1)
	v_cmp_ne_u32_e32 vcc_lo, 0, v0
	s_and_b32 s4, vcc_lo, exec_lo
	s_cbranch_scc1 .LBB21_52
; %bb.51:
	s_add_i32 s4, s8, s9
	s_delay_alu instid0(SALU_CYCLE_1)
	v_dual_mov_b32 v0, 0 :: v_dual_mov_b32 v1, s4
	global_atomic_min_i32 v0, v1, s[10:11]
.LBB21_52:
	v_mov_b32_e32 v0, 0
	v_mov_b32_e32 v1, 0x3ff00000
.LBB21_53:
	s_mov_b32 s13, -1
	s_mov_b32 vcc_lo, exec_lo
	s_cbranch_vccnz .LBB21_55
; %bb.54:
	v_mov_b32_e32 v12, 0
	ds_load_2addr_b64 v[2:5], v12 offset0:52 offset1:54
	s_waitcnt lgkmcnt(0)
	v_add_f64 v[2:3], v[2:3], -v[4:5]
	s_delay_alu instid0(VALU_DEP_1) | instskip(SKIP_1) | instid1(VALU_DEP_2)
	v_div_scale_f64 v[4:5], null, v[0:1], v[0:1], v[2:3]
	v_div_scale_f64 v[10:11], vcc_lo, v[2:3], v[0:1], v[2:3]
	v_rcp_f64_e32 v[6:7], v[4:5]
	s_waitcnt_depctr 0xfff
	v_fma_f64 v[8:9], -v[4:5], v[6:7], 1.0
	s_delay_alu instid0(VALU_DEP_1) | instskip(NEXT) | instid1(VALU_DEP_1)
	v_fma_f64 v[6:7], v[6:7], v[8:9], v[6:7]
	v_fma_f64 v[8:9], -v[4:5], v[6:7], 1.0
	s_delay_alu instid0(VALU_DEP_1) | instskip(NEXT) | instid1(VALU_DEP_1)
	v_fma_f64 v[6:7], v[6:7], v[8:9], v[6:7]
	v_mul_f64 v[8:9], v[10:11], v[6:7]
	s_delay_alu instid0(VALU_DEP_1) | instskip(NEXT) | instid1(VALU_DEP_1)
	v_fma_f64 v[4:5], -v[4:5], v[8:9], v[10:11]
	v_div_fmas_f64 v[4:5], v[4:5], v[6:7], v[8:9]
	v_mov_b32_e32 v6, 0x1b0
	s_delay_alu instid0(VALU_DEP_2)
	v_div_fixup_f64 v[0:1], v[4:5], v[0:1], v[2:3]
	ds_store_b64 v12, v[0:1] offset:416
	s_waitcnt lgkmcnt(0)
	s_waitcnt_vscnt null, 0x0
	buffer_gl0_inv
	ds_load_b64 v[2:3], v12 offset:416
	ds_load_b64 v[4:5], v6
	s_waitcnt lgkmcnt(0)
	v_fma_f64 v[0:1], v[0:1], v[2:3], v[4:5]
	ds_store_b64 v6, v[0:1]
.LBB21_55:
	v_mov_b32_e32 v0, 0x1a0
	s_waitcnt lgkmcnt(0)
	s_waitcnt_vscnt null, 0x0
	buffer_gl0_inv
	v_mov_b32_e32 v2, 0
	ds_load_b64 v[0:1], v0
	s_waitcnt lgkmcnt(0)
	global_store_b64 v2, v[0:1], s[0:1]
	s_branch .LBB21_58
.LBB21_56:
	s_cbranch_execz .LBB21_58
; %bb.57:
	s_mov_b32 vcc_lo, exec_lo
	s_cbranch_vccnz .LBB21_61
.LBB21_58:
	s_and_b32 vcc_lo, exec_lo, s13
	s_cbranch_vccz .LBB21_60
.LBB21_59:
	v_dual_mov_b32 v0, 0 :: v_dual_mov_b32 v1, 1
	s_add_u32 s0, s6, s2
	s_addc_u32 s1, s7, s3
	s_waitcnt_vscnt null, 0x0
	global_store_b32 v0, v1, s[0:1]
.LBB21_60:
	s_nop 0
	s_sendmsg sendmsg(MSG_DEALLOC_VGPRS)
	s_endpgm
.LBB21_61:
	v_mbcnt_lo_u32_b32 v0, exec_lo, 0
	s_delay_alu instid0(VALU_DEP_1)
	v_cmp_ne_u32_e32 vcc_lo, 0, v0
	s_and_b32 s0, vcc_lo, exec_lo
	s_cbranch_scc0 .LBB21_63
; %bb.62:
	s_cbranch_execnz .LBB21_59
	s_branch .LBB21_60
.LBB21_63:
	s_add_i32 s0, s8, s9
	s_delay_alu instid0(SALU_CYCLE_1)
	v_dual_mov_b32 v0, 0 :: v_dual_mov_b32 v1, s0
	global_atomic_min_i32 v0, v1, s[10:11]
	s_cbranch_execnz .LBB21_59
	s_branch .LBB21_60
	.section	.rodata,"a",@progbits
	.p2align	6, 0x0
	.amdhsa_kernel _ZN9rocsparseL26bsric0_2_8_unrolled_kernelILi1ELi32ELi1EdEEv20rocsparse_direction_iiPKiS3_PT2_S3_PiS3_S6_21rocsparse_index_base_
		.amdhsa_group_segment_fixed_size 448
		.amdhsa_private_segment_fixed_size 0
		.amdhsa_kernarg_size 76
		.amdhsa_user_sgpr_count 15
		.amdhsa_user_sgpr_dispatch_ptr 0
		.amdhsa_user_sgpr_queue_ptr 0
		.amdhsa_user_sgpr_kernarg_segment_ptr 1
		.amdhsa_user_sgpr_dispatch_id 0
		.amdhsa_user_sgpr_private_segment_size 0
		.amdhsa_wavefront_size32 1
		.amdhsa_uses_dynamic_stack 0
		.amdhsa_enable_private_segment 0
		.amdhsa_system_sgpr_workgroup_id_x 1
		.amdhsa_system_sgpr_workgroup_id_y 0
		.amdhsa_system_sgpr_workgroup_id_z 0
		.amdhsa_system_sgpr_workgroup_info 0
		.amdhsa_system_vgpr_workitem_id 0
		.amdhsa_next_free_vgpr 41
		.amdhsa_next_free_sgpr 38
		.amdhsa_reserve_vcc 1
		.amdhsa_float_round_mode_32 0
		.amdhsa_float_round_mode_16_64 0
		.amdhsa_float_denorm_mode_32 3
		.amdhsa_float_denorm_mode_16_64 3
		.amdhsa_dx10_clamp 1
		.amdhsa_ieee_mode 1
		.amdhsa_fp16_overflow 0
		.amdhsa_workgroup_processor_mode 1
		.amdhsa_memory_ordered 1
		.amdhsa_forward_progress 0
		.amdhsa_shared_vgpr_count 0
		.amdhsa_exception_fp_ieee_invalid_op 0
		.amdhsa_exception_fp_denorm_src 0
		.amdhsa_exception_fp_ieee_div_zero 0
		.amdhsa_exception_fp_ieee_overflow 0
		.amdhsa_exception_fp_ieee_underflow 0
		.amdhsa_exception_fp_ieee_inexact 0
		.amdhsa_exception_int_div_zero 0
	.end_amdhsa_kernel
	.section	.text._ZN9rocsparseL26bsric0_2_8_unrolled_kernelILi1ELi32ELi1EdEEv20rocsparse_direction_iiPKiS3_PT2_S3_PiS3_S6_21rocsparse_index_base_,"axG",@progbits,_ZN9rocsparseL26bsric0_2_8_unrolled_kernelILi1ELi32ELi1EdEEv20rocsparse_direction_iiPKiS3_PT2_S3_PiS3_S6_21rocsparse_index_base_,comdat
.Lfunc_end21:
	.size	_ZN9rocsparseL26bsric0_2_8_unrolled_kernelILi1ELi32ELi1EdEEv20rocsparse_direction_iiPKiS3_PT2_S3_PiS3_S6_21rocsparse_index_base_, .Lfunc_end21-_ZN9rocsparseL26bsric0_2_8_unrolled_kernelILi1ELi32ELi1EdEEv20rocsparse_direction_iiPKiS3_PT2_S3_PiS3_S6_21rocsparse_index_base_
                                        ; -- End function
	.section	.AMDGPU.csdata,"",@progbits
; Kernel info:
; codeLenInByte = 4116
; NumSgprs: 40
; NumVgprs: 41
; ScratchSize: 0
; MemoryBound: 0
; FloatMode: 240
; IeeeMode: 1
; LDSByteSize: 448 bytes/workgroup (compile time only)
; SGPRBlocks: 4
; VGPRBlocks: 5
; NumSGPRsForWavesPerEU: 40
; NumVGPRsForWavesPerEU: 41
; Occupancy: 16
; WaveLimiterHint : 1
; COMPUTE_PGM_RSRC2:SCRATCH_EN: 0
; COMPUTE_PGM_RSRC2:USER_SGPR: 15
; COMPUTE_PGM_RSRC2:TRAP_HANDLER: 0
; COMPUTE_PGM_RSRC2:TGID_X_EN: 1
; COMPUTE_PGM_RSRC2:TGID_Y_EN: 0
; COMPUTE_PGM_RSRC2:TGID_Z_EN: 0
; COMPUTE_PGM_RSRC2:TIDIG_COMP_CNT: 0
	.section	.text._ZN9rocsparseL26bsric0_2_8_unrolled_kernelILi4ELi32ELi2EdEEv20rocsparse_direction_iiPKiS3_PT2_S3_PiS3_S6_21rocsparse_index_base_,"axG",@progbits,_ZN9rocsparseL26bsric0_2_8_unrolled_kernelILi4ELi32ELi2EdEEv20rocsparse_direction_iiPKiS3_PT2_S3_PiS3_S6_21rocsparse_index_base_,comdat
	.globl	_ZN9rocsparseL26bsric0_2_8_unrolled_kernelILi4ELi32ELi2EdEEv20rocsparse_direction_iiPKiS3_PT2_S3_PiS3_S6_21rocsparse_index_base_ ; -- Begin function _ZN9rocsparseL26bsric0_2_8_unrolled_kernelILi4ELi32ELi2EdEEv20rocsparse_direction_iiPKiS3_PT2_S3_PiS3_S6_21rocsparse_index_base_
	.p2align	8
	.type	_ZN9rocsparseL26bsric0_2_8_unrolled_kernelILi4ELi32ELi2EdEEv20rocsparse_direction_iiPKiS3_PT2_S3_PiS3_S6_21rocsparse_index_base_,@function
_ZN9rocsparseL26bsric0_2_8_unrolled_kernelILi4ELi32ELi2EdEEv20rocsparse_direction_iiPKiS3_PT2_S3_PiS3_S6_21rocsparse_index_base_: ; @_ZN9rocsparseL26bsric0_2_8_unrolled_kernelILi4ELi32ELi2EdEEv20rocsparse_direction_iiPKiS3_PT2_S3_PiS3_S6_21rocsparse_index_base_
; %bb.0:
	s_load_b256 s[4:11], s[0:1], 0x28
	s_mov_b32 s2, s15
	s_mov_b32 s3, 0
	v_and_b32_e32 v8, 0x3ff, v0
	s_lshl_b64 s[12:13], s[2:3], 2
	v_bfe_u32 v9, v0, 10, 10
	s_waitcnt lgkmcnt(0)
	s_add_u32 s8, s8, s12
	s_addc_u32 s9, s9, s13
	s_load_b32 s16, s[8:9], 0x0
	s_waitcnt lgkmcnt(0)
	s_ashr_i32 s17, s16, 31
	s_delay_alu instid0(SALU_CYCLE_1) | instskip(NEXT) | instid1(SALU_CYCLE_1)
	s_lshl_b64 s[8:9], s[16:17], 2
	s_add_u32 s12, s4, s8
	s_addc_u32 s13, s5, s9
	s_load_b32 s26, s[12:13], 0x0
	s_load_b32 s17, s[0:1], 0x48
	s_waitcnt lgkmcnt(0)
	s_cmp_lg_u32 s26, -1
	s_cbranch_scc0 .LBB22_6
; %bb.1:
	s_clause 0x1
	s_load_b128 s[12:15], s[0:1], 0x10
	s_load_b64 s[18:19], s[0:1], 0x20
	v_lshlrev_b32_e32 v14, 1, v9
	s_delay_alu instid0(VALU_DEP_1)
	v_add_nc_u32_e32 v13, v14, v8
	s_waitcnt lgkmcnt(0)
	s_add_u32 s2, s12, s8
	s_addc_u32 s3, s13, s9
	s_load_b32 s2, s[2:3], 0x0
	s_mov_b32 s3, exec_lo
	s_waitcnt lgkmcnt(0)
	s_sub_i32 s27, s2, s17
	s_delay_alu instid0(SALU_CYCLE_1) | instskip(NEXT) | instid1(VALU_DEP_1)
	v_add_nc_u32_e32 v0, s27, v13
	v_cmpx_ge_i32_e64 s26, v0
	s_cbranch_execz .LBB22_4
; %bb.2:
	v_ashrrev_i32_e32 v1, 31, v0
	v_lshlrev_b32_e32 v3, 3, v9
	v_lshlrev_b32_e32 v4, 2, v8
	s_mov_b32 s20, 0
	s_delay_alu instid0(VALU_DEP_3) | instskip(NEXT) | instid1(VALU_DEP_2)
	v_lshlrev_b64 v[1:2], 2, v[0:1]
	v_add3_u32 v3, v3, v4, 0x100
	s_delay_alu instid0(VALU_DEP_2) | instskip(NEXT) | instid1(VALU_DEP_3)
	v_add_co_u32 v1, vcc_lo, s14, v1
	v_add_co_ci_u32_e32 v2, vcc_lo, s15, v2, vcc_lo
.LBB22_3:                               ; =>This Inner Loop Header: Depth=1
	global_load_b32 v4, v[1:2], off
	v_add_nc_u32_e32 v0, 4, v0
	v_add_co_u32 v1, vcc_lo, v1, 16
	v_add_co_ci_u32_e32 v2, vcc_lo, 0, v2, vcc_lo
	s_delay_alu instid0(VALU_DEP_3) | instskip(NEXT) | instid1(VALU_DEP_1)
	v_cmp_lt_i32_e64 s2, s26, v0
	s_or_b32 s20, s2, s20
	s_waitcnt vmcnt(0)
	v_subrev_nc_u32_e32 v4, s17, v4
	ds_store_b32 v3, v4
	v_add_nc_u32_e32 v3, 16, v3
	s_and_not1_b32 exec_lo, exec_lo, s20
	s_cbranch_execnz .LBB22_3
.LBB22_4:
	s_or_b32 exec_lo, exec_lo, s3
	v_dual_mov_b32 v1, 0 :: v_dual_lshlrev_b32 v0, 3, v8
	s_mov_b32 s2, 0
	s_cmp_lt_i32 s27, s26
	s_delay_alu instid0(VALU_DEP_1) | instskip(NEXT) | instid1(VALU_DEP_2)
	v_mad_u32_u24 v12, v9, 24, v0
	v_mov_b32_e32 v2, v1
	ds_store_b64 v12, v[1:2] offset:528
	s_waitcnt lgkmcnt(0)
	buffer_gl0_inv
	s_cbranch_scc1 .LBB22_7
; %bb.5:
	v_lshl_add_u32 v15, v8, 1, v9
	v_or_b32_e32 v10, v8, v9
	s_load_b32 s1, s[0:1], 0x0
	v_add_nc_u32_e32 v11, 0x210, v12
	s_and_not1_b32 vcc_lo, exec_lo, s2
	s_cbranch_vccz .LBB22_8
	s_branch .LBB22_53
.LBB22_6:
	s_cbranch_execnz .LBB22_70
	s_branch .LBB22_75
.LBB22_7:
                                        ; implicit-def: $vgpr15
                                        ; implicit-def: $vgpr10
	s_load_b32 s1, s[0:1], 0x0
	v_add_nc_u32_e32 v11, 0x210, v12
.LBB22_8:
	s_waitcnt lgkmcnt(0)
	s_cmp_eq_u32 s1, 0
	v_mad_u32_u24 v17, v9, 24, 0x1e0
	s_cselect_b32 vcc_lo, -1, 0
	v_lshlrev_b32_e32 v16, 1, v8
	v_mul_u32_u24_e32 v1, 24, v9
	v_mad_u32_u24 v19, v9, 24, 0x1b0
	v_or_b32_e32 v10, v8, v9
	v_add_nc_u32_e32 v18, v17, v0
	v_dual_mov_b32 v26, 0 :: v_dual_add_nc_u32 v15, v16, v9
	v_add3_u32 v20, v1, v0, 0x180
	v_add_nc_u32_e32 v21, 2, v8
	v_add_nc_u32_e32 v22, 2, v9
	;; [unrolled: 1-line block ×3, first 2 shown]
	v_cmp_ne_u32_e64 s0, 0, v10
	v_mad_u32_u24 v24, v8, 24, 0x1e0
	v_cndmask_b32_e32 v25, v15, v13, vcc_lo
	s_cmp_lg_u32 s1, 0
	s_mov_b32 s2, s27
	s_cselect_b32 s28, -1, 0
	s_branch .LBB22_12
.LBB22_9:                               ;   in Loop: Header=BB22_12 Depth=1
	s_or_b32 exec_lo, exec_lo, s21
	v_mov_b32_e32 v4, 0
	v_mov_b32_e32 v5, 0x3ff00000
.LBB22_10:                              ;   in Loop: Header=BB22_12 Depth=1
	s_or_b32 exec_lo, exec_lo, s20
	ds_load_b64 v[6:7], v17
	ds_load_b64 v[27:28], v26 offset:408
	ds_load_b64 v[29:30], v19 offset:8
	s_add_i32 s2, s2, 1
	s_delay_alu instid0(SALU_CYCLE_1) | instskip(SKIP_3) | instid1(VALU_DEP_1)
	s_cmp_ge_i32 s2, s26
	s_cselect_b32 s24, -1, 0
	s_waitcnt lgkmcnt(0)
	v_fma_f64 v[6:7], v[27:28], v[6:7], v[29:30]
	v_add_f64 v[2:3], v[2:3], -v[6:7]
	s_delay_alu instid0(VALU_DEP_1) | instskip(SKIP_1) | instid1(VALU_DEP_2)
	v_div_scale_f64 v[6:7], null, v[4:5], v[4:5], v[2:3]
	v_div_scale_f64 v[31:32], vcc_lo, v[2:3], v[4:5], v[2:3]
	v_rcp_f64_e32 v[27:28], v[6:7]
	s_waitcnt_depctr 0xfff
	v_fma_f64 v[29:30], -v[6:7], v[27:28], 1.0
	s_delay_alu instid0(VALU_DEP_1) | instskip(NEXT) | instid1(VALU_DEP_1)
	v_fma_f64 v[27:28], v[27:28], v[29:30], v[27:28]
	v_fma_f64 v[29:30], -v[6:7], v[27:28], 1.0
	s_delay_alu instid0(VALU_DEP_1) | instskip(NEXT) | instid1(VALU_DEP_1)
	v_fma_f64 v[27:28], v[27:28], v[29:30], v[27:28]
	v_mul_f64 v[29:30], v[31:32], v[27:28]
	s_delay_alu instid0(VALU_DEP_1) | instskip(NEXT) | instid1(VALU_DEP_1)
	v_fma_f64 v[6:7], -v[6:7], v[29:30], v[31:32]
	v_div_fmas_f64 v[6:7], v[6:7], v[27:28], v[29:30]
	s_delay_alu instid0(VALU_DEP_1)
	v_div_fixup_f64 v[2:3], v[6:7], v[4:5], v[2:3]
	ds_store_b64 v17, v[2:3] offset:8
	s_waitcnt lgkmcnt(0)
	s_waitcnt_vscnt null, 0x0
	buffer_gl0_inv
	ds_load_b64 v[4:5], v24 offset:8
	ds_load_b64 v[6:7], v11
	s_waitcnt lgkmcnt(0)
	v_fma_f64 v[2:3], v[2:3], v[4:5], v[6:7]
	ds_store_b64 v11, v[2:3]
	s_waitcnt lgkmcnt(0)
	buffer_gl0_inv
	ds_load_b64 v[2:3], v18
	s_waitcnt lgkmcnt(0)
	global_store_b64 v[0:1], v[2:3], off
	s_waitcnt_vscnt null, 0x0
	buffer_gl1_inv
	buffer_gl0_inv
.LBB22_11:                              ;   in Loop: Header=BB22_12 Depth=1
	s_and_b32 vcc_lo, exec_lo, s24
	s_cbranch_vccnz .LBB22_53
.LBB22_12:                              ; =>This Loop Header: Depth=1
                                        ;     Child Loop BB22_15 Depth 2
                                        ;     Child Loop BB22_26 Depth 2
	;; [unrolled: 1-line block ×3, first 2 shown]
	s_ashr_i32 s3, s2, 31
	s_delay_alu instid0(SALU_CYCLE_1) | instskip(NEXT) | instid1(SALU_CYCLE_1)
	s_lshl_b64 s[20:21], s[2:3], 2
	s_add_u32 s20, s14, s20
	s_addc_u32 s21, s15, s21
	s_load_b32 s3, s[20:21], 0x0
	s_waitcnt lgkmcnt(0)
	s_sub_i32 s22, s3, s17
	s_delay_alu instid0(SALU_CYCLE_1) | instskip(NEXT) | instid1(SALU_CYCLE_1)
	s_ashr_i32 s23, s22, 31
	s_lshl_b64 s[20:21], s[22:23], 2
	s_delay_alu instid0(SALU_CYCLE_1)
	s_add_u32 s24, s4, s20
	s_addc_u32 s25, s5, s21
	s_load_b32 s23, s[24:25], 0x0
	s_mov_b32 s24, -1
	s_waitcnt lgkmcnt(0)
	s_cmp_eq_u32 s23, -1
	s_cbranch_scc1 .LBB22_11
; %bb.13:                               ;   in Loop: Header=BB22_12 Depth=1
	v_lshl_add_u32 v0, s2, 2, v25
	s_add_u32 s24, s12, s20
	s_addc_u32 s25, s13, s21
	ds_load_b32 v4, v26 offset:256
	s_load_b32 s24, s[24:25], 0x0
	v_ashrrev_i32_e32 v1, 31, v0
	s_delay_alu instid0(VALU_DEP_1) | instskip(NEXT) | instid1(VALU_DEP_1)
	v_lshlrev_b64 v[0:1], 3, v[0:1]
	v_add_co_u32 v0, vcc_lo, s18, v0
	s_delay_alu instid0(VALU_DEP_2) | instskip(SKIP_4) | instid1(SALU_CYCLE_1)
	v_add_co_ci_u32_e32 v1, vcc_lo, s19, v1, vcc_lo
	s_waitcnt lgkmcnt(0)
	v_cmp_ge_i32_e32 vcc_lo, s22, v4
	global_load_b64 v[2:3], v[0:1], off
	s_sub_i32 s24, s24, s17
	s_cmp_le_i32 s24, s23
	s_cselect_b32 s25, -1, 0
	s_delay_alu instid0(SALU_CYCLE_1) | instskip(NEXT) | instid1(SALU_CYCLE_1)
	s_and_b32 s25, s25, vcc_lo
	s_and_not1_b32 vcc_lo, exec_lo, s25
	s_mov_b32 s25, 0
	s_waitcnt vmcnt(0)
	ds_store_b64 v18, v[2:3]
	s_cbranch_vccnz .LBB22_25
; %bb.14:                               ;   in Loop: Header=BB22_12 Depth=1
	s_mov_b32 s29, 0
	s_mov_b32 s30, 0
.LBB22_15:                              ;   Parent Loop BB22_12 Depth=1
                                        ; =>  This Inner Loop Header: Depth=2
	s_ashr_i32 s25, s24, 31
                                        ; implicit-def: $sgpr33
	s_delay_alu instid0(SALU_CYCLE_1) | instskip(NEXT) | instid1(SALU_CYCLE_1)
	s_lshl_b64 s[34:35], s[24:25], 2
	s_add_u32 s34, s14, s34
	s_addc_u32 s35, s15, s35
	s_lshl_b32 s25, s30, 2
	s_delay_alu instid0(SALU_CYCLE_1)
	v_mov_b32_e32 v2, s25
	s_load_b32 s25, s[34:35], 0x0
	s_mov_b32 s35, -1
                                        ; implicit-def: $sgpr34
	ds_load_b32 v2, v2 offset:256
	s_waitcnt lgkmcnt(0)
	s_sub_i32 s36, s25, s17
                                        ; implicit-def: $sgpr25
	s_delay_alu instid0(SALU_CYCLE_1)
	v_cmp_ge_i32_e32 vcc_lo, s36, v2
	v_readfirstlane_b32 s31, v2
	s_cbranch_vccz .LBB22_21
; %bb.16:                               ;   in Loop: Header=BB22_15 Depth=2
	s_delay_alu instid0(VALU_DEP_1)
	s_cmp_le_i32 s36, s31
                                        ; implicit-def: $sgpr25
                                        ; implicit-def: $sgpr34
                                        ; implicit-def: $sgpr33
	s_cbranch_scc0 .LBB22_18
; %bb.17:                               ;   in Loop: Header=BB22_15 Depth=2
	s_add_i32 s25, s30, s27
	s_lshl_b32 s33, s29, 2
	s_lshl_b32 s25, s25, 2
	s_delay_alu instid0(SALU_CYCLE_1)
	v_dual_mov_b32 v2, s33 :: v_dual_mov_b32 v3, s25
	s_lshl_b32 s33, s24, 2
	s_add_i32 s34, s24, 1
	v_mov_b32_e32 v4, s33
	s_add_i32 s33, s30, 1
	s_add_i32 s25, s29, 1
	s_mov_b32 s35, 0
	ds_store_2addr_b32 v2, v4, v3 offset1:32
.LBB22_18:                              ;   in Loop: Header=BB22_15 Depth=2
	s_and_not1_b32 vcc_lo, exec_lo, s35
	s_cbranch_vccnz .LBB22_20
; %bb.19:                               ;   in Loop: Header=BB22_15 Depth=2
	s_add_i32 s33, s30, 1
	s_mov_b32 s25, s29
	s_mov_b32 s34, s24
.LBB22_20:                              ;   in Loop: Header=BB22_15 Depth=2
	s_mov_b32 s35, 0
.LBB22_21:                              ;   in Loop: Header=BB22_15 Depth=2
	s_delay_alu instid0(SALU_CYCLE_1)
	s_and_not1_b32 vcc_lo, exec_lo, s35
	s_cbranch_vccnz .LBB22_23
; %bb.22:                               ;   in Loop: Header=BB22_15 Depth=2
	s_add_i32 s34, s24, 1
	s_mov_b32 s33, s30
	s_mov_b32 s25, s29
.LBB22_23:                              ;   in Loop: Header=BB22_15 Depth=2
	s_cmp_le_i32 s34, s23
	s_cselect_b32 s24, -1, 0
	s_cmp_le_i32 s31, s22
	s_cselect_b32 s29, -1, 0
	s_delay_alu instid0(SALU_CYCLE_1) | instskip(NEXT) | instid1(SALU_CYCLE_1)
	s_and_b32 s24, s24, s29
	s_and_b32 vcc_lo, exec_lo, s24
	s_cbranch_vccz .LBB22_25
; %bb.24:                               ;   in Loop: Header=BB22_15 Depth=2
	s_mov_b32 s29, s25
	s_mov_b32 s24, s34
	s_mov_b32 s30, s33
	s_branch .LBB22_15
.LBB22_25:                              ;   in Loop: Header=BB22_12 Depth=1
	s_add_u32 s20, s6, s20
	s_addc_u32 s21, s7, s21
	s_waitcnt lgkmcnt(0)
	buffer_gl0_inv
.LBB22_26:                              ;   Parent Loop BB22_12 Depth=1
                                        ; =>  This Inner Loop Header: Depth=2
	global_load_b32 v2, v26, s[20:21] glc
	s_waitcnt vmcnt(0)
	v_cmp_eq_u32_e32 vcc_lo, 0, v2
	s_cbranch_vccnz .LBB22_26
; %bb.27:                               ;   in Loop: Header=BB22_12 Depth=1
	v_lshl_add_u32 v2, s23, 2, v25
	buffer_gl1_inv
	buffer_gl0_inv
	s_cmp_lt_i32 s25, 2
	v_ashrrev_i32_e32 v3, 31, v2
	s_delay_alu instid0(VALU_DEP_1) | instskip(NEXT) | instid1(VALU_DEP_1)
	v_lshlrev_b64 v[2:3], 3, v[2:3]
	v_add_co_u32 v2, vcc_lo, s18, v2
	s_delay_alu instid0(VALU_DEP_2)
	v_add_co_ci_u32_e32 v3, vcc_lo, s19, v3, vcc_lo
	global_load_b64 v[4:5], v[2:3], off
	v_mov_b32_e32 v2, 0
	v_mov_b32_e32 v3, 0
	s_waitcnt vmcnt(0)
	ds_store_b64 v20, v[4:5]
	s_waitcnt lgkmcnt(0)
	buffer_gl0_inv
	s_cbranch_scc1 .LBB22_46
; %bb.28:                               ;   in Loop: Header=BB22_12 Depth=1
	v_mov_b32_e32 v2, 0
	v_mov_b32_e32 v3, 0
	s_add_i32 s20, s25, -1
	s_cmp_eq_u32 s25, 2
	s_cbranch_scc1 .LBB22_39
; %bb.29:                               ;   in Loop: Header=BB22_12 Depth=1
	s_and_b32 s21, s20, -2
	s_mov_b32 s22, 0
	s_mov_b32 s23, 0
	s_branch .LBB22_31
.LBB22_30:                              ;   in Loop: Header=BB22_31 Depth=2
	s_add_i32 s23, s23, 2
	s_add_i32 s22, s22, 8
	s_cmp_eq_u32 s21, s23
	s_cbranch_scc1 .LBB22_40
.LBB22_31:                              ;   Parent Loop BB22_12 Depth=1
                                        ; =>  This Inner Loop Header: Depth=2
	v_mov_b32_e32 v4, s22
	s_and_b32 vcc_lo, exec_lo, s28
	s_waitcnt lgkmcnt(0)
	ds_load_2addr_b32 v[6:7], v4 offset1:32
	s_cbranch_vccz .LBB22_33
; %bb.32:                               ;   in Loop: Header=BB22_31 Depth=2
	s_waitcnt lgkmcnt(0)
	v_add_nc_u32_e32 v4, v6, v8
	v_add_nc_u32_e32 v27, v7, v9
	;; [unrolled: 1-line block ×4, first 2 shown]
	s_delay_alu instid0(VALU_DEP_4) | instskip(NEXT) | instid1(VALU_DEP_4)
	v_ashrrev_i32_e32 v5, 31, v4
	v_ashrrev_i32_e32 v28, 31, v27
	s_delay_alu instid0(VALU_DEP_4) | instskip(NEXT) | instid1(VALU_DEP_4)
	v_ashrrev_i32_e32 v30, 31, v29
	v_ashrrev_i32_e32 v32, 31, v31
	s_delay_alu instid0(VALU_DEP_4) | instskip(NEXT) | instid1(VALU_DEP_4)
	v_lshlrev_b64 v[4:5], 3, v[4:5]
	v_lshlrev_b64 v[27:28], 3, v[27:28]
	s_delay_alu instid0(VALU_DEP_4) | instskip(NEXT) | instid1(VALU_DEP_4)
	v_lshlrev_b64 v[29:30], 3, v[29:30]
	v_lshlrev_b64 v[31:32], 3, v[31:32]
	s_delay_alu instid0(VALU_DEP_4)
	v_add_co_u32 v4, vcc_lo, s18, v4
	v_add_co_ci_u32_e32 v5, vcc_lo, s19, v5, vcc_lo
	v_add_co_u32 v27, vcc_lo, s18, v27
	v_add_co_ci_u32_e32 v28, vcc_lo, s19, v28, vcc_lo
	v_add_co_u32 v29, vcc_lo, s18, v29
	s_clause 0x1
	global_load_b64 v[4:5], v[4:5], off
	global_load_b64 v[27:28], v[27:28], off
	v_add_co_ci_u32_e32 v30, vcc_lo, s19, v30, vcc_lo
	v_add_co_u32 v31, vcc_lo, s18, v31
	v_add_co_ci_u32_e32 v32, vcc_lo, s19, v32, vcc_lo
	s_clause 0x1
	global_load_b64 v[29:30], v[29:30], off
	global_load_b64 v[31:32], v[31:32], off
	s_waitcnt vmcnt(2)
	v_fma_f64 v[4:5], v[4:5], v[27:28], v[2:3]
	s_waitcnt vmcnt(0)
	s_delay_alu instid0(VALU_DEP_1)
	v_fma_f64 v[4:5], v[29:30], v[31:32], v[4:5]
	s_cbranch_execz .LBB22_34
	s_branch .LBB22_35
.LBB22_33:                              ;   in Loop: Header=BB22_31 Depth=2
                                        ; implicit-def: $vgpr4_vgpr5
.LBB22_34:                              ;   in Loop: Header=BB22_31 Depth=2
	s_waitcnt lgkmcnt(0)
	v_add_nc_u32_e32 v4, v6, v16
	v_add_nc_u32_e32 v6, v7, v14
	s_delay_alu instid0(VALU_DEP_2) | instskip(NEXT) | instid1(VALU_DEP_2)
	v_ashrrev_i32_e32 v5, 31, v4
	v_ashrrev_i32_e32 v7, 31, v6
	s_delay_alu instid0(VALU_DEP_2) | instskip(NEXT) | instid1(VALU_DEP_2)
	v_lshlrev_b64 v[4:5], 3, v[4:5]
	v_lshlrev_b64 v[6:7], 3, v[6:7]
	s_delay_alu instid0(VALU_DEP_2) | instskip(NEXT) | instid1(VALU_DEP_3)
	v_add_co_u32 v4, vcc_lo, s18, v4
	v_add_co_ci_u32_e32 v5, vcc_lo, s19, v5, vcc_lo
	s_delay_alu instid0(VALU_DEP_3) | instskip(NEXT) | instid1(VALU_DEP_4)
	v_add_co_u32 v27, vcc_lo, s18, v6
	v_add_co_ci_u32_e32 v28, vcc_lo, s19, v7, vcc_lo
	s_clause 0x1
	global_load_b128 v[4:7], v[4:5], off
	global_load_b128 v[27:30], v[27:28], off
	s_waitcnt vmcnt(0)
	v_fma_f64 v[2:3], v[4:5], v[27:28], v[2:3]
	s_delay_alu instid0(VALU_DEP_1)
	v_fma_f64 v[4:5], v[6:7], v[29:30], v[2:3]
.LBB22_35:                              ;   in Loop: Header=BB22_31 Depth=2
	v_mov_b32_e32 v2, s22
	s_and_not1_b32 vcc_lo, exec_lo, s28
	s_waitcnt lgkmcnt(0)
	ds_load_2addr_b32 v[6:7], v2 offset0:1 offset1:33
	s_cbranch_vccnz .LBB22_37
; %bb.36:                               ;   in Loop: Header=BB22_31 Depth=2
	s_waitcnt lgkmcnt(0)
	v_add_nc_u32_e32 v2, v6, v8
	v_add_nc_u32_e32 v27, v7, v9
	;; [unrolled: 1-line block ×4, first 2 shown]
	s_delay_alu instid0(VALU_DEP_4) | instskip(NEXT) | instid1(VALU_DEP_4)
	v_ashrrev_i32_e32 v3, 31, v2
	v_ashrrev_i32_e32 v28, 31, v27
	s_delay_alu instid0(VALU_DEP_4) | instskip(NEXT) | instid1(VALU_DEP_4)
	v_ashrrev_i32_e32 v30, 31, v29
	v_ashrrev_i32_e32 v32, 31, v31
	s_delay_alu instid0(VALU_DEP_4) | instskip(NEXT) | instid1(VALU_DEP_4)
	v_lshlrev_b64 v[2:3], 3, v[2:3]
	v_lshlrev_b64 v[27:28], 3, v[27:28]
	s_delay_alu instid0(VALU_DEP_4) | instskip(NEXT) | instid1(VALU_DEP_4)
	v_lshlrev_b64 v[29:30], 3, v[29:30]
	v_lshlrev_b64 v[31:32], 3, v[31:32]
	s_delay_alu instid0(VALU_DEP_4)
	v_add_co_u32 v2, vcc_lo, s18, v2
	v_add_co_ci_u32_e32 v3, vcc_lo, s19, v3, vcc_lo
	v_add_co_u32 v27, vcc_lo, s18, v27
	v_add_co_ci_u32_e32 v28, vcc_lo, s19, v28, vcc_lo
	v_add_co_u32 v29, vcc_lo, s18, v29
	s_clause 0x1
	global_load_b64 v[2:3], v[2:3], off
	global_load_b64 v[27:28], v[27:28], off
	v_add_co_ci_u32_e32 v30, vcc_lo, s19, v30, vcc_lo
	v_add_co_u32 v31, vcc_lo, s18, v31
	v_add_co_ci_u32_e32 v32, vcc_lo, s19, v32, vcc_lo
	s_clause 0x1
	global_load_b64 v[29:30], v[29:30], off
	global_load_b64 v[31:32], v[31:32], off
	s_waitcnt vmcnt(2)
	v_fma_f64 v[2:3], v[2:3], v[27:28], v[4:5]
	s_waitcnt vmcnt(0)
	s_delay_alu instid0(VALU_DEP_1)
	v_fma_f64 v[2:3], v[29:30], v[31:32], v[2:3]
	s_cbranch_execnz .LBB22_30
	s_branch .LBB22_38
.LBB22_37:                              ;   in Loop: Header=BB22_31 Depth=2
                                        ; implicit-def: $vgpr2_vgpr3
.LBB22_38:                              ;   in Loop: Header=BB22_31 Depth=2
	s_waitcnt lgkmcnt(0)
	v_add_nc_u32_e32 v2, v6, v16
	v_add_nc_u32_e32 v6, v7, v14
	s_delay_alu instid0(VALU_DEP_2) | instskip(NEXT) | instid1(VALU_DEP_2)
	v_ashrrev_i32_e32 v3, 31, v2
	v_ashrrev_i32_e32 v7, 31, v6
	s_delay_alu instid0(VALU_DEP_2) | instskip(NEXT) | instid1(VALU_DEP_2)
	v_lshlrev_b64 v[2:3], 3, v[2:3]
	v_lshlrev_b64 v[6:7], 3, v[6:7]
	s_delay_alu instid0(VALU_DEP_2) | instskip(NEXT) | instid1(VALU_DEP_3)
	v_add_co_u32 v2, vcc_lo, s18, v2
	v_add_co_ci_u32_e32 v3, vcc_lo, s19, v3, vcc_lo
	s_delay_alu instid0(VALU_DEP_3) | instskip(NEXT) | instid1(VALU_DEP_4)
	v_add_co_u32 v6, vcc_lo, s18, v6
	v_add_co_ci_u32_e32 v7, vcc_lo, s19, v7, vcc_lo
	s_clause 0x1
	global_load_b128 v[27:30], v[2:3], off
	global_load_b128 v[31:34], v[6:7], off
	s_waitcnt vmcnt(0)
	v_fma_f64 v[2:3], v[27:28], v[31:32], v[4:5]
	s_delay_alu instid0(VALU_DEP_1)
	v_fma_f64 v[2:3], v[29:30], v[33:34], v[2:3]
	s_branch .LBB22_30
.LBB22_39:                              ;   in Loop: Header=BB22_12 Depth=1
	s_mov_b32 s21, 0
.LBB22_40:                              ;   in Loop: Header=BB22_12 Depth=1
	s_bitcmp0_b32 s20, 0
	s_cbranch_scc1 .LBB22_46
; %bb.41:                               ;   in Loop: Header=BB22_12 Depth=1
	s_lshl_b32 s20, s21, 2
	s_and_not1_b32 vcc_lo, exec_lo, s28
	v_mov_b32_e32 v4, s20
	ds_load_2addr_b32 v[4:5], v4 offset1:32
	s_cbranch_vccnz .LBB22_43
; %bb.42:                               ;   in Loop: Header=BB22_12 Depth=1
	s_waitcnt lgkmcnt(0)
	v_add_nc_u32_e32 v6, v4, v8
	v_add_nc_u32_e32 v27, v5, v9
	;; [unrolled: 1-line block ×4, first 2 shown]
	s_delay_alu instid0(VALU_DEP_4) | instskip(NEXT) | instid1(VALU_DEP_4)
	v_ashrrev_i32_e32 v7, 31, v6
	v_ashrrev_i32_e32 v28, 31, v27
	s_delay_alu instid0(VALU_DEP_4) | instskip(NEXT) | instid1(VALU_DEP_4)
	v_ashrrev_i32_e32 v30, 31, v29
	v_ashrrev_i32_e32 v32, 31, v31
	s_delay_alu instid0(VALU_DEP_4) | instskip(NEXT) | instid1(VALU_DEP_4)
	v_lshlrev_b64 v[6:7], 3, v[6:7]
	v_lshlrev_b64 v[27:28], 3, v[27:28]
	s_delay_alu instid0(VALU_DEP_4) | instskip(NEXT) | instid1(VALU_DEP_4)
	v_lshlrev_b64 v[29:30], 3, v[29:30]
	v_lshlrev_b64 v[31:32], 3, v[31:32]
	s_delay_alu instid0(VALU_DEP_4)
	v_add_co_u32 v6, vcc_lo, s18, v6
	v_add_co_ci_u32_e32 v7, vcc_lo, s19, v7, vcc_lo
	v_add_co_u32 v27, vcc_lo, s18, v27
	v_add_co_ci_u32_e32 v28, vcc_lo, s19, v28, vcc_lo
	v_add_co_u32 v29, vcc_lo, s18, v29
	s_clause 0x1
	global_load_b64 v[6:7], v[6:7], off
	global_load_b64 v[27:28], v[27:28], off
	v_add_co_ci_u32_e32 v30, vcc_lo, s19, v30, vcc_lo
	v_add_co_u32 v31, vcc_lo, s18, v31
	v_add_co_ci_u32_e32 v32, vcc_lo, s19, v32, vcc_lo
	s_clause 0x1
	global_load_b64 v[29:30], v[29:30], off
	global_load_b64 v[31:32], v[31:32], off
	s_waitcnt vmcnt(2)
	v_fma_f64 v[6:7], v[6:7], v[27:28], v[2:3]
	s_waitcnt vmcnt(0)
	s_delay_alu instid0(VALU_DEP_1)
	v_fma_f64 v[6:7], v[29:30], v[31:32], v[6:7]
	s_cbranch_execz .LBB22_44
	s_branch .LBB22_45
.LBB22_43:                              ;   in Loop: Header=BB22_12 Depth=1
                                        ; implicit-def: $vgpr6_vgpr7
.LBB22_44:                              ;   in Loop: Header=BB22_12 Depth=1
	s_waitcnt lgkmcnt(0)
	v_add_nc_u32_e32 v4, v4, v16
	v_add_nc_u32_e32 v6, v5, v14
	s_delay_alu instid0(VALU_DEP_2) | instskip(NEXT) | instid1(VALU_DEP_2)
	v_ashrrev_i32_e32 v5, 31, v4
	v_ashrrev_i32_e32 v7, 31, v6
	s_delay_alu instid0(VALU_DEP_2) | instskip(NEXT) | instid1(VALU_DEP_2)
	v_lshlrev_b64 v[4:5], 3, v[4:5]
	v_lshlrev_b64 v[6:7], 3, v[6:7]
	s_delay_alu instid0(VALU_DEP_2) | instskip(NEXT) | instid1(VALU_DEP_3)
	v_add_co_u32 v4, vcc_lo, s18, v4
	v_add_co_ci_u32_e32 v5, vcc_lo, s19, v5, vcc_lo
	s_delay_alu instid0(VALU_DEP_3) | instskip(NEXT) | instid1(VALU_DEP_4)
	v_add_co_u32 v27, vcc_lo, s18, v6
	v_add_co_ci_u32_e32 v28, vcc_lo, s19, v7, vcc_lo
	s_clause 0x1
	global_load_b128 v[4:7], v[4:5], off
	global_load_b128 v[27:30], v[27:28], off
	s_waitcnt vmcnt(0)
	v_fma_f64 v[2:3], v[4:5], v[27:28], v[2:3]
	s_delay_alu instid0(VALU_DEP_1)
	v_fma_f64 v[6:7], v[6:7], v[29:30], v[2:3]
.LBB22_45:                              ;   in Loop: Header=BB22_12 Depth=1
	s_waitcnt lgkmcnt(1)
	s_delay_alu instid0(VALU_DEP_1)
	v_dual_mov_b32 v2, v6 :: v_dual_mov_b32 v3, v7
.LBB22_46:                              ;   in Loop: Header=BB22_12 Depth=1
	ds_store_b64 v23, v[2:3]
	s_waitcnt lgkmcnt(0)
	buffer_gl0_inv
	ds_load_b64 v[4:5], v26 offset:384
	ds_load_b64 v[2:3], v17
	s_waitcnt lgkmcnt(1)
	v_cmp_neq_f64_e32 vcc_lo, 0, v[4:5]
	v_cndmask_b32_e32 v5, 0x3ff00000, v5, vcc_lo
	v_cndmask_b32_e32 v4, 0, v4, vcc_lo
	s_or_b32 s20, vcc_lo, s0
	s_delay_alu instid0(SALU_CYCLE_1) | instskip(NEXT) | instid1(SALU_CYCLE_1)
	s_xor_b32 s21, s20, -1
	s_and_saveexec_b32 s20, s21
	s_cbranch_execz .LBB22_50
; %bb.47:                               ;   in Loop: Header=BB22_12 Depth=1
	v_mbcnt_lo_u32_b32 v4, exec_lo, 0
	s_mov_b32 s21, exec_lo
	s_delay_alu instid0(VALU_DEP_1)
	v_cmpx_eq_u32_e32 0, v4
	s_cbranch_execz .LBB22_49
; %bb.48:                               ;   in Loop: Header=BB22_12 Depth=1
	v_mov_b32_e32 v4, s3
	global_atomic_min_i32 v26, v4, s[10:11]
.LBB22_49:                              ;   in Loop: Header=BB22_12 Depth=1
	s_or_b32 exec_lo, exec_lo, s21
	v_mov_b32_e32 v4, 0
	v_mov_b32_e32 v5, 0x3ff00000
.LBB22_50:                              ;   in Loop: Header=BB22_12 Depth=1
	s_or_b32 exec_lo, exec_lo, s20
	ds_load_b64 v[6:7], v19
	s_waitcnt lgkmcnt(0)
	v_add_f64 v[2:3], v[2:3], -v[6:7]
	s_delay_alu instid0(VALU_DEP_1) | instskip(SKIP_1) | instid1(VALU_DEP_2)
	v_div_scale_f64 v[6:7], null, v[4:5], v[4:5], v[2:3]
	v_div_scale_f64 v[31:32], vcc_lo, v[2:3], v[4:5], v[2:3]
	v_rcp_f64_e32 v[27:28], v[6:7]
	s_waitcnt_depctr 0xfff
	v_fma_f64 v[29:30], -v[6:7], v[27:28], 1.0
	s_delay_alu instid0(VALU_DEP_1) | instskip(NEXT) | instid1(VALU_DEP_1)
	v_fma_f64 v[27:28], v[27:28], v[29:30], v[27:28]
	v_fma_f64 v[29:30], -v[6:7], v[27:28], 1.0
	s_delay_alu instid0(VALU_DEP_1) | instskip(NEXT) | instid1(VALU_DEP_1)
	v_fma_f64 v[27:28], v[27:28], v[29:30], v[27:28]
	v_mul_f64 v[29:30], v[31:32], v[27:28]
	s_delay_alu instid0(VALU_DEP_1) | instskip(NEXT) | instid1(VALU_DEP_1)
	v_fma_f64 v[6:7], -v[6:7], v[29:30], v[31:32]
	v_div_fmas_f64 v[6:7], v[6:7], v[27:28], v[29:30]
	s_delay_alu instid0(VALU_DEP_1)
	v_div_fixup_f64 v[2:3], v[6:7], v[4:5], v[2:3]
	ds_store_b64 v17, v[2:3]
	s_waitcnt lgkmcnt(0)
	s_waitcnt_vscnt null, 0x0
	buffer_gl0_inv
	ds_load_b64 v[4:5], v24
	ds_load_b64 v[6:7], v11
	s_waitcnt lgkmcnt(0)
	v_fma_f64 v[2:3], v[2:3], v[4:5], v[6:7]
	ds_store_b64 v11, v[2:3]
	s_waitcnt lgkmcnt(0)
	buffer_gl0_inv
	ds_load_b64 v[4:5], v26 offset:416
	ds_load_b64 v[2:3], v17 offset:8
	s_waitcnt lgkmcnt(1)
	v_cmp_neq_f64_e32 vcc_lo, 0, v[4:5]
	v_cndmask_b32_e32 v5, 0x3ff00000, v5, vcc_lo
	v_cndmask_b32_e32 v4, 0, v4, vcc_lo
	s_or_b32 s20, vcc_lo, s0
	s_delay_alu instid0(SALU_CYCLE_1) | instskip(NEXT) | instid1(SALU_CYCLE_1)
	s_xor_b32 s21, s20, -1
	s_and_saveexec_b32 s20, s21
	s_cbranch_execz .LBB22_10
; %bb.51:                               ;   in Loop: Header=BB22_12 Depth=1
	v_mbcnt_lo_u32_b32 v4, exec_lo, 0
	s_mov_b32 s21, exec_lo
	s_delay_alu instid0(VALU_DEP_1)
	v_cmpx_eq_u32_e32 0, v4
	s_cbranch_execz .LBB22_9
; %bb.52:                               ;   in Loop: Header=BB22_12 Depth=1
	v_mov_b32_e32 v4, s3
	global_atomic_min_i32 v26, v4, s[10:11]
	s_branch .LBB22_9
.LBB22_53:
	s_waitcnt lgkmcnt(0)
	s_cmp_eq_u32 s1, 0
	s_mov_b32 s1, exec_lo
	s_cselect_b32 vcc_lo, -1, 0
	v_cndmask_b32_e32 v0, v15, v13, vcc_lo
	s_delay_alu instid0(VALU_DEP_1) | instskip(NEXT) | instid1(VALU_DEP_1)
	v_lshl_add_u32 v0, s26, 2, v0
	v_ashrrev_i32_e32 v1, 31, v0
	s_delay_alu instid0(VALU_DEP_1) | instskip(NEXT) | instid1(VALU_DEP_1)
	v_lshlrev_b64 v[0:1], 3, v[0:1]
	v_add_co_u32 v0, vcc_lo, s18, v0
	s_delay_alu instid0(VALU_DEP_2)
	v_add_co_ci_u32_e32 v1, vcc_lo, s19, v1, vcc_lo
	v_cmp_ne_u32_e32 vcc_lo, 0, v9
	global_load_b64 v[2:3], v[0:1], off
	s_waitcnt vmcnt(0)
	ds_store_b64 v12, v[2:3] offset:480
	s_waitcnt lgkmcnt(0)
	buffer_gl0_inv
	v_cmpx_eq_u32_e32 0, v9
	s_cbranch_execz .LBB22_55
; %bb.54:
	v_mov_b32_e32 v15, 0
	ds_load_2addr_b64 v[2:5], v15 offset0:60 offset1:66
	s_waitcnt lgkmcnt(0)
	v_add_f64 v[2:3], v[2:3], -v[4:5]
	s_delay_alu instid0(VALU_DEP_1) | instskip(SKIP_1) | instid1(VALU_DEP_1)
	v_cmp_gt_f64_e64 s0, 0, v[2:3]
	v_xor_b32_e32 v4, 0x80000000, v3
	v_cndmask_b32_e64 v3, v3, v4, s0
	v_cndmask_b32_e64 v2, v2, v2, s0
	s_delay_alu instid0(VALU_DEP_1) | instskip(NEXT) | instid1(VALU_DEP_1)
	v_cmp_gt_f64_e64 s0, 0x10000000, v[2:3]
	v_cndmask_b32_e64 v4, 0, 1, s0
	s_and_b32 s0, s0, exec_lo
	s_cselect_b32 s0, 0xffffff80, 0
	s_delay_alu instid0(VALU_DEP_1) | instskip(NEXT) | instid1(VALU_DEP_1)
	v_lshlrev_b32_e32 v4, 8, v4
	v_ldexp_f64 v[2:3], v[2:3], v4
	s_delay_alu instid0(VALU_DEP_1) | instskip(SKIP_3) | instid1(VALU_DEP_1)
	v_rsq_f64_e32 v[4:5], v[2:3]
	s_waitcnt_depctr 0xfff
	v_mul_f64 v[6:7], v[2:3], v[4:5]
	v_mul_f64 v[4:5], v[4:5], 0.5
	v_fma_f64 v[13:14], -v[4:5], v[6:7], 0.5
	s_delay_alu instid0(VALU_DEP_1) | instskip(SKIP_1) | instid1(VALU_DEP_2)
	v_fma_f64 v[6:7], v[6:7], v[13:14], v[6:7]
	v_fma_f64 v[4:5], v[4:5], v[13:14], v[4:5]
	v_fma_f64 v[13:14], -v[6:7], v[6:7], v[2:3]
	s_delay_alu instid0(VALU_DEP_1) | instskip(NEXT) | instid1(VALU_DEP_1)
	v_fma_f64 v[6:7], v[13:14], v[4:5], v[6:7]
	v_fma_f64 v[13:14], -v[6:7], v[6:7], v[2:3]
	s_delay_alu instid0(VALU_DEP_1) | instskip(NEXT) | instid1(VALU_DEP_1)
	v_fma_f64 v[4:5], v[13:14], v[4:5], v[6:7]
	v_ldexp_f64 v[4:5], v[4:5], s0
	v_cmp_class_f64_e64 s0, v[2:3], 0x260
	s_delay_alu instid0(VALU_DEP_1) | instskip(NEXT) | instid1(VALU_DEP_3)
	v_cndmask_b32_e64 v3, v5, v3, s0
	v_cndmask_b32_e64 v2, v4, v2, s0
	ds_store_b64 v15, v[2:3] offset:480
.LBB22_55:
	s_or_b32 exec_lo, exec_lo, s1
	v_mov_b32_e32 v2, 0
	s_waitcnt lgkmcnt(0)
	buffer_gl0_inv
	v_cmp_ne_u32_e64 s0, 0, v10
	s_add_i32 s2, s16, s17
	ds_load_b64 v[2:3], v2 offset:480
	s_waitcnt lgkmcnt(0)
	v_cmp_neq_f64_e64 s1, 0, v[2:3]
	s_delay_alu instid0(VALU_DEP_1) | instskip(SKIP_2) | instid1(SALU_CYCLE_1)
	v_cndmask_b32_e64 v3, 0x3ff00000, v3, s1
	v_cndmask_b32_e64 v2, 0, v2, s1
	s_or_b32 s1, s1, s0
	s_xor_b32 s1, s1, -1
	s_delay_alu instid0(SALU_CYCLE_1)
	s_and_saveexec_b32 s3, s1
	s_cbranch_execz .LBB22_59
; %bb.56:
	v_mbcnt_lo_u32_b32 v2, exec_lo, 0
	s_mov_b32 s4, exec_lo
	s_delay_alu instid0(VALU_DEP_1)
	v_cmpx_eq_u32_e32 0, v2
	s_cbranch_execz .LBB22_58
; %bb.57:
	v_dual_mov_b32 v2, 0 :: v_dual_mov_b32 v3, s2
	global_atomic_min_i32 v2, v3, s[10:11]
.LBB22_58:
	s_or_b32 exec_lo, exec_lo, s4
	v_mov_b32_e32 v2, 0
	v_mov_b32_e32 v3, 0x3ff00000
.LBB22_59:
	s_or_b32 exec_lo, exec_lo, s3
	s_and_saveexec_b32 s1, vcc_lo
	s_cbranch_execz .LBB22_61
; %bb.60:
	v_mul_u32_u24_e32 v19, 24, v9
	ds_load_2addr_b64 v[4:7], v19 offset0:60 offset1:66
	s_waitcnt lgkmcnt(0)
	v_add_f64 v[4:5], v[4:5], -v[6:7]
	s_delay_alu instid0(VALU_DEP_1) | instskip(SKIP_1) | instid1(VALU_DEP_2)
	v_div_scale_f64 v[6:7], null, v[2:3], v[2:3], v[4:5]
	v_div_scale_f64 v[17:18], vcc_lo, v[4:5], v[2:3], v[4:5]
	v_rcp_f64_e32 v[13:14], v[6:7]
	s_waitcnt_depctr 0xfff
	v_fma_f64 v[15:16], -v[6:7], v[13:14], 1.0
	s_delay_alu instid0(VALU_DEP_1) | instskip(NEXT) | instid1(VALU_DEP_1)
	v_fma_f64 v[13:14], v[13:14], v[15:16], v[13:14]
	v_fma_f64 v[15:16], -v[6:7], v[13:14], 1.0
	s_delay_alu instid0(VALU_DEP_1) | instskip(NEXT) | instid1(VALU_DEP_1)
	v_fma_f64 v[13:14], v[13:14], v[15:16], v[13:14]
	v_mul_f64 v[15:16], v[17:18], v[13:14]
	s_delay_alu instid0(VALU_DEP_1) | instskip(NEXT) | instid1(VALU_DEP_1)
	v_fma_f64 v[6:7], -v[6:7], v[15:16], v[17:18]
	v_div_fmas_f64 v[6:7], v[6:7], v[13:14], v[15:16]
	s_delay_alu instid0(VALU_DEP_1)
	v_div_fixup_f64 v[2:3], v[6:7], v[2:3], v[4:5]
	v_mul_u32_u24_e32 v4, 24, v8
	ds_store_b64 v19, v[2:3] offset:480
	s_waitcnt lgkmcnt(0)
	s_waitcnt_vscnt null, 0x0
	buffer_gl0_inv
	ds_load_b64 v[4:5], v4 offset:480
	ds_load_b64 v[6:7], v11
	s_waitcnt lgkmcnt(0)
	v_fma_f64 v[2:3], v[2:3], v[4:5], v[6:7]
	ds_store_b64 v11, v[2:3]
.LBB22_61:
	s_or_b32 exec_lo, exec_lo, s1
	s_delay_alu instid0(SALU_CYCLE_1)
	s_mov_b32 s1, exec_lo
	s_waitcnt lgkmcnt(0)
	s_waitcnt_vscnt null, 0x0
	buffer_gl0_inv
	v_cmpx_eq_u32_e32 1, v9
	s_cbranch_execz .LBB22_63
; %bb.62:
	v_mov_b32_e32 v15, 0
	ds_load_2addr_b64 v[2:5], v15 offset0:64 offset1:70
	s_waitcnt lgkmcnt(0)
	v_add_f64 v[2:3], v[2:3], -v[4:5]
	s_delay_alu instid0(VALU_DEP_1) | instskip(SKIP_1) | instid1(VALU_DEP_1)
	v_cmp_gt_f64_e32 vcc_lo, 0, v[2:3]
	v_xor_b32_e32 v4, 0x80000000, v3
	v_dual_cndmask_b32 v2, v2, v2 :: v_dual_cndmask_b32 v3, v3, v4
	s_delay_alu instid0(VALU_DEP_1) | instskip(SKIP_3) | instid1(VALU_DEP_1)
	v_cmp_gt_f64_e32 vcc_lo, 0x10000000, v[2:3]
	v_cndmask_b32_e64 v4, 0, 1, vcc_lo
	s_and_b32 s3, vcc_lo, exec_lo
	s_cselect_b32 s3, 0xffffff80, 0
	v_lshlrev_b32_e32 v4, 8, v4
	s_delay_alu instid0(VALU_DEP_1) | instskip(NEXT) | instid1(VALU_DEP_1)
	v_ldexp_f64 v[2:3], v[2:3], v4
	v_rsq_f64_e32 v[4:5], v[2:3]
	v_cmp_class_f64_e64 vcc_lo, v[2:3], 0x260
	s_waitcnt_depctr 0xfff
	v_mul_f64 v[6:7], v[2:3], v[4:5]
	v_mul_f64 v[4:5], v[4:5], 0.5
	s_delay_alu instid0(VALU_DEP_1) | instskip(NEXT) | instid1(VALU_DEP_1)
	v_fma_f64 v[13:14], -v[4:5], v[6:7], 0.5
	v_fma_f64 v[6:7], v[6:7], v[13:14], v[6:7]
	v_fma_f64 v[4:5], v[4:5], v[13:14], v[4:5]
	s_delay_alu instid0(VALU_DEP_2) | instskip(NEXT) | instid1(VALU_DEP_1)
	v_fma_f64 v[13:14], -v[6:7], v[6:7], v[2:3]
	v_fma_f64 v[6:7], v[13:14], v[4:5], v[6:7]
	s_delay_alu instid0(VALU_DEP_1) | instskip(NEXT) | instid1(VALU_DEP_1)
	v_fma_f64 v[13:14], -v[6:7], v[6:7], v[2:3]
	v_fma_f64 v[4:5], v[13:14], v[4:5], v[6:7]
	s_delay_alu instid0(VALU_DEP_1) | instskip(NEXT) | instid1(VALU_DEP_1)
	v_ldexp_f64 v[4:5], v[4:5], s3
	v_dual_cndmask_b32 v3, v5, v3 :: v_dual_cndmask_b32 v2, v4, v2
	ds_store_b64 v15, v[2:3] offset:512
.LBB22_63:
	s_or_b32 exec_lo, exec_lo, s1
	v_mov_b32_e32 v2, 0
	s_waitcnt lgkmcnt(0)
	buffer_gl0_inv
	ds_load_b64 v[2:3], v2 offset:512
	s_waitcnt lgkmcnt(0)
	v_cmp_neq_f64_e32 vcc_lo, 0, v[2:3]
	v_cndmask_b32_e32 v3, 0x3ff00000, v3, vcc_lo
	v_cndmask_b32_e32 v2, 0, v2, vcc_lo
	s_or_b32 s0, vcc_lo, s0
	s_delay_alu instid0(SALU_CYCLE_1) | instskip(NEXT) | instid1(SALU_CYCLE_1)
	s_xor_b32 s1, s0, -1
	s_and_saveexec_b32 s0, s1
	s_cbranch_execz .LBB22_67
; %bb.64:
	v_mbcnt_lo_u32_b32 v2, exec_lo, 0
	s_mov_b32 s1, exec_lo
	s_delay_alu instid0(VALU_DEP_1)
	v_cmpx_eq_u32_e32 0, v2
	s_cbranch_execz .LBB22_66
; %bb.65:
	v_dual_mov_b32 v2, 0 :: v_dual_mov_b32 v3, s2
	global_atomic_min_i32 v2, v3, s[10:11]
.LBB22_66:
	s_or_b32 exec_lo, exec_lo, s1
	v_mov_b32_e32 v2, 0
	v_mov_b32_e32 v3, 0x3ff00000
.LBB22_67:
	s_or_b32 exec_lo, exec_lo, s0
	v_add_nc_u32_e32 v4, 0x1e0, v12
	s_mov_b32 s0, exec_lo
	v_cmpx_lt_u32_e32 1, v9
	s_cbranch_execz .LBB22_69
; %bb.68:
	v_mul_u32_u24_e32 v7, 24, v9
	ds_load_2addr_b64 v[12:15], v7 offset0:61 offset1:67
	s_waitcnt lgkmcnt(0)
	v_add_f64 v[5:6], v[12:13], -v[14:15]
	s_delay_alu instid0(VALU_DEP_1) | instskip(SKIP_1) | instid1(VALU_DEP_2)
	v_div_scale_f64 v[12:13], null, v[2:3], v[2:3], v[5:6]
	v_div_scale_f64 v[18:19], vcc_lo, v[5:6], v[2:3], v[5:6]
	v_rcp_f64_e32 v[14:15], v[12:13]
	s_waitcnt_depctr 0xfff
	v_fma_f64 v[16:17], -v[12:13], v[14:15], 1.0
	s_delay_alu instid0(VALU_DEP_1) | instskip(NEXT) | instid1(VALU_DEP_1)
	v_fma_f64 v[14:15], v[14:15], v[16:17], v[14:15]
	v_fma_f64 v[16:17], -v[12:13], v[14:15], 1.0
	s_delay_alu instid0(VALU_DEP_1) | instskip(NEXT) | instid1(VALU_DEP_1)
	v_fma_f64 v[14:15], v[14:15], v[16:17], v[14:15]
	v_mul_f64 v[16:17], v[18:19], v[14:15]
	s_delay_alu instid0(VALU_DEP_1) | instskip(NEXT) | instid1(VALU_DEP_1)
	v_fma_f64 v[12:13], -v[12:13], v[16:17], v[18:19]
	v_div_fmas_f64 v[12:13], v[12:13], v[14:15], v[16:17]
	s_delay_alu instid0(VALU_DEP_1)
	v_div_fixup_f64 v[2:3], v[12:13], v[2:3], v[5:6]
	v_mul_u32_u24_e32 v5, 24, v8
	ds_store_b64 v7, v[2:3] offset:488
	s_waitcnt lgkmcnt(0)
	s_waitcnt_vscnt null, 0x0
	buffer_gl0_inv
	ds_load_b64 v[5:6], v5 offset:488
	ds_load_b64 v[12:13], v11
	s_waitcnt lgkmcnt(0)
	v_fma_f64 v[2:3], v[2:3], v[5:6], v[12:13]
	ds_store_b64 v11, v[2:3]
.LBB22_69:
	s_or_b32 exec_lo, exec_lo, s0
	s_waitcnt lgkmcnt(0)
	s_waitcnt_vscnt null, 0x0
	buffer_gl0_inv
	ds_load_b64 v[2:3], v4
	v_cmp_eq_u32_e64 s3, 0, v10
	s_waitcnt lgkmcnt(0)
	global_store_b64 v[0:1], v[2:3], off
	s_branch .LBB22_75
.LBB22_70:
	v_or_b32_e32 v0, v8, v9
	s_mov_b32 s0, exec_lo
	s_delay_alu instid0(VALU_DEP_1)
	v_cmpx_eq_u32_e32 0, v0
	s_cbranch_execz .LBB22_74
; %bb.71:
	v_mbcnt_lo_u32_b32 v0, exec_lo, 0
	s_mov_b32 s1, exec_lo
	s_delay_alu instid0(VALU_DEP_1)
	v_cmpx_eq_u32_e32 0, v0
	s_cbranch_execz .LBB22_73
; %bb.72:
	s_add_i32 s2, s16, s17
	s_delay_alu instid0(SALU_CYCLE_1)
	v_dual_mov_b32 v0, 0 :: v_dual_mov_b32 v1, s2
	global_atomic_min_i32 v0, v1, s[10:11]
.LBB22_73:
	s_or_b32 exec_lo, exec_lo, s1
	s_delay_alu instid0(SALU_CYCLE_1)
	s_or_b32 s3, s3, exec_lo
.LBB22_74:
	s_or_b32 exec_lo, exec_lo, s0
.LBB22_75:
	s_and_saveexec_b32 s0, s3
	s_cbranch_execnz .LBB22_77
; %bb.76:
	s_nop 0
	s_sendmsg sendmsg(MSG_DEALLOC_VGPRS)
	s_endpgm
.LBB22_77:
	v_dual_mov_b32 v0, 0 :: v_dual_mov_b32 v1, 1
	s_add_u32 s0, s6, s8
	s_addc_u32 s1, s7, s9
	s_waitcnt_vscnt null, 0x0
	global_store_b32 v0, v1, s[0:1]
	s_nop 0
	s_sendmsg sendmsg(MSG_DEALLOC_VGPRS)
	s_endpgm
	.section	.rodata,"a",@progbits
	.p2align	6, 0x0
	.amdhsa_kernel _ZN9rocsparseL26bsric0_2_8_unrolled_kernelILi4ELi32ELi2EdEEv20rocsparse_direction_iiPKiS3_PT2_S3_PiS3_S6_21rocsparse_index_base_
		.amdhsa_group_segment_fixed_size 576
		.amdhsa_private_segment_fixed_size 0
		.amdhsa_kernarg_size 76
		.amdhsa_user_sgpr_count 15
		.amdhsa_user_sgpr_dispatch_ptr 0
		.amdhsa_user_sgpr_queue_ptr 0
		.amdhsa_user_sgpr_kernarg_segment_ptr 1
		.amdhsa_user_sgpr_dispatch_id 0
		.amdhsa_user_sgpr_private_segment_size 0
		.amdhsa_wavefront_size32 1
		.amdhsa_uses_dynamic_stack 0
		.amdhsa_enable_private_segment 0
		.amdhsa_system_sgpr_workgroup_id_x 1
		.amdhsa_system_sgpr_workgroup_id_y 0
		.amdhsa_system_sgpr_workgroup_id_z 0
		.amdhsa_system_sgpr_workgroup_info 0
		.amdhsa_system_vgpr_workitem_id 1
		.amdhsa_next_free_vgpr 35
		.amdhsa_next_free_sgpr 37
		.amdhsa_reserve_vcc 1
		.amdhsa_float_round_mode_32 0
		.amdhsa_float_round_mode_16_64 0
		.amdhsa_float_denorm_mode_32 3
		.amdhsa_float_denorm_mode_16_64 3
		.amdhsa_dx10_clamp 1
		.amdhsa_ieee_mode 1
		.amdhsa_fp16_overflow 0
		.amdhsa_workgroup_processor_mode 1
		.amdhsa_memory_ordered 1
		.amdhsa_forward_progress 0
		.amdhsa_shared_vgpr_count 0
		.amdhsa_exception_fp_ieee_invalid_op 0
		.amdhsa_exception_fp_denorm_src 0
		.amdhsa_exception_fp_ieee_div_zero 0
		.amdhsa_exception_fp_ieee_overflow 0
		.amdhsa_exception_fp_ieee_underflow 0
		.amdhsa_exception_fp_ieee_inexact 0
		.amdhsa_exception_int_div_zero 0
	.end_amdhsa_kernel
	.section	.text._ZN9rocsparseL26bsric0_2_8_unrolled_kernelILi4ELi32ELi2EdEEv20rocsparse_direction_iiPKiS3_PT2_S3_PiS3_S6_21rocsparse_index_base_,"axG",@progbits,_ZN9rocsparseL26bsric0_2_8_unrolled_kernelILi4ELi32ELi2EdEEv20rocsparse_direction_iiPKiS3_PT2_S3_PiS3_S6_21rocsparse_index_base_,comdat
.Lfunc_end22:
	.size	_ZN9rocsparseL26bsric0_2_8_unrolled_kernelILi4ELi32ELi2EdEEv20rocsparse_direction_iiPKiS3_PT2_S3_PiS3_S6_21rocsparse_index_base_, .Lfunc_end22-_ZN9rocsparseL26bsric0_2_8_unrolled_kernelILi4ELi32ELi2EdEEv20rocsparse_direction_iiPKiS3_PT2_S3_PiS3_S6_21rocsparse_index_base_
                                        ; -- End function
	.section	.AMDGPU.csdata,"",@progbits
; Kernel info:
; codeLenInByte = 4580
; NumSgprs: 39
; NumVgprs: 35
; ScratchSize: 0
; MemoryBound: 1
; FloatMode: 240
; IeeeMode: 1
; LDSByteSize: 576 bytes/workgroup (compile time only)
; SGPRBlocks: 4
; VGPRBlocks: 4
; NumSGPRsForWavesPerEU: 39
; NumVGPRsForWavesPerEU: 35
; Occupancy: 16
; WaveLimiterHint : 1
; COMPUTE_PGM_RSRC2:SCRATCH_EN: 0
; COMPUTE_PGM_RSRC2:USER_SGPR: 15
; COMPUTE_PGM_RSRC2:TRAP_HANDLER: 0
; COMPUTE_PGM_RSRC2:TGID_X_EN: 1
; COMPUTE_PGM_RSRC2:TGID_Y_EN: 0
; COMPUTE_PGM_RSRC2:TGID_Z_EN: 0
; COMPUTE_PGM_RSRC2:TIDIG_COMP_CNT: 1
	.section	.text._ZN9rocsparseL26bsric0_2_8_unrolled_kernelILi9ELi32ELi3EdEEv20rocsparse_direction_iiPKiS3_PT2_S3_PiS3_S6_21rocsparse_index_base_,"axG",@progbits,_ZN9rocsparseL26bsric0_2_8_unrolled_kernelILi9ELi32ELi3EdEEv20rocsparse_direction_iiPKiS3_PT2_S3_PiS3_S6_21rocsparse_index_base_,comdat
	.globl	_ZN9rocsparseL26bsric0_2_8_unrolled_kernelILi9ELi32ELi3EdEEv20rocsparse_direction_iiPKiS3_PT2_S3_PiS3_S6_21rocsparse_index_base_ ; -- Begin function _ZN9rocsparseL26bsric0_2_8_unrolled_kernelILi9ELi32ELi3EdEEv20rocsparse_direction_iiPKiS3_PT2_S3_PiS3_S6_21rocsparse_index_base_
	.p2align	8
	.type	_ZN9rocsparseL26bsric0_2_8_unrolled_kernelILi9ELi32ELi3EdEEv20rocsparse_direction_iiPKiS3_PT2_S3_PiS3_S6_21rocsparse_index_base_,@function
_ZN9rocsparseL26bsric0_2_8_unrolled_kernelILi9ELi32ELi3EdEEv20rocsparse_direction_iiPKiS3_PT2_S3_PiS3_S6_21rocsparse_index_base_: ; @_ZN9rocsparseL26bsric0_2_8_unrolled_kernelILi9ELi32ELi3EdEEv20rocsparse_direction_iiPKiS3_PT2_S3_PiS3_S6_21rocsparse_index_base_
; %bb.0:
	s_load_b256 s[4:11], s[0:1], 0x28
	s_mov_b32 s2, s15
	s_mov_b32 s3, 0
	v_and_b32_e32 v10, 0x3ff, v0
	s_lshl_b64 s[12:13], s[2:3], 2
	v_bfe_u32 v11, v0, 10, 10
	s_waitcnt lgkmcnt(0)
	s_add_u32 s8, s8, s12
	s_addc_u32 s9, s9, s13
	s_load_b32 s16, s[8:9], 0x0
	s_waitcnt lgkmcnt(0)
	s_ashr_i32 s17, s16, 31
	s_delay_alu instid0(SALU_CYCLE_1) | instskip(NEXT) | instid1(SALU_CYCLE_1)
	s_lshl_b64 s[8:9], s[16:17], 2
	s_add_u32 s12, s4, s8
	s_addc_u32 s13, s5, s9
	s_load_b32 s26, s[12:13], 0x0
	s_load_b32 s17, s[0:1], 0x48
	s_waitcnt lgkmcnt(0)
	s_cmp_lg_u32 s26, -1
	s_cbranch_scc0 .LBB23_85
; %bb.1:
	s_clause 0x1
	s_load_b128 s[12:15], s[0:1], 0x10
	s_load_b64 s[18:19], s[0:1], 0x20
	v_mad_u32_u24 v12, v11, 3, v10
	s_waitcnt lgkmcnt(0)
	s_add_u32 s2, s12, s8
	s_addc_u32 s3, s13, s9
	s_load_b32 s2, s[2:3], 0x0
	s_mov_b32 s3, exec_lo
	s_waitcnt lgkmcnt(0)
	s_sub_i32 s27, s2, s17
	s_delay_alu instid0(SALU_CYCLE_1) | instskip(NEXT) | instid1(VALU_DEP_1)
	v_add_nc_u32_e32 v0, s27, v12
	v_cmpx_ge_i32_e64 s26, v0
	s_cbranch_execz .LBB23_4
; %bb.2:
	v_ashrrev_i32_e32 v1, 31, v0
	v_lshl_add_u32 v3, v12, 2, 0x100
	s_mov_b32 s20, 0
	s_delay_alu instid0(VALU_DEP_2) | instskip(NEXT) | instid1(VALU_DEP_1)
	v_lshlrev_b64 v[1:2], 2, v[0:1]
	v_add_co_u32 v1, vcc_lo, s14, v1
	s_delay_alu instid0(VALU_DEP_2)
	v_add_co_ci_u32_e32 v2, vcc_lo, s15, v2, vcc_lo
.LBB23_3:                               ; =>This Inner Loop Header: Depth=1
	global_load_b32 v4, v[1:2], off
	v_add_nc_u32_e32 v0, 9, v0
	v_add_co_u32 v1, vcc_lo, v1, 36
	v_add_co_ci_u32_e32 v2, vcc_lo, 0, v2, vcc_lo
	s_delay_alu instid0(VALU_DEP_3) | instskip(NEXT) | instid1(VALU_DEP_1)
	v_cmp_lt_i32_e64 s2, s26, v0
	s_or_b32 s20, s2, s20
	s_waitcnt vmcnt(0)
	v_subrev_nc_u32_e32 v4, s17, v4
	ds_store_b32 v3, v4
	v_add_nc_u32_e32 v3, 36, v3
	s_and_not1_b32 exec_lo, exec_lo, s20
	s_cbranch_execnz .LBB23_3
.LBB23_4:
	s_or_b32 exec_lo, exec_lo, s3
	s_load_b32 s1, s[0:1], 0x0
	v_mov_b32_e32 v0, 0
	v_lshlrev_b32_e32 v2, 3, v10
	v_mul_u32_u24_e32 v16, 3, v11
	v_mad_u32_u24 v13, v10, 3, v11
	s_cmp_ge_i32 s27, s26
	v_mov_b32_e32 v1, v0
	v_lshl_add_u32 v15, v11, 5, v2
	s_delay_alu instid0(VALU_DEP_1)
	v_add_nc_u32_e32 v14, 0x2a0, v15
	ds_store_b64 v15, v[0:1] offset:672
	s_waitcnt lgkmcnt(0)
	buffer_gl0_inv
	s_cbranch_scc1 .LBB23_54
; %bb.5:
	v_lshlrev_b32_e32 v1, 5, v11
	v_mad_u32_u24 v3, v10, 3, v11
	s_cmp_eq_u32 s1, 0
	v_mul_u32_u24_e32 v17, 3, v10
	s_cselect_b32 vcc_lo, -1, 0
	v_add_nc_u32_e32 v19, 0x240, v1
	v_add3_u32 v20, v1, v2, 0x180
	v_add_nc_u32_e32 v21, 0x1e0, v1
	v_or_b32_e32 v1, v10, v11
	v_add_nc_u32_e32 v18, 3, v10
	v_add_nc_u32_e32 v22, v19, v2
	;; [unrolled: 1-line block ×6, first 2 shown]
	v_cmp_ne_u32_e64 s0, 0, v1
	v_cndmask_b32_e32 v1, v3, v12, vcc_lo
	v_lshl_add_u32 v27, v10, 5, 0x240
	s_cmp_lg_u32 s1, 0
	s_mov_b32 s2, s27
	s_cselect_b32 s28, -1, 0
	s_branch .LBB23_9
.LBB23_6:                               ;   in Loop: Header=BB23_9 Depth=1
	s_or_b32 exec_lo, exec_lo, s21
	v_mov_b32_e32 v6, 0
	v_mov_b32_e32 v7, 0x3ff00000
.LBB23_7:                               ;   in Loop: Header=BB23_9 Depth=1
	s_or_b32 exec_lo, exec_lo, s20
	ds_load_b128 v[28:31], v0 offset:448
	ds_load_b128 v[32:35], v19
	ds_load_b64 v[8:9], v21 offset:16
	s_add_i32 s2, s2, 1
	s_delay_alu instid0(SALU_CYCLE_1) | instskip(SKIP_3) | instid1(VALU_DEP_1)
	s_cmp_ge_i32 s2, s26
	s_cselect_b32 s24, -1, 0
	s_waitcnt lgkmcnt(0)
	v_fma_f64 v[8:9], v[28:29], v[32:33], v[8:9]
	v_fma_f64 v[8:9], v[30:31], v[34:35], v[8:9]
	s_delay_alu instid0(VALU_DEP_1) | instskip(NEXT) | instid1(VALU_DEP_1)
	v_add_f64 v[4:5], v[4:5], -v[8:9]
	v_div_scale_f64 v[8:9], null, v[6:7], v[6:7], v[4:5]
	v_div_scale_f64 v[32:33], vcc_lo, v[4:5], v[6:7], v[4:5]
	s_delay_alu instid0(VALU_DEP_2) | instskip(SKIP_2) | instid1(VALU_DEP_1)
	v_rcp_f64_e32 v[28:29], v[8:9]
	s_waitcnt_depctr 0xfff
	v_fma_f64 v[30:31], -v[8:9], v[28:29], 1.0
	v_fma_f64 v[28:29], v[28:29], v[30:31], v[28:29]
	s_delay_alu instid0(VALU_DEP_1) | instskip(NEXT) | instid1(VALU_DEP_1)
	v_fma_f64 v[30:31], -v[8:9], v[28:29], 1.0
	v_fma_f64 v[28:29], v[28:29], v[30:31], v[28:29]
	s_delay_alu instid0(VALU_DEP_1) | instskip(NEXT) | instid1(VALU_DEP_1)
	v_mul_f64 v[30:31], v[32:33], v[28:29]
	v_fma_f64 v[8:9], -v[8:9], v[30:31], v[32:33]
	s_delay_alu instid0(VALU_DEP_1) | instskip(NEXT) | instid1(VALU_DEP_1)
	v_div_fmas_f64 v[8:9], v[8:9], v[28:29], v[30:31]
	v_div_fixup_f64 v[4:5], v[8:9], v[6:7], v[4:5]
	ds_store_b64 v19, v[4:5] offset:16
	s_waitcnt lgkmcnt(0)
	s_waitcnt_vscnt null, 0x0
	buffer_gl0_inv
	ds_load_b64 v[6:7], v27 offset:16
	ds_load_b64 v[8:9], v14
	s_waitcnt lgkmcnt(0)
	v_fma_f64 v[4:5], v[4:5], v[6:7], v[8:9]
	ds_store_b64 v14, v[4:5]
	s_waitcnt lgkmcnt(0)
	buffer_gl0_inv
	ds_load_b64 v[4:5], v22
	s_waitcnt lgkmcnt(0)
	global_store_b64 v[2:3], v[4:5], off
	s_waitcnt_vscnt null, 0x0
	buffer_gl1_inv
	buffer_gl0_inv
.LBB23_8:                               ;   in Loop: Header=BB23_9 Depth=1
	s_and_b32 vcc_lo, exec_lo, s24
	s_cbranch_vccnz .LBB23_54
.LBB23_9:                               ; =>This Loop Header: Depth=1
                                        ;     Child Loop BB23_12 Depth 2
                                        ;     Child Loop BB23_23 Depth 2
                                        ;     Child Loop BB23_28 Depth 2
	s_ashr_i32 s3, s2, 31
	s_delay_alu instid0(SALU_CYCLE_1) | instskip(NEXT) | instid1(SALU_CYCLE_1)
	s_lshl_b64 s[20:21], s[2:3], 2
	s_add_u32 s20, s14, s20
	s_addc_u32 s21, s15, s21
	s_load_b32 s3, s[20:21], 0x0
	s_waitcnt lgkmcnt(0)
	s_sub_i32 s22, s3, s17
	s_delay_alu instid0(SALU_CYCLE_1) | instskip(NEXT) | instid1(SALU_CYCLE_1)
	s_ashr_i32 s23, s22, 31
	s_lshl_b64 s[20:21], s[22:23], 2
	s_delay_alu instid0(SALU_CYCLE_1)
	s_add_u32 s24, s4, s20
	s_addc_u32 s25, s5, s21
	s_load_b32 s23, s[24:25], 0x0
	s_mov_b32 s24, -1
	s_waitcnt lgkmcnt(0)
	s_cmp_eq_u32 s23, -1
	s_cbranch_scc1 .LBB23_8
; %bb.10:                               ;   in Loop: Header=BB23_9 Depth=1
	v_mad_u64_u32 v[2:3], null, s2, 9, v[1:2]
	s_add_u32 s24, s12, s20
	s_addc_u32 s25, s13, s21
	ds_load_b32 v6, v0 offset:256
	s_load_b32 s24, s[24:25], 0x0
	v_ashrrev_i32_e32 v3, 31, v2
	s_delay_alu instid0(VALU_DEP_1) | instskip(NEXT) | instid1(VALU_DEP_1)
	v_lshlrev_b64 v[2:3], 3, v[2:3]
	v_add_co_u32 v2, vcc_lo, s18, v2
	s_delay_alu instid0(VALU_DEP_2)
	v_add_co_ci_u32_e32 v3, vcc_lo, s19, v3, vcc_lo
	s_waitcnt lgkmcnt(0)
	v_cmp_ge_i32_e32 vcc_lo, s22, v6
	s_sub_i32 s24, s24, s17
	global_load_b64 v[4:5], v[2:3], off
	s_cmp_le_i32 s24, s23
	s_cselect_b32 s25, -1, 0
	s_delay_alu instid0(SALU_CYCLE_1) | instskip(NEXT) | instid1(SALU_CYCLE_1)
	s_and_b32 s25, s25, vcc_lo
	s_and_not1_b32 vcc_lo, exec_lo, s25
	s_mov_b32 s25, 0
	s_waitcnt vmcnt(0)
	ds_store_b64 v22, v[4:5]
	s_cbranch_vccnz .LBB23_22
; %bb.11:                               ;   in Loop: Header=BB23_9 Depth=1
	s_mov_b32 s29, 0
	s_mov_b32 s30, 0
.LBB23_12:                              ;   Parent Loop BB23_9 Depth=1
                                        ; =>  This Inner Loop Header: Depth=2
	s_ashr_i32 s25, s24, 31
                                        ; implicit-def: $sgpr33
	s_delay_alu instid0(SALU_CYCLE_1) | instskip(NEXT) | instid1(SALU_CYCLE_1)
	s_lshl_b64 s[34:35], s[24:25], 2
	s_add_u32 s34, s14, s34
	s_addc_u32 s35, s15, s35
	s_lshl_b32 s25, s30, 2
	s_delay_alu instid0(SALU_CYCLE_1)
	v_mov_b32_e32 v4, s25
	s_load_b32 s25, s[34:35], 0x0
	s_mov_b32 s35, -1
                                        ; implicit-def: $sgpr34
	ds_load_b32 v4, v4 offset:256
	s_waitcnt lgkmcnt(0)
	s_sub_i32 s36, s25, s17
                                        ; implicit-def: $sgpr25
	s_delay_alu instid0(SALU_CYCLE_1)
	v_cmp_ge_i32_e32 vcc_lo, s36, v4
	v_readfirstlane_b32 s31, v4
	s_cbranch_vccz .LBB23_18
; %bb.13:                               ;   in Loop: Header=BB23_12 Depth=2
	s_delay_alu instid0(VALU_DEP_1)
	s_cmp_le_i32 s36, s31
                                        ; implicit-def: $sgpr25
                                        ; implicit-def: $sgpr34
                                        ; implicit-def: $sgpr33
	s_cbranch_scc0 .LBB23_15
; %bb.14:                               ;   in Loop: Header=BB23_12 Depth=2
	s_add_i32 s25, s30, s27
	s_lshl_b32 s33, s29, 2
	s_mul_i32 s25, s25, 9
	s_delay_alu instid0(SALU_CYCLE_1)
	v_dual_mov_b32 v4, s33 :: v_dual_mov_b32 v5, s25
	s_mul_i32 s33, s24, 9
	s_add_i32 s34, s24, 1
	v_mov_b32_e32 v6, s33
	s_add_i32 s33, s30, 1
	s_add_i32 s25, s29, 1
	s_mov_b32 s35, 0
	ds_store_2addr_b32 v4, v6, v5 offset1:32
.LBB23_15:                              ;   in Loop: Header=BB23_12 Depth=2
	s_and_not1_b32 vcc_lo, exec_lo, s35
	s_cbranch_vccnz .LBB23_17
; %bb.16:                               ;   in Loop: Header=BB23_12 Depth=2
	s_add_i32 s33, s30, 1
	s_mov_b32 s25, s29
	s_mov_b32 s34, s24
.LBB23_17:                              ;   in Loop: Header=BB23_12 Depth=2
	s_mov_b32 s35, 0
.LBB23_18:                              ;   in Loop: Header=BB23_12 Depth=2
	s_delay_alu instid0(SALU_CYCLE_1)
	s_and_not1_b32 vcc_lo, exec_lo, s35
	s_cbranch_vccnz .LBB23_20
; %bb.19:                               ;   in Loop: Header=BB23_12 Depth=2
	s_add_i32 s34, s24, 1
	s_mov_b32 s33, s30
	s_mov_b32 s25, s29
.LBB23_20:                              ;   in Loop: Header=BB23_12 Depth=2
	s_cmp_le_i32 s34, s23
	s_cselect_b32 s24, -1, 0
	s_cmp_le_i32 s31, s22
	s_cselect_b32 s29, -1, 0
	s_delay_alu instid0(SALU_CYCLE_1) | instskip(NEXT) | instid1(SALU_CYCLE_1)
	s_and_b32 s24, s24, s29
	s_and_b32 vcc_lo, exec_lo, s24
	s_cbranch_vccz .LBB23_22
; %bb.21:                               ;   in Loop: Header=BB23_12 Depth=2
	s_mov_b32 s29, s25
	s_mov_b32 s24, s34
	;; [unrolled: 1-line block ×3, first 2 shown]
	s_branch .LBB23_12
.LBB23_22:                              ;   in Loop: Header=BB23_9 Depth=1
	s_add_u32 s20, s6, s20
	s_addc_u32 s21, s7, s21
	s_waitcnt lgkmcnt(0)
	buffer_gl0_inv
.LBB23_23:                              ;   Parent Loop BB23_9 Depth=1
                                        ; =>  This Inner Loop Header: Depth=2
	global_load_b32 v4, v0, s[20:21] glc
	s_waitcnt vmcnt(0)
	v_cmp_eq_u32_e32 vcc_lo, 0, v4
	s_cbranch_vccnz .LBB23_23
; %bb.24:                               ;   in Loop: Header=BB23_9 Depth=1
	v_mad_u64_u32 v[4:5], null, s23, 9, v[1:2]
	buffer_gl1_inv
	buffer_gl0_inv
	s_cmp_lt_i32 s25, 2
	v_ashrrev_i32_e32 v5, 31, v4
	s_delay_alu instid0(VALU_DEP_1) | instskip(NEXT) | instid1(VALU_DEP_1)
	v_lshlrev_b64 v[4:5], 3, v[4:5]
	v_add_co_u32 v4, vcc_lo, s18, v4
	s_delay_alu instid0(VALU_DEP_2)
	v_add_co_ci_u32_e32 v5, vcc_lo, s19, v5, vcc_lo
	global_load_b64 v[6:7], v[4:5], off
	v_mov_b32_e32 v4, 0
	v_mov_b32_e32 v5, 0
	s_waitcnt vmcnt(0)
	ds_store_b64 v20, v[6:7]
	s_waitcnt lgkmcnt(0)
	buffer_gl0_inv
	s_cbranch_scc1 .LBB23_43
; %bb.25:                               ;   in Loop: Header=BB23_9 Depth=1
	v_mov_b32_e32 v4, 0
	v_mov_b32_e32 v5, 0
	s_add_i32 s20, s25, -1
	s_cmp_eq_u32 s25, 2
	s_cbranch_scc1 .LBB23_36
; %bb.26:                               ;   in Loop: Header=BB23_9 Depth=1
	s_and_b32 s21, s20, -2
	s_mov_b32 s22, 0
	s_mov_b32 s23, 0
	s_branch .LBB23_28
.LBB23_27:                              ;   in Loop: Header=BB23_28 Depth=2
	s_add_i32 s23, s23, 2
	s_add_i32 s22, s22, 8
	s_cmp_eq_u32 s21, s23
	s_cbranch_scc1 .LBB23_37
.LBB23_28:                              ;   Parent Loop BB23_9 Depth=1
                                        ; =>  This Inner Loop Header: Depth=2
	v_mov_b32_e32 v6, s22
	s_and_b32 vcc_lo, exec_lo, s28
	s_waitcnt lgkmcnt(0)
	ds_load_2addr_b32 v[8:9], v6 offset1:32
	s_cbranch_vccz .LBB23_30
; %bb.29:                               ;   in Loop: Header=BB23_28 Depth=2
	s_waitcnt lgkmcnt(0)
	v_add_nc_u32_e32 v6, v8, v10
	v_add_nc_u32_e32 v28, v9, v11
	;; [unrolled: 1-line block ×5, first 2 shown]
	v_ashrrev_i32_e32 v7, 31, v6
	v_ashrrev_i32_e32 v29, 31, v28
	;; [unrolled: 1-line block ×4, first 2 shown]
	v_add_nc_u32_e32 v36, v25, v9
	v_lshlrev_b64 v[6:7], 3, v[6:7]
	v_lshlrev_b64 v[28:29], 3, v[28:29]
	;; [unrolled: 1-line block ×4, first 2 shown]
	v_ashrrev_i32_e32 v35, 31, v34
	v_ashrrev_i32_e32 v37, 31, v36
	v_add_co_u32 v6, vcc_lo, s18, v6
	v_add_co_ci_u32_e32 v7, vcc_lo, s19, v7, vcc_lo
	v_add_co_u32 v28, vcc_lo, s18, v28
	v_add_co_ci_u32_e32 v29, vcc_lo, s19, v29, vcc_lo
	v_add_co_u32 v30, vcc_lo, s18, v30
	s_clause 0x1
	global_load_b64 v[6:7], v[6:7], off
	global_load_b64 v[28:29], v[28:29], off
	v_add_co_ci_u32_e32 v31, vcc_lo, s19, v31, vcc_lo
	v_add_co_u32 v32, vcc_lo, s18, v32
	v_add_co_ci_u32_e32 v33, vcc_lo, s19, v33, vcc_lo
	s_clause 0x1
	global_load_b64 v[30:31], v[30:31], off
	global_load_b64 v[32:33], v[32:33], off
	v_lshlrev_b64 v[34:35], 3, v[34:35]
	v_lshlrev_b64 v[36:37], 3, v[36:37]
	s_delay_alu instid0(VALU_DEP_2) | instskip(NEXT) | instid1(VALU_DEP_3)
	v_add_co_u32 v34, vcc_lo, s18, v34
	v_add_co_ci_u32_e32 v35, vcc_lo, s19, v35, vcc_lo
	s_delay_alu instid0(VALU_DEP_3) | instskip(NEXT) | instid1(VALU_DEP_4)
	v_add_co_u32 v36, vcc_lo, s18, v36
	v_add_co_ci_u32_e32 v37, vcc_lo, s19, v37, vcc_lo
	s_clause 0x1
	global_load_b64 v[34:35], v[34:35], off
	global_load_b64 v[36:37], v[36:37], off
	s_waitcnt vmcnt(4)
	v_fma_f64 v[6:7], v[6:7], v[28:29], v[4:5]
	s_waitcnt vmcnt(2)
	s_delay_alu instid0(VALU_DEP_1) | instskip(SKIP_1) | instid1(VALU_DEP_1)
	v_fma_f64 v[6:7], v[30:31], v[32:33], v[6:7]
	s_waitcnt vmcnt(0)
	v_fma_f64 v[6:7], v[34:35], v[36:37], v[6:7]
	s_cbranch_execz .LBB23_31
	s_branch .LBB23_32
.LBB23_30:                              ;   in Loop: Header=BB23_28 Depth=2
                                        ; implicit-def: $vgpr6_vgpr7
.LBB23_31:                              ;   in Loop: Header=BB23_28 Depth=2
	s_waitcnt lgkmcnt(0)
	v_add_nc_u32_e32 v6, v8, v17
	v_add_nc_u32_e32 v8, v9, v16
	s_delay_alu instid0(VALU_DEP_2) | instskip(NEXT) | instid1(VALU_DEP_2)
	v_ashrrev_i32_e32 v7, 31, v6
	v_ashrrev_i32_e32 v9, 31, v8
	s_delay_alu instid0(VALU_DEP_2) | instskip(NEXT) | instid1(VALU_DEP_2)
	v_lshlrev_b64 v[6:7], 3, v[6:7]
	v_lshlrev_b64 v[8:9], 3, v[8:9]
	s_delay_alu instid0(VALU_DEP_2) | instskip(NEXT) | instid1(VALU_DEP_3)
	v_add_co_u32 v32, vcc_lo, s18, v6
	v_add_co_ci_u32_e32 v33, vcc_lo, s19, v7, vcc_lo
	s_delay_alu instid0(VALU_DEP_3) | instskip(NEXT) | instid1(VALU_DEP_4)
	v_add_co_u32 v34, vcc_lo, s18, v8
	v_add_co_ci_u32_e32 v35, vcc_lo, s19, v9, vcc_lo
	s_clause 0x3
	global_load_b128 v[6:9], v[32:33], off
	global_load_b128 v[28:31], v[34:35], off
	global_load_b64 v[32:33], v[32:33], off offset:16
	global_load_b64 v[34:35], v[34:35], off offset:16
	s_waitcnt vmcnt(2)
	v_fma_f64 v[4:5], v[6:7], v[28:29], v[4:5]
	s_delay_alu instid0(VALU_DEP_1) | instskip(SKIP_1) | instid1(VALU_DEP_1)
	v_fma_f64 v[4:5], v[8:9], v[30:31], v[4:5]
	s_waitcnt vmcnt(0)
	v_fma_f64 v[6:7], v[32:33], v[34:35], v[4:5]
.LBB23_32:                              ;   in Loop: Header=BB23_28 Depth=2
	v_mov_b32_e32 v4, s22
	s_and_not1_b32 vcc_lo, exec_lo, s28
	s_waitcnt lgkmcnt(0)
	ds_load_2addr_b32 v[8:9], v4 offset0:1 offset1:33
	s_cbranch_vccnz .LBB23_34
; %bb.33:                               ;   in Loop: Header=BB23_28 Depth=2
	s_waitcnt lgkmcnt(0)
	v_add_nc_u32_e32 v4, v8, v10
	v_add_nc_u32_e32 v28, v9, v11
	;; [unrolled: 1-line block ×5, first 2 shown]
	v_ashrrev_i32_e32 v5, 31, v4
	v_ashrrev_i32_e32 v29, 31, v28
	;; [unrolled: 1-line block ×4, first 2 shown]
	v_add_nc_u32_e32 v36, v25, v9
	v_lshlrev_b64 v[4:5], 3, v[4:5]
	v_lshlrev_b64 v[28:29], 3, v[28:29]
	;; [unrolled: 1-line block ×4, first 2 shown]
	v_ashrrev_i32_e32 v35, 31, v34
	v_ashrrev_i32_e32 v37, 31, v36
	v_add_co_u32 v4, vcc_lo, s18, v4
	v_add_co_ci_u32_e32 v5, vcc_lo, s19, v5, vcc_lo
	v_add_co_u32 v28, vcc_lo, s18, v28
	v_add_co_ci_u32_e32 v29, vcc_lo, s19, v29, vcc_lo
	v_add_co_u32 v30, vcc_lo, s18, v30
	s_clause 0x1
	global_load_b64 v[4:5], v[4:5], off
	global_load_b64 v[28:29], v[28:29], off
	v_add_co_ci_u32_e32 v31, vcc_lo, s19, v31, vcc_lo
	v_add_co_u32 v32, vcc_lo, s18, v32
	v_add_co_ci_u32_e32 v33, vcc_lo, s19, v33, vcc_lo
	s_clause 0x1
	global_load_b64 v[30:31], v[30:31], off
	global_load_b64 v[32:33], v[32:33], off
	v_lshlrev_b64 v[34:35], 3, v[34:35]
	v_lshlrev_b64 v[36:37], 3, v[36:37]
	s_delay_alu instid0(VALU_DEP_2) | instskip(NEXT) | instid1(VALU_DEP_3)
	v_add_co_u32 v34, vcc_lo, s18, v34
	v_add_co_ci_u32_e32 v35, vcc_lo, s19, v35, vcc_lo
	s_delay_alu instid0(VALU_DEP_3) | instskip(NEXT) | instid1(VALU_DEP_4)
	v_add_co_u32 v36, vcc_lo, s18, v36
	v_add_co_ci_u32_e32 v37, vcc_lo, s19, v37, vcc_lo
	s_clause 0x1
	global_load_b64 v[34:35], v[34:35], off
	global_load_b64 v[36:37], v[36:37], off
	s_waitcnt vmcnt(4)
	v_fma_f64 v[4:5], v[4:5], v[28:29], v[6:7]
	s_waitcnt vmcnt(2)
	s_delay_alu instid0(VALU_DEP_1) | instskip(SKIP_1) | instid1(VALU_DEP_1)
	v_fma_f64 v[4:5], v[30:31], v[32:33], v[4:5]
	s_waitcnt vmcnt(0)
	v_fma_f64 v[4:5], v[34:35], v[36:37], v[4:5]
	s_cbranch_execnz .LBB23_27
	s_branch .LBB23_35
.LBB23_34:                              ;   in Loop: Header=BB23_28 Depth=2
                                        ; implicit-def: $vgpr4_vgpr5
.LBB23_35:                              ;   in Loop: Header=BB23_28 Depth=2
	s_waitcnt lgkmcnt(0)
	v_add_nc_u32_e32 v4, v8, v17
	v_add_nc_u32_e32 v8, v9, v16
	s_delay_alu instid0(VALU_DEP_2) | instskip(NEXT) | instid1(VALU_DEP_2)
	v_ashrrev_i32_e32 v5, 31, v4
	v_ashrrev_i32_e32 v9, 31, v8
	s_delay_alu instid0(VALU_DEP_2) | instskip(NEXT) | instid1(VALU_DEP_2)
	v_lshlrev_b64 v[4:5], 3, v[4:5]
	v_lshlrev_b64 v[8:9], 3, v[8:9]
	s_delay_alu instid0(VALU_DEP_2) | instskip(NEXT) | instid1(VALU_DEP_3)
	v_add_co_u32 v4, vcc_lo, s18, v4
	v_add_co_ci_u32_e32 v5, vcc_lo, s19, v5, vcc_lo
	s_delay_alu instid0(VALU_DEP_3) | instskip(NEXT) | instid1(VALU_DEP_4)
	v_add_co_u32 v8, vcc_lo, s18, v8
	v_add_co_ci_u32_e32 v9, vcc_lo, s19, v9, vcc_lo
	s_clause 0x3
	global_load_b128 v[28:31], v[4:5], off
	global_load_b128 v[32:35], v[8:9], off
	global_load_b64 v[4:5], v[4:5], off offset:16
	global_load_b64 v[8:9], v[8:9], off offset:16
	s_waitcnt vmcnt(2)
	v_fma_f64 v[6:7], v[28:29], v[32:33], v[6:7]
	s_delay_alu instid0(VALU_DEP_1) | instskip(SKIP_1) | instid1(VALU_DEP_1)
	v_fma_f64 v[6:7], v[30:31], v[34:35], v[6:7]
	s_waitcnt vmcnt(0)
	v_fma_f64 v[4:5], v[4:5], v[8:9], v[6:7]
	s_branch .LBB23_27
.LBB23_36:                              ;   in Loop: Header=BB23_9 Depth=1
	s_mov_b32 s21, 0
.LBB23_37:                              ;   in Loop: Header=BB23_9 Depth=1
	s_bitcmp0_b32 s20, 0
	s_cbranch_scc1 .LBB23_43
; %bb.38:                               ;   in Loop: Header=BB23_9 Depth=1
	s_lshl_b32 s20, s21, 2
	s_and_not1_b32 vcc_lo, exec_lo, s28
	v_mov_b32_e32 v6, s20
	ds_load_2addr_b32 v[6:7], v6 offset1:32
	s_cbranch_vccnz .LBB23_40
; %bb.39:                               ;   in Loop: Header=BB23_9 Depth=1
	s_waitcnt lgkmcnt(0)
	v_add_nc_u32_e32 v8, v6, v10
	v_add_nc_u32_e32 v28, v7, v11
	;; [unrolled: 1-line block ×5, first 2 shown]
	v_ashrrev_i32_e32 v9, 31, v8
	v_ashrrev_i32_e32 v29, 31, v28
	v_ashrrev_i32_e32 v31, 31, v30
	v_ashrrev_i32_e32 v33, 31, v32
	v_add_nc_u32_e32 v36, v25, v7
	v_lshlrev_b64 v[8:9], 3, v[8:9]
	v_lshlrev_b64 v[28:29], 3, v[28:29]
	;; [unrolled: 1-line block ×4, first 2 shown]
	v_ashrrev_i32_e32 v35, 31, v34
	v_ashrrev_i32_e32 v37, 31, v36
	v_add_co_u32 v8, vcc_lo, s18, v8
	v_add_co_ci_u32_e32 v9, vcc_lo, s19, v9, vcc_lo
	v_add_co_u32 v28, vcc_lo, s18, v28
	v_add_co_ci_u32_e32 v29, vcc_lo, s19, v29, vcc_lo
	v_add_co_u32 v30, vcc_lo, s18, v30
	s_clause 0x1
	global_load_b64 v[8:9], v[8:9], off
	global_load_b64 v[28:29], v[28:29], off
	v_add_co_ci_u32_e32 v31, vcc_lo, s19, v31, vcc_lo
	v_add_co_u32 v32, vcc_lo, s18, v32
	v_add_co_ci_u32_e32 v33, vcc_lo, s19, v33, vcc_lo
	s_clause 0x1
	global_load_b64 v[30:31], v[30:31], off
	global_load_b64 v[32:33], v[32:33], off
	v_lshlrev_b64 v[34:35], 3, v[34:35]
	v_lshlrev_b64 v[36:37], 3, v[36:37]
	s_delay_alu instid0(VALU_DEP_2) | instskip(NEXT) | instid1(VALU_DEP_3)
	v_add_co_u32 v34, vcc_lo, s18, v34
	v_add_co_ci_u32_e32 v35, vcc_lo, s19, v35, vcc_lo
	s_delay_alu instid0(VALU_DEP_3) | instskip(NEXT) | instid1(VALU_DEP_4)
	v_add_co_u32 v36, vcc_lo, s18, v36
	v_add_co_ci_u32_e32 v37, vcc_lo, s19, v37, vcc_lo
	s_clause 0x1
	global_load_b64 v[34:35], v[34:35], off
	global_load_b64 v[36:37], v[36:37], off
	s_waitcnt vmcnt(4)
	v_fma_f64 v[8:9], v[8:9], v[28:29], v[4:5]
	s_waitcnt vmcnt(2)
	s_delay_alu instid0(VALU_DEP_1) | instskip(SKIP_1) | instid1(VALU_DEP_1)
	v_fma_f64 v[8:9], v[30:31], v[32:33], v[8:9]
	s_waitcnt vmcnt(0)
	v_fma_f64 v[8:9], v[34:35], v[36:37], v[8:9]
	s_cbranch_execz .LBB23_41
	s_branch .LBB23_42
.LBB23_40:                              ;   in Loop: Header=BB23_9 Depth=1
                                        ; implicit-def: $vgpr8_vgpr9
.LBB23_41:                              ;   in Loop: Header=BB23_9 Depth=1
	s_waitcnt lgkmcnt(0)
	v_add_nc_u32_e32 v6, v6, v17
	v_add_nc_u32_e32 v8, v7, v16
	s_delay_alu instid0(VALU_DEP_2) | instskip(NEXT) | instid1(VALU_DEP_2)
	v_ashrrev_i32_e32 v7, 31, v6
	v_ashrrev_i32_e32 v9, 31, v8
	s_delay_alu instid0(VALU_DEP_2) | instskip(NEXT) | instid1(VALU_DEP_2)
	v_lshlrev_b64 v[6:7], 3, v[6:7]
	v_lshlrev_b64 v[8:9], 3, v[8:9]
	s_delay_alu instid0(VALU_DEP_2) | instskip(NEXT) | instid1(VALU_DEP_3)
	v_add_co_u32 v32, vcc_lo, s18, v6
	v_add_co_ci_u32_e32 v33, vcc_lo, s19, v7, vcc_lo
	s_delay_alu instid0(VALU_DEP_3) | instskip(NEXT) | instid1(VALU_DEP_4)
	v_add_co_u32 v34, vcc_lo, s18, v8
	v_add_co_ci_u32_e32 v35, vcc_lo, s19, v9, vcc_lo
	s_clause 0x3
	global_load_b128 v[6:9], v[32:33], off
	global_load_b128 v[28:31], v[34:35], off
	global_load_b64 v[32:33], v[32:33], off offset:16
	global_load_b64 v[34:35], v[34:35], off offset:16
	s_waitcnt vmcnt(2)
	v_fma_f64 v[4:5], v[6:7], v[28:29], v[4:5]
	s_delay_alu instid0(VALU_DEP_1) | instskip(SKIP_1) | instid1(VALU_DEP_1)
	v_fma_f64 v[4:5], v[8:9], v[30:31], v[4:5]
	s_waitcnt vmcnt(0)
	v_fma_f64 v[8:9], v[32:33], v[34:35], v[4:5]
.LBB23_42:                              ;   in Loop: Header=BB23_9 Depth=1
	s_waitcnt lgkmcnt(1)
	s_delay_alu instid0(VALU_DEP_1)
	v_dual_mov_b32 v4, v8 :: v_dual_mov_b32 v5, v9
.LBB23_43:                              ;   in Loop: Header=BB23_9 Depth=1
	ds_store_b64 v26, v[4:5]
	s_waitcnt lgkmcnt(0)
	buffer_gl0_inv
	ds_load_b64 v[6:7], v0 offset:384
	ds_load_b64 v[4:5], v19
	s_waitcnt lgkmcnt(1)
	v_cmp_neq_f64_e32 vcc_lo, 0, v[6:7]
	v_cndmask_b32_e32 v7, 0x3ff00000, v7, vcc_lo
	v_cndmask_b32_e32 v6, 0, v6, vcc_lo
	s_or_b32 s20, vcc_lo, s0
	s_delay_alu instid0(SALU_CYCLE_1) | instskip(NEXT) | instid1(SALU_CYCLE_1)
	s_xor_b32 s21, s20, -1
	s_and_saveexec_b32 s20, s21
	s_cbranch_execz .LBB23_47
; %bb.44:                               ;   in Loop: Header=BB23_9 Depth=1
	v_mbcnt_lo_u32_b32 v6, exec_lo, 0
	s_mov_b32 s21, exec_lo
	s_delay_alu instid0(VALU_DEP_1)
	v_cmpx_eq_u32_e32 0, v6
	s_cbranch_execz .LBB23_46
; %bb.45:                               ;   in Loop: Header=BB23_9 Depth=1
	v_mov_b32_e32 v6, s3
	global_atomic_min_i32 v0, v6, s[10:11]
.LBB23_46:                              ;   in Loop: Header=BB23_9 Depth=1
	s_or_b32 exec_lo, exec_lo, s21
	v_mov_b32_e32 v6, 0
	v_mov_b32_e32 v7, 0x3ff00000
.LBB23_47:                              ;   in Loop: Header=BB23_9 Depth=1
	s_or_b32 exec_lo, exec_lo, s20
	ds_load_b64 v[8:9], v21
	s_waitcnt lgkmcnt(0)
	v_add_f64 v[4:5], v[4:5], -v[8:9]
	s_delay_alu instid0(VALU_DEP_1) | instskip(SKIP_1) | instid1(VALU_DEP_2)
	v_div_scale_f64 v[8:9], null, v[6:7], v[6:7], v[4:5]
	v_div_scale_f64 v[32:33], vcc_lo, v[4:5], v[6:7], v[4:5]
	v_rcp_f64_e32 v[28:29], v[8:9]
	s_waitcnt_depctr 0xfff
	v_fma_f64 v[30:31], -v[8:9], v[28:29], 1.0
	s_delay_alu instid0(VALU_DEP_1) | instskip(NEXT) | instid1(VALU_DEP_1)
	v_fma_f64 v[28:29], v[28:29], v[30:31], v[28:29]
	v_fma_f64 v[30:31], -v[8:9], v[28:29], 1.0
	s_delay_alu instid0(VALU_DEP_1) | instskip(NEXT) | instid1(VALU_DEP_1)
	v_fma_f64 v[28:29], v[28:29], v[30:31], v[28:29]
	v_mul_f64 v[30:31], v[32:33], v[28:29]
	s_delay_alu instid0(VALU_DEP_1) | instskip(NEXT) | instid1(VALU_DEP_1)
	v_fma_f64 v[8:9], -v[8:9], v[30:31], v[32:33]
	v_div_fmas_f64 v[8:9], v[8:9], v[28:29], v[30:31]
	s_delay_alu instid0(VALU_DEP_1)
	v_div_fixup_f64 v[4:5], v[8:9], v[6:7], v[4:5]
	ds_store_b64 v19, v[4:5]
	s_waitcnt lgkmcnt(0)
	s_waitcnt_vscnt null, 0x0
	buffer_gl0_inv
	ds_load_b64 v[6:7], v27
	ds_load_b64 v[8:9], v14
	s_waitcnt lgkmcnt(0)
	v_fma_f64 v[4:5], v[4:5], v[6:7], v[8:9]
	ds_store_b64 v14, v[4:5]
	s_waitcnt lgkmcnt(0)
	buffer_gl0_inv
	ds_load_b64 v[6:7], v0 offset:424
	ds_load_b64 v[4:5], v19 offset:8
	s_waitcnt lgkmcnt(1)
	v_cmp_neq_f64_e32 vcc_lo, 0, v[6:7]
	v_cndmask_b32_e32 v7, 0x3ff00000, v7, vcc_lo
	v_cndmask_b32_e32 v6, 0, v6, vcc_lo
	s_or_b32 s20, vcc_lo, s0
	s_delay_alu instid0(SALU_CYCLE_1) | instskip(NEXT) | instid1(SALU_CYCLE_1)
	s_xor_b32 s21, s20, -1
	s_and_saveexec_b32 s20, s21
	s_cbranch_execz .LBB23_51
; %bb.48:                               ;   in Loop: Header=BB23_9 Depth=1
	v_mbcnt_lo_u32_b32 v6, exec_lo, 0
	s_mov_b32 s21, exec_lo
	s_delay_alu instid0(VALU_DEP_1)
	v_cmpx_eq_u32_e32 0, v6
	s_cbranch_execz .LBB23_50
; %bb.49:                               ;   in Loop: Header=BB23_9 Depth=1
	v_mov_b32_e32 v6, s3
	global_atomic_min_i32 v0, v6, s[10:11]
.LBB23_50:                              ;   in Loop: Header=BB23_9 Depth=1
	s_or_b32 exec_lo, exec_lo, s21
	v_mov_b32_e32 v6, 0
	v_mov_b32_e32 v7, 0x3ff00000
.LBB23_51:                              ;   in Loop: Header=BB23_9 Depth=1
	s_or_b32 exec_lo, exec_lo, s20
	ds_load_b64 v[8:9], v19
	ds_load_b64 v[28:29], v0 offset:416
	ds_load_b64 v[30:31], v21 offset:8
	s_waitcnt lgkmcnt(0)
	v_fma_f64 v[8:9], v[28:29], v[8:9], v[30:31]
	s_delay_alu instid0(VALU_DEP_1) | instskip(NEXT) | instid1(VALU_DEP_1)
	v_add_f64 v[4:5], v[4:5], -v[8:9]
	v_div_scale_f64 v[8:9], null, v[6:7], v[6:7], v[4:5]
	v_div_scale_f64 v[32:33], vcc_lo, v[4:5], v[6:7], v[4:5]
	s_delay_alu instid0(VALU_DEP_2) | instskip(SKIP_2) | instid1(VALU_DEP_1)
	v_rcp_f64_e32 v[28:29], v[8:9]
	s_waitcnt_depctr 0xfff
	v_fma_f64 v[30:31], -v[8:9], v[28:29], 1.0
	v_fma_f64 v[28:29], v[28:29], v[30:31], v[28:29]
	s_delay_alu instid0(VALU_DEP_1) | instskip(NEXT) | instid1(VALU_DEP_1)
	v_fma_f64 v[30:31], -v[8:9], v[28:29], 1.0
	v_fma_f64 v[28:29], v[28:29], v[30:31], v[28:29]
	s_delay_alu instid0(VALU_DEP_1) | instskip(NEXT) | instid1(VALU_DEP_1)
	v_mul_f64 v[30:31], v[32:33], v[28:29]
	v_fma_f64 v[8:9], -v[8:9], v[30:31], v[32:33]
	s_delay_alu instid0(VALU_DEP_1) | instskip(NEXT) | instid1(VALU_DEP_1)
	v_div_fmas_f64 v[8:9], v[8:9], v[28:29], v[30:31]
	v_div_fixup_f64 v[4:5], v[8:9], v[6:7], v[4:5]
	ds_store_b64 v19, v[4:5] offset:8
	s_waitcnt lgkmcnt(0)
	s_waitcnt_vscnt null, 0x0
	buffer_gl0_inv
	ds_load_b64 v[6:7], v27 offset:8
	ds_load_b64 v[8:9], v14
	s_waitcnt lgkmcnt(0)
	v_fma_f64 v[4:5], v[4:5], v[6:7], v[8:9]
	ds_store_b64 v14, v[4:5]
	s_waitcnt lgkmcnt(0)
	buffer_gl0_inv
	ds_load_b64 v[6:7], v0 offset:464
	ds_load_b64 v[4:5], v19 offset:16
	s_waitcnt lgkmcnt(1)
	v_cmp_neq_f64_e32 vcc_lo, 0, v[6:7]
	v_cndmask_b32_e32 v7, 0x3ff00000, v7, vcc_lo
	v_cndmask_b32_e32 v6, 0, v6, vcc_lo
	s_or_b32 s20, vcc_lo, s0
	s_delay_alu instid0(SALU_CYCLE_1) | instskip(NEXT) | instid1(SALU_CYCLE_1)
	s_xor_b32 s21, s20, -1
	s_and_saveexec_b32 s20, s21
	s_cbranch_execz .LBB23_7
; %bb.52:                               ;   in Loop: Header=BB23_9 Depth=1
	v_mbcnt_lo_u32_b32 v6, exec_lo, 0
	s_mov_b32 s21, exec_lo
	s_delay_alu instid0(VALU_DEP_1)
	v_cmpx_eq_u32_e32 0, v6
	s_cbranch_execz .LBB23_6
; %bb.53:                               ;   in Loop: Header=BB23_9 Depth=1
	v_mov_b32_e32 v6, s3
	global_atomic_min_i32 v0, v6, s[10:11]
	s_branch .LBB23_6
.LBB23_54:
	v_mov_b32_e32 v0, v12
	s_cmp_lg_u32 s1, 0
	s_cselect_b32 s2, -1, 0
	s_cmp_eq_u32 s1, 0
	s_cbranch_scc1 .LBB23_56
; %bb.55:
	v_mad_u32_u24 v0, v10, 3, v11
.LBB23_56:
	s_mul_i32 s26, s26, 9
	s_mov_b32 s1, exec_lo
	s_delay_alu instid0(VALU_DEP_1) | instskip(NEXT) | instid1(VALU_DEP_1)
	v_add_nc_u32_e32 v0, s26, v0
	v_ashrrev_i32_e32 v1, 31, v0
	s_delay_alu instid0(VALU_DEP_1) | instskip(NEXT) | instid1(VALU_DEP_1)
	v_lshlrev_b64 v[0:1], 3, v[0:1]
	v_add_co_u32 v0, vcc_lo, s18, v0
	s_delay_alu instid0(VALU_DEP_2)
	v_add_co_ci_u32_e32 v1, vcc_lo, s19, v1, vcc_lo
	v_cmp_ne_u32_e32 vcc_lo, 0, v11
	global_load_b64 v[0:1], v[0:1], off
	s_waitcnt vmcnt(0)
	ds_store_b64 v15, v[0:1] offset:576
	s_waitcnt lgkmcnt(0)
	buffer_gl0_inv
	v_cmpx_eq_u32_e32 0, v11
	s_cbranch_execz .LBB23_58
; %bb.57:
	v_mov_b32_e32 v8, 0
	ds_load_2addr_b64 v[0:3], v8 offset0:72 offset1:84
	s_waitcnt lgkmcnt(0)
	v_add_f64 v[0:1], v[0:1], -v[2:3]
	s_delay_alu instid0(VALU_DEP_1) | instskip(SKIP_1) | instid1(VALU_DEP_1)
	v_cmp_gt_f64_e64 s0, 0, v[0:1]
	v_xor_b32_e32 v2, 0x80000000, v1
	v_cndmask_b32_e64 v1, v1, v2, s0
	v_cndmask_b32_e64 v0, v0, v0, s0
	s_delay_alu instid0(VALU_DEP_1) | instskip(NEXT) | instid1(VALU_DEP_1)
	v_cmp_gt_f64_e64 s0, 0x10000000, v[0:1]
	v_cndmask_b32_e64 v2, 0, 1, s0
	s_and_b32 s0, s0, exec_lo
	s_cselect_b32 s0, 0xffffff80, 0
	s_delay_alu instid0(VALU_DEP_1) | instskip(NEXT) | instid1(VALU_DEP_1)
	v_lshlrev_b32_e32 v2, 8, v2
	v_ldexp_f64 v[0:1], v[0:1], v2
	s_delay_alu instid0(VALU_DEP_1) | instskip(SKIP_3) | instid1(VALU_DEP_1)
	v_rsq_f64_e32 v[2:3], v[0:1]
	s_waitcnt_depctr 0xfff
	v_mul_f64 v[4:5], v[0:1], v[2:3]
	v_mul_f64 v[2:3], v[2:3], 0.5
	v_fma_f64 v[6:7], -v[2:3], v[4:5], 0.5
	s_delay_alu instid0(VALU_DEP_1) | instskip(SKIP_1) | instid1(VALU_DEP_2)
	v_fma_f64 v[4:5], v[4:5], v[6:7], v[4:5]
	v_fma_f64 v[2:3], v[2:3], v[6:7], v[2:3]
	v_fma_f64 v[6:7], -v[4:5], v[4:5], v[0:1]
	s_delay_alu instid0(VALU_DEP_1) | instskip(NEXT) | instid1(VALU_DEP_1)
	v_fma_f64 v[4:5], v[6:7], v[2:3], v[4:5]
	v_fma_f64 v[6:7], -v[4:5], v[4:5], v[0:1]
	s_delay_alu instid0(VALU_DEP_1) | instskip(NEXT) | instid1(VALU_DEP_1)
	v_fma_f64 v[2:3], v[6:7], v[2:3], v[4:5]
	v_ldexp_f64 v[2:3], v[2:3], s0
	v_cmp_class_f64_e64 s0, v[0:1], 0x260
	s_delay_alu instid0(VALU_DEP_1) | instskip(NEXT) | instid1(VALU_DEP_3)
	v_cndmask_b32_e64 v1, v3, v1, s0
	v_cndmask_b32_e64 v0, v2, v0, s0
	ds_store_b64 v8, v[0:1] offset:576
.LBB23_58:
	s_or_b32 exec_lo, exec_lo, s1
	v_mov_b32_e32 v0, 0
	s_waitcnt lgkmcnt(0)
	buffer_gl0_inv
	v_or_b32_e32 v2, v10, v11
	s_add_i32 s3, s16, s17
	ds_load_b64 v[0:1], v0 offset:576
	v_cmp_ne_u32_e64 s0, 0, v2
	s_waitcnt lgkmcnt(0)
	v_cmp_neq_f64_e64 s1, 0, v[0:1]
	s_delay_alu instid0(VALU_DEP_1) | instskip(SKIP_2) | instid1(SALU_CYCLE_1)
	v_cndmask_b32_e64 v1, 0x3ff00000, v1, s1
	v_cndmask_b32_e64 v0, 0, v0, s1
	s_or_b32 s1, s1, s0
	s_xor_b32 s1, s1, -1
	s_delay_alu instid0(SALU_CYCLE_1)
	s_and_saveexec_b32 s4, s1
	s_cbranch_execz .LBB23_62
; %bb.59:
	v_mbcnt_lo_u32_b32 v0, exec_lo, 0
	s_mov_b32 s5, exec_lo
	s_delay_alu instid0(VALU_DEP_1)
	v_cmpx_eq_u32_e32 0, v0
	s_cbranch_execz .LBB23_61
; %bb.60:
	v_dual_mov_b32 v0, 0 :: v_dual_mov_b32 v1, s3
	global_atomic_min_i32 v0, v1, s[10:11]
.LBB23_61:
	s_or_b32 exec_lo, exec_lo, s5
	v_mov_b32_e32 v0, 0
	v_mov_b32_e32 v1, 0x3ff00000
.LBB23_62:
	s_or_b32 exec_lo, exec_lo, s4
	s_and_saveexec_b32 s1, vcc_lo
	s_cbranch_execz .LBB23_64
; %bb.63:
	v_lshlrev_b32_e32 v9, 5, v11
	ds_load_2addr_b64 v[3:6], v9 offset0:72 offset1:84
	s_waitcnt lgkmcnt(0)
	v_add_f64 v[3:4], v[3:4], -v[5:6]
	s_delay_alu instid0(VALU_DEP_1) | instskip(SKIP_1) | instid1(VALU_DEP_2)
	v_div_scale_f64 v[5:6], null, v[0:1], v[0:1], v[3:4]
	v_div_scale_f64 v[18:19], vcc_lo, v[3:4], v[0:1], v[3:4]
	v_rcp_f64_e32 v[7:8], v[5:6]
	s_waitcnt_depctr 0xfff
	v_fma_f64 v[16:17], -v[5:6], v[7:8], 1.0
	s_delay_alu instid0(VALU_DEP_1) | instskip(NEXT) | instid1(VALU_DEP_1)
	v_fma_f64 v[7:8], v[7:8], v[16:17], v[7:8]
	v_fma_f64 v[16:17], -v[5:6], v[7:8], 1.0
	s_delay_alu instid0(VALU_DEP_1) | instskip(NEXT) | instid1(VALU_DEP_1)
	v_fma_f64 v[7:8], v[7:8], v[16:17], v[7:8]
	v_mul_f64 v[16:17], v[18:19], v[7:8]
	s_delay_alu instid0(VALU_DEP_1) | instskip(NEXT) | instid1(VALU_DEP_1)
	v_fma_f64 v[5:6], -v[5:6], v[16:17], v[18:19]
	v_div_fmas_f64 v[5:6], v[5:6], v[7:8], v[16:17]
	s_delay_alu instid0(VALU_DEP_1)
	v_div_fixup_f64 v[0:1], v[5:6], v[0:1], v[3:4]
	v_lshlrev_b32_e32 v3, 5, v10
	ds_store_b64 v9, v[0:1] offset:576
	s_waitcnt lgkmcnt(0)
	s_waitcnt_vscnt null, 0x0
	buffer_gl0_inv
	ds_load_b64 v[3:4], v3 offset:576
	ds_load_b64 v[5:6], v14
	s_waitcnt lgkmcnt(0)
	v_fma_f64 v[0:1], v[0:1], v[3:4], v[5:6]
	ds_store_b64 v14, v[0:1]
.LBB23_64:
	s_or_b32 exec_lo, exec_lo, s1
	s_delay_alu instid0(SALU_CYCLE_1)
	s_mov_b32 s1, exec_lo
	s_waitcnt lgkmcnt(0)
	s_waitcnt_vscnt null, 0x0
	buffer_gl0_inv
	v_cmpx_eq_u32_e32 1, v11
	s_cbranch_execz .LBB23_66
; %bb.65:
	v_mov_b32_e32 v9, 0
	ds_load_2addr_b64 v[3:6], v9 offset0:77 offset1:89
	s_waitcnt lgkmcnt(0)
	v_add_f64 v[0:1], v[3:4], -v[5:6]
	s_delay_alu instid0(VALU_DEP_1) | instskip(SKIP_1) | instid1(VALU_DEP_1)
	v_cmp_gt_f64_e32 vcc_lo, 0, v[0:1]
	v_xor_b32_e32 v3, 0x80000000, v1
	v_dual_cndmask_b32 v0, v0, v0 :: v_dual_cndmask_b32 v1, v1, v3
	s_delay_alu instid0(VALU_DEP_1) | instskip(SKIP_3) | instid1(VALU_DEP_1)
	v_cmp_gt_f64_e32 vcc_lo, 0x10000000, v[0:1]
	v_cndmask_b32_e64 v3, 0, 1, vcc_lo
	s_and_b32 s4, vcc_lo, exec_lo
	s_cselect_b32 s4, 0xffffff80, 0
	v_lshlrev_b32_e32 v3, 8, v3
	s_delay_alu instid0(VALU_DEP_1) | instskip(NEXT) | instid1(VALU_DEP_1)
	v_ldexp_f64 v[0:1], v[0:1], v3
	v_rsq_f64_e32 v[3:4], v[0:1]
	v_cmp_class_f64_e64 vcc_lo, v[0:1], 0x260
	s_waitcnt_depctr 0xfff
	v_mul_f64 v[5:6], v[0:1], v[3:4]
	v_mul_f64 v[3:4], v[3:4], 0.5
	s_delay_alu instid0(VALU_DEP_1) | instskip(NEXT) | instid1(VALU_DEP_1)
	v_fma_f64 v[7:8], -v[3:4], v[5:6], 0.5
	v_fma_f64 v[5:6], v[5:6], v[7:8], v[5:6]
	v_fma_f64 v[3:4], v[3:4], v[7:8], v[3:4]
	s_delay_alu instid0(VALU_DEP_2) | instskip(NEXT) | instid1(VALU_DEP_1)
	v_fma_f64 v[7:8], -v[5:6], v[5:6], v[0:1]
	v_fma_f64 v[5:6], v[7:8], v[3:4], v[5:6]
	s_delay_alu instid0(VALU_DEP_1) | instskip(NEXT) | instid1(VALU_DEP_1)
	v_fma_f64 v[7:8], -v[5:6], v[5:6], v[0:1]
	v_fma_f64 v[3:4], v[7:8], v[3:4], v[5:6]
	s_delay_alu instid0(VALU_DEP_1) | instskip(NEXT) | instid1(VALU_DEP_1)
	v_ldexp_f64 v[3:4], v[3:4], s4
	v_dual_cndmask_b32 v0, v3, v0 :: v_dual_cndmask_b32 v1, v4, v1
	ds_store_b64 v9, v[0:1] offset:616
.LBB23_66:
	s_or_b32 exec_lo, exec_lo, s1
	v_mov_b32_e32 v0, 0
	s_waitcnt lgkmcnt(0)
	buffer_gl0_inv
	ds_load_b64 v[0:1], v0 offset:616
	s_waitcnt lgkmcnt(0)
	v_cmp_neq_f64_e32 vcc_lo, 0, v[0:1]
	v_cndmask_b32_e32 v1, 0x3ff00000, v1, vcc_lo
	v_cndmask_b32_e32 v0, 0, v0, vcc_lo
	s_or_b32 s1, vcc_lo, s0
	s_delay_alu instid0(SALU_CYCLE_1) | instskip(NEXT) | instid1(SALU_CYCLE_1)
	s_xor_b32 s4, s1, -1
	s_and_saveexec_b32 s1, s4
	s_cbranch_execz .LBB23_70
; %bb.67:
	v_mbcnt_lo_u32_b32 v0, exec_lo, 0
	s_mov_b32 s4, exec_lo
	s_delay_alu instid0(VALU_DEP_1)
	v_cmpx_eq_u32_e32 0, v0
	s_cbranch_execz .LBB23_69
; %bb.68:
	v_dual_mov_b32 v0, 0 :: v_dual_mov_b32 v1, s3
	global_atomic_min_i32 v0, v1, s[10:11]
.LBB23_69:
	s_or_b32 exec_lo, exec_lo, s4
	v_mov_b32_e32 v0, 0
	v_mov_b32_e32 v1, 0x3ff00000
.LBB23_70:
	s_or_b32 exec_lo, exec_lo, s1
	s_delay_alu instid0(SALU_CYCLE_1)
	s_mov_b32 s1, exec_lo
	v_cmpx_lt_u32_e32 1, v11
	s_cbranch_execz .LBB23_72
; %bb.71:
	v_lshlrev_b32_e32 v9, 5, v11
	ds_load_2addr_b64 v[3:6], v9 offset0:73 offset1:85
	s_waitcnt lgkmcnt(0)
	v_add_f64 v[3:4], v[3:4], -v[5:6]
	s_delay_alu instid0(VALU_DEP_1) | instskip(SKIP_1) | instid1(VALU_DEP_2)
	v_div_scale_f64 v[5:6], null, v[0:1], v[0:1], v[3:4]
	v_div_scale_f64 v[18:19], vcc_lo, v[3:4], v[0:1], v[3:4]
	v_rcp_f64_e32 v[7:8], v[5:6]
	s_waitcnt_depctr 0xfff
	v_fma_f64 v[16:17], -v[5:6], v[7:8], 1.0
	s_delay_alu instid0(VALU_DEP_1) | instskip(NEXT) | instid1(VALU_DEP_1)
	v_fma_f64 v[7:8], v[7:8], v[16:17], v[7:8]
	v_fma_f64 v[16:17], -v[5:6], v[7:8], 1.0
	s_delay_alu instid0(VALU_DEP_1) | instskip(NEXT) | instid1(VALU_DEP_1)
	v_fma_f64 v[7:8], v[7:8], v[16:17], v[7:8]
	v_mul_f64 v[16:17], v[18:19], v[7:8]
	s_delay_alu instid0(VALU_DEP_1) | instskip(NEXT) | instid1(VALU_DEP_1)
	v_fma_f64 v[5:6], -v[5:6], v[16:17], v[18:19]
	v_div_fmas_f64 v[5:6], v[5:6], v[7:8], v[16:17]
	s_delay_alu instid0(VALU_DEP_1)
	v_div_fixup_f64 v[0:1], v[5:6], v[0:1], v[3:4]
	v_lshlrev_b32_e32 v3, 5, v10
	ds_store_b64 v9, v[0:1] offset:584
	s_waitcnt lgkmcnt(0)
	s_waitcnt_vscnt null, 0x0
	buffer_gl0_inv
	ds_load_b64 v[3:4], v3 offset:584
	ds_load_b64 v[5:6], v14
	s_waitcnt lgkmcnt(0)
	v_fma_f64 v[0:1], v[0:1], v[3:4], v[5:6]
	ds_store_b64 v14, v[0:1]
.LBB23_72:
	s_or_b32 exec_lo, exec_lo, s1
	s_delay_alu instid0(SALU_CYCLE_1)
	s_mov_b32 s1, exec_lo
	s_waitcnt lgkmcnt(0)
	s_waitcnt_vscnt null, 0x0
	buffer_gl0_inv
	v_cmpx_eq_u32_e32 2, v11
	s_cbranch_execz .LBB23_74
; %bb.73:
	v_mov_b32_e32 v9, 0
	ds_load_2addr_b64 v[3:6], v9 offset0:82 offset1:94
	s_waitcnt lgkmcnt(0)
	v_add_f64 v[0:1], v[3:4], -v[5:6]
	s_delay_alu instid0(VALU_DEP_1) | instskip(SKIP_1) | instid1(VALU_DEP_1)
	v_cmp_gt_f64_e32 vcc_lo, 0, v[0:1]
	v_xor_b32_e32 v3, 0x80000000, v1
	v_dual_cndmask_b32 v0, v0, v0 :: v_dual_cndmask_b32 v1, v1, v3
	s_delay_alu instid0(VALU_DEP_1) | instskip(SKIP_3) | instid1(VALU_DEP_1)
	v_cmp_gt_f64_e32 vcc_lo, 0x10000000, v[0:1]
	v_cndmask_b32_e64 v3, 0, 1, vcc_lo
	s_and_b32 s4, vcc_lo, exec_lo
	s_cselect_b32 s4, 0xffffff80, 0
	v_lshlrev_b32_e32 v3, 8, v3
	s_delay_alu instid0(VALU_DEP_1) | instskip(NEXT) | instid1(VALU_DEP_1)
	v_ldexp_f64 v[0:1], v[0:1], v3
	v_rsq_f64_e32 v[3:4], v[0:1]
	v_cmp_class_f64_e64 vcc_lo, v[0:1], 0x260
	s_waitcnt_depctr 0xfff
	v_mul_f64 v[5:6], v[0:1], v[3:4]
	v_mul_f64 v[3:4], v[3:4], 0.5
	s_delay_alu instid0(VALU_DEP_1) | instskip(NEXT) | instid1(VALU_DEP_1)
	v_fma_f64 v[7:8], -v[3:4], v[5:6], 0.5
	v_fma_f64 v[5:6], v[5:6], v[7:8], v[5:6]
	v_fma_f64 v[3:4], v[3:4], v[7:8], v[3:4]
	s_delay_alu instid0(VALU_DEP_2) | instskip(NEXT) | instid1(VALU_DEP_1)
	v_fma_f64 v[7:8], -v[5:6], v[5:6], v[0:1]
	v_fma_f64 v[5:6], v[7:8], v[3:4], v[5:6]
	s_delay_alu instid0(VALU_DEP_1) | instskip(NEXT) | instid1(VALU_DEP_1)
	v_fma_f64 v[7:8], -v[5:6], v[5:6], v[0:1]
	v_fma_f64 v[3:4], v[7:8], v[3:4], v[5:6]
	s_delay_alu instid0(VALU_DEP_1) | instskip(NEXT) | instid1(VALU_DEP_1)
	v_ldexp_f64 v[3:4], v[3:4], s4
	v_dual_cndmask_b32 v0, v3, v0 :: v_dual_cndmask_b32 v1, v4, v1
	ds_store_b64 v9, v[0:1] offset:656
.LBB23_74:
	s_or_b32 exec_lo, exec_lo, s1
	v_mov_b32_e32 v0, 0
	s_waitcnt lgkmcnt(0)
	buffer_gl0_inv
	ds_load_b64 v[0:1], v0 offset:656
	s_waitcnt lgkmcnt(0)
	v_cmp_neq_f64_e32 vcc_lo, 0, v[0:1]
	v_cndmask_b32_e32 v1, 0x3ff00000, v1, vcc_lo
	v_cndmask_b32_e32 v0, 0, v0, vcc_lo
	s_or_b32 s0, vcc_lo, s0
	s_delay_alu instid0(SALU_CYCLE_1) | instskip(NEXT) | instid1(SALU_CYCLE_1)
	s_xor_b32 s1, s0, -1
	s_and_saveexec_b32 s0, s1
	s_cbranch_execz .LBB23_78
; %bb.75:
	v_mbcnt_lo_u32_b32 v0, exec_lo, 0
	s_mov_b32 s1, exec_lo
	s_delay_alu instid0(VALU_DEP_1)
	v_cmpx_eq_u32_e32 0, v0
	s_cbranch_execz .LBB23_77
; %bb.76:
	v_dual_mov_b32 v0, 0 :: v_dual_mov_b32 v1, s3
	global_atomic_min_i32 v0, v1, s[10:11]
.LBB23_77:
	s_or_b32 exec_lo, exec_lo, s1
	v_mov_b32_e32 v0, 0
	v_mov_b32_e32 v1, 0x3ff00000
.LBB23_78:
	s_or_b32 exec_lo, exec_lo, s0
	v_add_nc_u32_e32 v3, 0x240, v15
	s_mov_b32 s0, exec_lo
	v_cmpx_lt_u32_e32 2, v11
	s_cbranch_execz .LBB23_80
; %bb.79:
	v_lshlrev_b32_e32 v19, 5, v11
	ds_load_2addr_b64 v[4:7], v19 offset0:74 offset1:86
	s_waitcnt lgkmcnt(0)
	v_add_f64 v[4:5], v[4:5], -v[6:7]
	s_delay_alu instid0(VALU_DEP_1) | instskip(SKIP_1) | instid1(VALU_DEP_2)
	v_div_scale_f64 v[6:7], null, v[0:1], v[0:1], v[4:5]
	v_div_scale_f64 v[17:18], vcc_lo, v[4:5], v[0:1], v[4:5]
	v_rcp_f64_e32 v[8:9], v[6:7]
	s_waitcnt_depctr 0xfff
	v_fma_f64 v[15:16], -v[6:7], v[8:9], 1.0
	s_delay_alu instid0(VALU_DEP_1) | instskip(NEXT) | instid1(VALU_DEP_1)
	v_fma_f64 v[8:9], v[8:9], v[15:16], v[8:9]
	v_fma_f64 v[15:16], -v[6:7], v[8:9], 1.0
	s_delay_alu instid0(VALU_DEP_1) | instskip(NEXT) | instid1(VALU_DEP_1)
	v_fma_f64 v[8:9], v[8:9], v[15:16], v[8:9]
	v_mul_f64 v[15:16], v[17:18], v[8:9]
	s_delay_alu instid0(VALU_DEP_1) | instskip(NEXT) | instid1(VALU_DEP_1)
	v_fma_f64 v[6:7], -v[6:7], v[15:16], v[17:18]
	v_div_fmas_f64 v[6:7], v[6:7], v[8:9], v[15:16]
	s_delay_alu instid0(VALU_DEP_1)
	v_div_fixup_f64 v[0:1], v[6:7], v[0:1], v[4:5]
	v_lshlrev_b32_e32 v4, 5, v10
	ds_store_b64 v19, v[0:1] offset:592
	s_waitcnt lgkmcnt(0)
	s_waitcnt_vscnt null, 0x0
	buffer_gl0_inv
	ds_load_b64 v[4:5], v4 offset:592
	ds_load_b64 v[6:7], v14
	s_waitcnt lgkmcnt(0)
	v_fma_f64 v[0:1], v[0:1], v[4:5], v[6:7]
	ds_store_b64 v14, v[0:1]
.LBB23_80:
	s_or_b32 exec_lo, exec_lo, s0
	s_waitcnt lgkmcnt(0)
	s_waitcnt_vscnt null, 0x0
	buffer_gl0_inv
	ds_load_b64 v[0:1], v3
	s_and_not1_b32 vcc_lo, exec_lo, s2
	s_cbranch_vccnz .LBB23_82
; %bb.81:
	v_mov_b32_e32 v12, v13
.LBB23_82:
	s_delay_alu instid0(VALU_DEP_1) | instskip(SKIP_1) | instid1(VALU_DEP_2)
	v_add_nc_u32_e32 v3, s26, v12
	v_cmp_eq_u32_e64 s3, 0, v2
	v_ashrrev_i32_e32 v4, 31, v3
	s_delay_alu instid0(VALU_DEP_1) | instskip(NEXT) | instid1(VALU_DEP_1)
	v_lshlrev_b64 v[3:4], 3, v[3:4]
	v_add_co_u32 v3, vcc_lo, s18, v3
	s_delay_alu instid0(VALU_DEP_2)
	v_add_co_ci_u32_e32 v4, vcc_lo, s19, v4, vcc_lo
	s_waitcnt lgkmcnt(0)
	global_store_b64 v[3:4], v[0:1], off
.LBB23_83:
	s_and_saveexec_b32 s0, s3
	s_cbranch_execnz .LBB23_91
.LBB23_84:
	s_nop 0
	s_sendmsg sendmsg(MSG_DEALLOC_VGPRS)
	s_endpgm
.LBB23_85:
	s_cbranch_execz .LBB23_83
; %bb.86:
	v_or_b32_e32 v0, v10, v11
	s_mov_b32 s0, exec_lo
	s_delay_alu instid0(VALU_DEP_1)
	v_cmpx_eq_u32_e32 0, v0
	s_cbranch_execz .LBB23_90
; %bb.87:
	v_mbcnt_lo_u32_b32 v0, exec_lo, 0
	s_mov_b32 s1, exec_lo
	s_delay_alu instid0(VALU_DEP_1)
	v_cmpx_eq_u32_e32 0, v0
	s_cbranch_execz .LBB23_89
; %bb.88:
	s_add_i32 s2, s16, s17
	s_delay_alu instid0(SALU_CYCLE_1)
	v_dual_mov_b32 v0, 0 :: v_dual_mov_b32 v1, s2
	global_atomic_min_i32 v0, v1, s[10:11]
.LBB23_89:
	s_or_b32 exec_lo, exec_lo, s1
	s_delay_alu instid0(SALU_CYCLE_1)
	s_or_b32 s3, s3, exec_lo
.LBB23_90:
	s_or_b32 exec_lo, exec_lo, s0
	s_and_saveexec_b32 s0, s3
	s_cbranch_execz .LBB23_84
.LBB23_91:
	v_dual_mov_b32 v0, 0 :: v_dual_mov_b32 v1, 1
	s_add_u32 s0, s6, s8
	s_addc_u32 s1, s7, s9
	s_waitcnt_vscnt null, 0x0
	global_store_b32 v0, v1, s[0:1]
	s_nop 0
	s_sendmsg sendmsg(MSG_DEALLOC_VGPRS)
	s_endpgm
	.section	.rodata,"a",@progbits
	.p2align	6, 0x0
	.amdhsa_kernel _ZN9rocsparseL26bsric0_2_8_unrolled_kernelILi9ELi32ELi3EdEEv20rocsparse_direction_iiPKiS3_PT2_S3_PiS3_S6_21rocsparse_index_base_
		.amdhsa_group_segment_fixed_size 768
		.amdhsa_private_segment_fixed_size 0
		.amdhsa_kernarg_size 76
		.amdhsa_user_sgpr_count 15
		.amdhsa_user_sgpr_dispatch_ptr 0
		.amdhsa_user_sgpr_queue_ptr 0
		.amdhsa_user_sgpr_kernarg_segment_ptr 1
		.amdhsa_user_sgpr_dispatch_id 0
		.amdhsa_user_sgpr_private_segment_size 0
		.amdhsa_wavefront_size32 1
		.amdhsa_uses_dynamic_stack 0
		.amdhsa_enable_private_segment 0
		.amdhsa_system_sgpr_workgroup_id_x 1
		.amdhsa_system_sgpr_workgroup_id_y 0
		.amdhsa_system_sgpr_workgroup_id_z 0
		.amdhsa_system_sgpr_workgroup_info 0
		.amdhsa_system_vgpr_workitem_id 1
		.amdhsa_next_free_vgpr 38
		.amdhsa_next_free_sgpr 37
		.amdhsa_reserve_vcc 1
		.amdhsa_float_round_mode_32 0
		.amdhsa_float_round_mode_16_64 0
		.amdhsa_float_denorm_mode_32 3
		.amdhsa_float_denorm_mode_16_64 3
		.amdhsa_dx10_clamp 1
		.amdhsa_ieee_mode 1
		.amdhsa_fp16_overflow 0
		.amdhsa_workgroup_processor_mode 1
		.amdhsa_memory_ordered 1
		.amdhsa_forward_progress 0
		.amdhsa_shared_vgpr_count 0
		.amdhsa_exception_fp_ieee_invalid_op 0
		.amdhsa_exception_fp_denorm_src 0
		.amdhsa_exception_fp_ieee_div_zero 0
		.amdhsa_exception_fp_ieee_overflow 0
		.amdhsa_exception_fp_ieee_underflow 0
		.amdhsa_exception_fp_ieee_inexact 0
		.amdhsa_exception_int_div_zero 0
	.end_amdhsa_kernel
	.section	.text._ZN9rocsparseL26bsric0_2_8_unrolled_kernelILi9ELi32ELi3EdEEv20rocsparse_direction_iiPKiS3_PT2_S3_PiS3_S6_21rocsparse_index_base_,"axG",@progbits,_ZN9rocsparseL26bsric0_2_8_unrolled_kernelILi9ELi32ELi3EdEEv20rocsparse_direction_iiPKiS3_PT2_S3_PiS3_S6_21rocsparse_index_base_,comdat
.Lfunc_end23:
	.size	_ZN9rocsparseL26bsric0_2_8_unrolled_kernelILi9ELi32ELi3EdEEv20rocsparse_direction_iiPKiS3_PT2_S3_PiS3_S6_21rocsparse_index_base_, .Lfunc_end23-_ZN9rocsparseL26bsric0_2_8_unrolled_kernelILi9ELi32ELi3EdEEv20rocsparse_direction_iiPKiS3_PT2_S3_PiS3_S6_21rocsparse_index_base_
                                        ; -- End function
	.section	.AMDGPU.csdata,"",@progbits
; Kernel info:
; codeLenInByte = 5860
; NumSgprs: 39
; NumVgprs: 38
; ScratchSize: 0
; MemoryBound: 1
; FloatMode: 240
; IeeeMode: 1
; LDSByteSize: 768 bytes/workgroup (compile time only)
; SGPRBlocks: 4
; VGPRBlocks: 4
; NumSGPRsForWavesPerEU: 39
; NumVGPRsForWavesPerEU: 38
; Occupancy: 16
; WaveLimiterHint : 1
; COMPUTE_PGM_RSRC2:SCRATCH_EN: 0
; COMPUTE_PGM_RSRC2:USER_SGPR: 15
; COMPUTE_PGM_RSRC2:TRAP_HANDLER: 0
; COMPUTE_PGM_RSRC2:TGID_X_EN: 1
; COMPUTE_PGM_RSRC2:TGID_Y_EN: 0
; COMPUTE_PGM_RSRC2:TGID_Z_EN: 0
; COMPUTE_PGM_RSRC2:TIDIG_COMP_CNT: 1
	.section	.text._ZN9rocsparseL26bsric0_2_8_unrolled_kernelILi16ELi32ELi4EdEEv20rocsparse_direction_iiPKiS3_PT2_S3_PiS3_S6_21rocsparse_index_base_,"axG",@progbits,_ZN9rocsparseL26bsric0_2_8_unrolled_kernelILi16ELi32ELi4EdEEv20rocsparse_direction_iiPKiS3_PT2_S3_PiS3_S6_21rocsparse_index_base_,comdat
	.globl	_ZN9rocsparseL26bsric0_2_8_unrolled_kernelILi16ELi32ELi4EdEEv20rocsparse_direction_iiPKiS3_PT2_S3_PiS3_S6_21rocsparse_index_base_ ; -- Begin function _ZN9rocsparseL26bsric0_2_8_unrolled_kernelILi16ELi32ELi4EdEEv20rocsparse_direction_iiPKiS3_PT2_S3_PiS3_S6_21rocsparse_index_base_
	.p2align	8
	.type	_ZN9rocsparseL26bsric0_2_8_unrolled_kernelILi16ELi32ELi4EdEEv20rocsparse_direction_iiPKiS3_PT2_S3_PiS3_S6_21rocsparse_index_base_,@function
_ZN9rocsparseL26bsric0_2_8_unrolled_kernelILi16ELi32ELi4EdEEv20rocsparse_direction_iiPKiS3_PT2_S3_PiS3_S6_21rocsparse_index_base_: ; @_ZN9rocsparseL26bsric0_2_8_unrolled_kernelILi16ELi32ELi4EdEEv20rocsparse_direction_iiPKiS3_PT2_S3_PiS3_S6_21rocsparse_index_base_
; %bb.0:
	s_load_b256 s[4:11], s[0:1], 0x28
	s_mov_b32 s2, s15
	s_mov_b32 s3, 0
	v_and_b32_e32 v8, 0x3ff, v0
	s_lshl_b64 s[12:13], s[2:3], 2
	v_bfe_u32 v9, v0, 10, 10
	s_waitcnt lgkmcnt(0)
	s_add_u32 s8, s8, s12
	s_addc_u32 s9, s9, s13
	s_load_b32 s16, s[8:9], 0x0
	s_waitcnt lgkmcnt(0)
	s_ashr_i32 s17, s16, 31
	s_delay_alu instid0(SALU_CYCLE_1) | instskip(NEXT) | instid1(SALU_CYCLE_1)
	s_lshl_b64 s[8:9], s[16:17], 2
	s_add_u32 s12, s4, s8
	s_addc_u32 s13, s5, s9
	s_load_b32 s26, s[12:13], 0x0
	s_load_b32 s17, s[0:1], 0x48
	s_waitcnt lgkmcnt(0)
	s_cmp_lg_u32 s26, -1
	s_cbranch_scc0 .LBB24_6
; %bb.1:
	s_clause 0x1
	s_load_b128 s[12:15], s[0:1], 0x10
	s_load_b64 s[18:19], s[0:1], 0x20
	v_lshlrev_b32_e32 v14, 2, v9
	s_delay_alu instid0(VALU_DEP_1)
	v_add_nc_u32_e32 v13, v14, v8
	s_waitcnt lgkmcnt(0)
	s_add_u32 s2, s12, s8
	s_addc_u32 s3, s13, s9
	s_load_b32 s2, s[2:3], 0x0
	s_mov_b32 s3, exec_lo
	s_waitcnt lgkmcnt(0)
	s_sub_i32 s27, s2, s17
	s_delay_alu instid0(SALU_CYCLE_1) | instskip(NEXT) | instid1(VALU_DEP_1)
	v_add_nc_u32_e32 v0, s27, v13
	v_cmpx_ge_i32_e64 s26, v0
	s_cbranch_execz .LBB24_4
; %bb.2:
	v_ashrrev_i32_e32 v1, 31, v0
	v_lshlrev_b32_e32 v3, 4, v9
	v_lshlrev_b32_e32 v4, 2, v8
	s_mov_b32 s20, 0
	s_delay_alu instid0(VALU_DEP_3) | instskip(NEXT) | instid1(VALU_DEP_2)
	v_lshlrev_b64 v[1:2], 2, v[0:1]
	v_add3_u32 v3, v3, v4, 0x380
	s_delay_alu instid0(VALU_DEP_2) | instskip(NEXT) | instid1(VALU_DEP_3)
	v_add_co_u32 v1, vcc_lo, s14, v1
	v_add_co_ci_u32_e32 v2, vcc_lo, s15, v2, vcc_lo
.LBB24_3:                               ; =>This Inner Loop Header: Depth=1
	global_load_b32 v4, v[1:2], off
	v_add_nc_u32_e32 v0, 16, v0
	v_add_co_u32 v1, vcc_lo, v1, 64
	v_add_co_ci_u32_e32 v2, vcc_lo, 0, v2, vcc_lo
	s_delay_alu instid0(VALU_DEP_3) | instskip(NEXT) | instid1(VALU_DEP_1)
	v_cmp_lt_i32_e64 s2, s26, v0
	s_or_b32 s20, s2, s20
	s_waitcnt vmcnt(0)
	v_subrev_nc_u32_e32 v4, s17, v4
	ds_store_b32 v3, v4
	v_add_nc_u32_e32 v3, 64, v3
	s_and_not1_b32 exec_lo, exec_lo, s20
	s_cbranch_execnz .LBB24_3
.LBB24_4:
	s_or_b32 exec_lo, exec_lo, s3
	v_dual_mov_b32 v1, 0 :: v_dual_lshlrev_b32 v0, 3, v8
	s_mov_b32 s2, 0
	s_cmp_lt_i32 s27, s26
	s_delay_alu instid0(VALU_DEP_1) | instskip(NEXT) | instid1(VALU_DEP_2)
	v_mad_u32_u24 v12, v9, 40, v0
	v_mov_b32_e32 v2, v1
	ds_store_b64 v12, v[1:2] offset:480
	s_waitcnt lgkmcnt(0)
	buffer_gl0_inv
	s_cbranch_scc1 .LBB24_7
; %bb.5:
	v_lshl_add_u32 v15, v8, 2, v9
	v_or_b32_e32 v10, v8, v9
	s_load_b32 s1, s[0:1], 0x0
	v_add_nc_u32_e32 v11, 0x1e0, v12
	s_and_not1_b32 vcc_lo, exec_lo, s2
	s_cbranch_vccz .LBB24_8
	s_branch .LBB24_49
.LBB24_6:
	s_cbranch_execnz .LBB24_82
	s_branch .LBB24_87
.LBB24_7:
                                        ; implicit-def: $vgpr15
                                        ; implicit-def: $vgpr10
	s_load_b32 s1, s[0:1], 0x0
	v_add_nc_u32_e32 v11, 0x1e0, v12
.LBB24_8:
	v_dual_mov_b32 v23, 0 :: v_dual_lshlrev_b32 v16, 2, v8
	v_mad_u32_u24 v17, v9, 40, 0x140
	v_mad_u32_u24 v18, v9, 40, 0xa0
	v_or_b32_e32 v10, v8, v9
	s_delay_alu instid0(VALU_DEP_4)
	v_add_nc_u32_e32 v15, v16, v9
	s_waitcnt lgkmcnt(0)
	s_cmp_eq_u32 s1, 0
	v_mad_u32_u24 v21, v8, 40, 0x140
	s_cselect_b32 vcc_lo, -1, 0
	v_dual_cndmask_b32 v22, v15, v13 :: v_dual_add_nc_u32 v19, v17, v0
	v_add_nc_u32_e32 v20, v18, v0
	v_cmp_ne_u32_e64 s0, 0, v10
	s_cmp_lg_u32 s1, 0
	s_mov_b32 s2, s27
	s_cselect_b32 s28, -1, 0
	s_branch .LBB24_12
.LBB24_9:                               ;   in Loop: Header=BB24_12 Depth=1
	s_or_b32 exec_lo, exec_lo, s21
	v_mov_b32_e32 v4, 0
	v_mov_b32_e32 v5, 0x3ff00000
.LBB24_10:                              ;   in Loop: Header=BB24_12 Depth=1
	s_or_b32 exec_lo, exec_lo, s20
	ds_load_2addr_b64 v[24:27], v17 offset1:1
	ds_load_2addr_b64 v[28:31], v23 offset0:15 offset1:16
	ds_load_b64 v[6:7], v18 offset:24
	s_add_i32 s2, s2, 1
	s_delay_alu instid0(SALU_CYCLE_1) | instskip(SKIP_3) | instid1(VALU_DEP_1)
	s_cmp_ge_i32 s2, s26
	s_cselect_b32 s24, -1, 0
	s_waitcnt lgkmcnt(0)
	v_fma_f64 v[6:7], v[28:29], v[24:25], v[6:7]
	v_fma_f64 v[6:7], v[30:31], v[26:27], v[6:7]
	ds_load_b64 v[24:25], v17 offset:16
	ds_load_b64 v[26:27], v23 offset:136
	s_waitcnt lgkmcnt(0)
	v_fma_f64 v[6:7], v[26:27], v[24:25], v[6:7]
	s_delay_alu instid0(VALU_DEP_1) | instskip(NEXT) | instid1(VALU_DEP_1)
	v_add_f64 v[2:3], v[2:3], -v[6:7]
	v_div_scale_f64 v[6:7], null, v[4:5], v[4:5], v[2:3]
	v_div_scale_f64 v[28:29], vcc_lo, v[2:3], v[4:5], v[2:3]
	s_delay_alu instid0(VALU_DEP_2) | instskip(SKIP_2) | instid1(VALU_DEP_1)
	v_rcp_f64_e32 v[24:25], v[6:7]
	s_waitcnt_depctr 0xfff
	v_fma_f64 v[26:27], -v[6:7], v[24:25], 1.0
	v_fma_f64 v[24:25], v[24:25], v[26:27], v[24:25]
	s_delay_alu instid0(VALU_DEP_1) | instskip(NEXT) | instid1(VALU_DEP_1)
	v_fma_f64 v[26:27], -v[6:7], v[24:25], 1.0
	v_fma_f64 v[24:25], v[24:25], v[26:27], v[24:25]
	s_delay_alu instid0(VALU_DEP_1) | instskip(NEXT) | instid1(VALU_DEP_1)
	v_mul_f64 v[26:27], v[28:29], v[24:25]
	v_fma_f64 v[6:7], -v[6:7], v[26:27], v[28:29]
	s_delay_alu instid0(VALU_DEP_1) | instskip(NEXT) | instid1(VALU_DEP_1)
	v_div_fmas_f64 v[6:7], v[6:7], v[24:25], v[26:27]
	v_div_fixup_f64 v[2:3], v[6:7], v[4:5], v[2:3]
	ds_store_b64 v17, v[2:3] offset:24
	s_waitcnt lgkmcnt(0)
	s_waitcnt_vscnt null, 0x0
	buffer_gl0_inv
	ds_load_b64 v[4:5], v21 offset:24
	ds_load_b64 v[6:7], v11
	s_waitcnt lgkmcnt(0)
	v_fma_f64 v[2:3], v[2:3], v[4:5], v[6:7]
	ds_store_b64 v11, v[2:3]
	s_waitcnt lgkmcnt(0)
	buffer_gl0_inv
	ds_load_b64 v[2:3], v19
	s_waitcnt lgkmcnt(0)
	global_store_b64 v[0:1], v[2:3], off
	s_waitcnt_vscnt null, 0x0
	buffer_gl1_inv
	buffer_gl0_inv
.LBB24_11:                              ;   in Loop: Header=BB24_12 Depth=1
	s_and_b32 vcc_lo, exec_lo, s24
	s_cbranch_vccnz .LBB24_49
.LBB24_12:                              ; =>This Loop Header: Depth=1
                                        ;     Child Loop BB24_15 Depth 2
                                        ;     Child Loop BB24_26 Depth 2
	s_ashr_i32 s3, s2, 31
	s_delay_alu instid0(SALU_CYCLE_1) | instskip(NEXT) | instid1(SALU_CYCLE_1)
	s_lshl_b64 s[20:21], s[2:3], 2
	s_add_u32 s20, s14, s20
	s_addc_u32 s21, s15, s21
	s_load_b32 s3, s[20:21], 0x0
	s_waitcnt lgkmcnt(0)
	s_sub_i32 s22, s3, s17
	s_delay_alu instid0(SALU_CYCLE_1) | instskip(NEXT) | instid1(SALU_CYCLE_1)
	s_ashr_i32 s23, s22, 31
	s_lshl_b64 s[20:21], s[22:23], 2
	s_delay_alu instid0(SALU_CYCLE_1)
	s_add_u32 s24, s4, s20
	s_addc_u32 s25, s5, s21
	s_load_b32 s23, s[24:25], 0x0
	s_mov_b32 s24, -1
	s_waitcnt lgkmcnt(0)
	s_cmp_eq_u32 s23, -1
	s_cbranch_scc1 .LBB24_11
; %bb.13:                               ;   in Loop: Header=BB24_12 Depth=1
	v_lshl_add_u32 v0, s2, 4, v22
	s_add_u32 s24, s12, s20
	s_addc_u32 s25, s13, s21
	ds_load_b32 v4, v23 offset:896
	s_load_b32 s24, s[24:25], 0x0
	v_ashrrev_i32_e32 v1, 31, v0
	s_delay_alu instid0(VALU_DEP_1) | instskip(NEXT) | instid1(VALU_DEP_1)
	v_lshlrev_b64 v[0:1], 3, v[0:1]
	v_add_co_u32 v0, vcc_lo, s18, v0
	s_delay_alu instid0(VALU_DEP_2) | instskip(SKIP_4) | instid1(SALU_CYCLE_1)
	v_add_co_ci_u32_e32 v1, vcc_lo, s19, v1, vcc_lo
	s_waitcnt lgkmcnt(0)
	v_cmp_ge_i32_e32 vcc_lo, s22, v4
	global_load_b64 v[2:3], v[0:1], off
	s_sub_i32 s24, s24, s17
	s_cmp_le_i32 s24, s23
	s_cselect_b32 s25, -1, 0
	s_delay_alu instid0(SALU_CYCLE_1) | instskip(NEXT) | instid1(SALU_CYCLE_1)
	s_and_b32 s25, s25, vcc_lo
	s_and_not1_b32 vcc_lo, exec_lo, s25
	s_mov_b32 s25, 0
	s_waitcnt vmcnt(0)
	ds_store_b64 v19, v[2:3]
	s_cbranch_vccnz .LBB24_25
; %bb.14:                               ;   in Loop: Header=BB24_12 Depth=1
	s_mov_b32 s29, 0
	s_mov_b32 s30, 0
.LBB24_15:                              ;   Parent Loop BB24_12 Depth=1
                                        ; =>  This Inner Loop Header: Depth=2
	s_ashr_i32 s25, s24, 31
                                        ; implicit-def: $sgpr33
	s_delay_alu instid0(SALU_CYCLE_1) | instskip(NEXT) | instid1(SALU_CYCLE_1)
	s_lshl_b64 s[34:35], s[24:25], 2
	s_add_u32 s34, s14, s34
	s_addc_u32 s35, s15, s35
	s_lshl_b32 s25, s30, 2
	s_delay_alu instid0(SALU_CYCLE_1)
	v_mov_b32_e32 v2, s25
	s_load_b32 s25, s[34:35], 0x0
	s_mov_b32 s35, -1
                                        ; implicit-def: $sgpr34
	ds_load_b32 v2, v2 offset:896
	s_waitcnt lgkmcnt(0)
	s_sub_i32 s36, s25, s17
                                        ; implicit-def: $sgpr25
	s_delay_alu instid0(SALU_CYCLE_1)
	v_cmp_ge_i32_e32 vcc_lo, s36, v2
	v_readfirstlane_b32 s31, v2
	s_cbranch_vccz .LBB24_21
; %bb.16:                               ;   in Loop: Header=BB24_15 Depth=2
	s_delay_alu instid0(VALU_DEP_1)
	s_cmp_le_i32 s36, s31
                                        ; implicit-def: $sgpr25
                                        ; implicit-def: $sgpr34
                                        ; implicit-def: $sgpr33
	s_cbranch_scc0 .LBB24_18
; %bb.17:                               ;   in Loop: Header=BB24_15 Depth=2
	s_add_i32 s25, s30, s27
	s_lshl_b32 s33, s29, 2
	s_lshl_b32 s25, s25, 4
	s_delay_alu instid0(SALU_CYCLE_1)
	v_dual_mov_b32 v2, s33 :: v_dual_mov_b32 v3, s25
	s_lshl_b32 s33, s24, 4
	s_add_i32 s34, s24, 1
	v_mov_b32_e32 v4, s33
	s_add_i32 s33, s30, 1
	s_add_i32 s25, s29, 1
	s_mov_b32 s35, 0
	ds_store_2addr_b32 v2, v4, v3 offset0:160 offset1:192
.LBB24_18:                              ;   in Loop: Header=BB24_15 Depth=2
	s_and_not1_b32 vcc_lo, exec_lo, s35
	s_cbranch_vccnz .LBB24_20
; %bb.19:                               ;   in Loop: Header=BB24_15 Depth=2
	s_add_i32 s33, s30, 1
	s_mov_b32 s25, s29
	s_mov_b32 s34, s24
.LBB24_20:                              ;   in Loop: Header=BB24_15 Depth=2
	s_mov_b32 s35, 0
.LBB24_21:                              ;   in Loop: Header=BB24_15 Depth=2
	s_delay_alu instid0(SALU_CYCLE_1)
	s_and_not1_b32 vcc_lo, exec_lo, s35
	s_cbranch_vccnz .LBB24_23
; %bb.22:                               ;   in Loop: Header=BB24_15 Depth=2
	s_add_i32 s34, s24, 1
	s_mov_b32 s33, s30
	s_mov_b32 s25, s29
.LBB24_23:                              ;   in Loop: Header=BB24_15 Depth=2
	s_cmp_le_i32 s34, s23
	s_cselect_b32 s24, -1, 0
	s_cmp_le_i32 s31, s22
	s_cselect_b32 s29, -1, 0
	s_delay_alu instid0(SALU_CYCLE_1) | instskip(NEXT) | instid1(SALU_CYCLE_1)
	s_and_b32 s24, s24, s29
	s_and_b32 vcc_lo, exec_lo, s24
	s_cbranch_vccz .LBB24_25
; %bb.24:                               ;   in Loop: Header=BB24_15 Depth=2
	s_mov_b32 s29, s25
	s_mov_b32 s24, s34
	;; [unrolled: 1-line block ×3, first 2 shown]
	s_branch .LBB24_15
.LBB24_25:                              ;   in Loop: Header=BB24_12 Depth=1
	s_add_u32 s20, s6, s20
	s_addc_u32 s21, s7, s21
	s_waitcnt lgkmcnt(0)
	buffer_gl0_inv
.LBB24_26:                              ;   Parent Loop BB24_12 Depth=1
                                        ; =>  This Inner Loop Header: Depth=2
	global_load_b32 v2, v23, s[20:21] glc
	s_waitcnt vmcnt(0)
	v_cmp_eq_u32_e32 vcc_lo, 0, v2
	s_cbranch_vccnz .LBB24_26
; %bb.27:                               ;   in Loop: Header=BB24_12 Depth=1
	v_lshl_add_u32 v2, s23, 4, v22
	buffer_gl1_inv
	buffer_gl0_inv
	v_mov_b32_e32 v6, 0
	v_mov_b32_e32 v7, 0
	s_cmp_lt_i32 s25, 2
	v_ashrrev_i32_e32 v3, 31, v2
	s_delay_alu instid0(VALU_DEP_1) | instskip(NEXT) | instid1(VALU_DEP_1)
	v_lshlrev_b64 v[2:3], 3, v[2:3]
	v_add_co_u32 v2, vcc_lo, s18, v2
	s_delay_alu instid0(VALU_DEP_2)
	v_add_co_ci_u32_e32 v3, vcc_lo, s19, v3, vcc_lo
	global_load_b64 v[2:3], v[2:3], off
	s_waitcnt vmcnt(0)
	ds_store_b64 v12, v[2:3]
	s_waitcnt lgkmcnt(0)
	buffer_gl0_inv
	s_cbranch_scc1 .LBB24_34
; %bb.28:                               ;   in Loop: Header=BB24_12 Depth=1
	v_mov_b32_e32 v2, 0
	v_mov_b32_e32 v3, 0
	s_add_i32 s20, s25, -1
	s_movk_i32 s21, 0x280
	s_delay_alu instid0(SALU_CYCLE_1)
	v_mov_b32_e32 v4, s21
	s_and_b32 vcc_lo, exec_lo, s28
	ds_load_2addr_b32 v[4:5], v4 offset1:32
	s_cbranch_vccz .LBB24_30
.LBB24_29:                              ;   in Loop: Header=BB24_12 Depth=1
	s_waitcnt lgkmcnt(0)
	v_add_nc_u32_e32 v6, v4, v8
	v_add_nc_u32_e32 v24, v5, v9
	s_delay_alu instid0(VALU_DEP_2) | instskip(NEXT) | instid1(VALU_DEP_2)
	v_ashrrev_i32_e32 v7, 31, v6
	v_ashrrev_i32_e32 v25, 31, v24
	v_add_nc_u32_e32 v31, 4, v24
	v_add_nc_u32_e32 v33, 8, v6
	v_add_nc_u32_e32 v35, 8, v24
	v_lshlrev_b64 v[26:27], 3, v[6:7]
	v_lshlrev_b64 v[28:29], 3, v[24:25]
	v_ashrrev_i32_e32 v32, 31, v31
	v_ashrrev_i32_e32 v34, 31, v33
	;; [unrolled: 1-line block ×3, first 2 shown]
	v_add_nc_u32_e32 v37, 12, v24
	v_add_co_u32 v25, vcc_lo, s18, v26
	v_add_co_ci_u32_e32 v26, vcc_lo, s19, v27, vcc_lo
	v_add_co_u32 v27, vcc_lo, s18, v28
	v_add_co_ci_u32_e32 v28, vcc_lo, s19, v29, vcc_lo
	v_add_nc_u32_e32 v29, 4, v6
	s_clause 0x1
	global_load_b64 v[25:26], v[25:26], off
	global_load_b64 v[27:28], v[27:28], off
	v_lshlrev_b64 v[31:32], 3, v[31:32]
	v_lshlrev_b64 v[33:34], 3, v[33:34]
	v_ashrrev_i32_e32 v30, 31, v29
	v_lshlrev_b64 v[35:36], 3, v[35:36]
	v_add_nc_u32_e32 v6, 12, v6
	v_ashrrev_i32_e32 v38, 31, v37
	s_delay_alu instid0(VALU_DEP_4) | instskip(NEXT) | instid1(VALU_DEP_3)
	v_lshlrev_b64 v[29:30], 3, v[29:30]
	v_ashrrev_i32_e32 v7, 31, v6
	s_delay_alu instid0(VALU_DEP_3) | instskip(NEXT) | instid1(VALU_DEP_3)
	v_lshlrev_b64 v[37:38], 3, v[37:38]
	v_add_co_u32 v29, vcc_lo, s18, v29
	s_delay_alu instid0(VALU_DEP_4)
	v_add_co_ci_u32_e32 v30, vcc_lo, s19, v30, vcc_lo
	v_add_co_u32 v31, vcc_lo, s18, v31
	v_add_co_ci_u32_e32 v32, vcc_lo, s19, v32, vcc_lo
	s_clause 0x1
	global_load_b64 v[29:30], v[29:30], off
	global_load_b64 v[31:32], v[31:32], off
	v_add_co_u32 v33, vcc_lo, s18, v33
	v_add_co_ci_u32_e32 v34, vcc_lo, s19, v34, vcc_lo
	v_add_co_u32 v35, vcc_lo, s18, v35
	v_add_co_ci_u32_e32 v36, vcc_lo, s19, v36, vcc_lo
	s_clause 0x1
	global_load_b64 v[33:34], v[33:34], off
	global_load_b64 v[35:36], v[35:36], off
	v_lshlrev_b64 v[6:7], 3, v[6:7]
	s_delay_alu instid0(VALU_DEP_1) | instskip(NEXT) | instid1(VALU_DEP_2)
	v_add_co_u32 v6, vcc_lo, s18, v6
	v_add_co_ci_u32_e32 v7, vcc_lo, s19, v7, vcc_lo
	v_add_co_u32 v37, vcc_lo, s18, v37
	v_add_co_ci_u32_e32 v38, vcc_lo, s19, v38, vcc_lo
	s_clause 0x1
	global_load_b64 v[6:7], v[6:7], off
	global_load_b64 v[37:38], v[37:38], off
	s_waitcnt vmcnt(6)
	v_fma_f64 v[24:25], v[25:26], v[27:28], v[2:3]
	s_waitcnt vmcnt(4)
	s_delay_alu instid0(VALU_DEP_1) | instskip(SKIP_1) | instid1(VALU_DEP_1)
	v_fma_f64 v[24:25], v[29:30], v[31:32], v[24:25]
	s_waitcnt vmcnt(2)
	v_fma_f64 v[24:25], v[33:34], v[35:36], v[24:25]
	s_waitcnt vmcnt(0)
	s_delay_alu instid0(VALU_DEP_1)
	v_fma_f64 v[6:7], v[6:7], v[37:38], v[24:25]
	s_cbranch_execz .LBB24_31
	s_branch .LBB24_32
.LBB24_30:                              ;   in Loop: Header=BB24_12 Depth=1
                                        ; implicit-def: $vgpr6_vgpr7
.LBB24_31:                              ;   in Loop: Header=BB24_12 Depth=1
	s_waitcnt lgkmcnt(0)
	v_add_nc_u32_e32 v4, v4, v16
	v_add_nc_u32_e32 v6, v5, v14
	s_delay_alu instid0(VALU_DEP_2) | instskip(NEXT) | instid1(VALU_DEP_2)
	v_ashrrev_i32_e32 v5, 31, v4
	v_ashrrev_i32_e32 v7, 31, v6
	s_delay_alu instid0(VALU_DEP_2) | instskip(NEXT) | instid1(VALU_DEP_2)
	v_lshlrev_b64 v[4:5], 3, v[4:5]
	v_lshlrev_b64 v[6:7], 3, v[6:7]
	s_delay_alu instid0(VALU_DEP_2) | instskip(NEXT) | instid1(VALU_DEP_3)
	v_add_co_u32 v28, vcc_lo, s18, v4
	v_add_co_ci_u32_e32 v29, vcc_lo, s19, v5, vcc_lo
	s_delay_alu instid0(VALU_DEP_3) | instskip(NEXT) | instid1(VALU_DEP_4)
	v_add_co_u32 v32, vcc_lo, s18, v6
	v_add_co_ci_u32_e32 v33, vcc_lo, s19, v7, vcc_lo
	s_clause 0x3
	global_load_b128 v[4:7], v[28:29], off
	global_load_b128 v[24:27], v[32:33], off
	global_load_b128 v[28:31], v[28:29], off offset:16
	global_load_b128 v[32:35], v[32:33], off offset:16
	s_waitcnt vmcnt(2)
	v_fma_f64 v[2:3], v[4:5], v[24:25], v[2:3]
	s_delay_alu instid0(VALU_DEP_1) | instskip(SKIP_1) | instid1(VALU_DEP_1)
	v_fma_f64 v[2:3], v[6:7], v[26:27], v[2:3]
	s_waitcnt vmcnt(0)
	v_fma_f64 v[2:3], v[28:29], v[32:33], v[2:3]
	s_delay_alu instid0(VALU_DEP_1)
	v_fma_f64 v[6:7], v[30:31], v[34:35], v[2:3]
.LBB24_32:                              ;   in Loop: Header=BB24_12 Depth=1
	s_add_i32 s20, s20, -1
	s_add_i32 s21, s21, 4
	s_cmp_eq_u32 s20, 0
	s_cbranch_scc1 .LBB24_34
; %bb.33:                               ;   in Loop: Header=BB24_12 Depth=1
	s_delay_alu instid0(VALU_DEP_1)
	v_dual_mov_b32 v2, v6 :: v_dual_mov_b32 v3, v7
	s_waitcnt lgkmcnt(0)
	v_mov_b32_e32 v4, s21
	s_and_b32 vcc_lo, exec_lo, s28
	ds_load_2addr_b32 v[4:5], v4 offset1:32
	s_cbranch_vccz .LBB24_30
	s_branch .LBB24_29
.LBB24_34:                              ;   in Loop: Header=BB24_12 Depth=1
	ds_store_b64 v20, v[6:7]
	s_waitcnt lgkmcnt(0)
	buffer_gl0_inv
	ds_load_b64 v[4:5], v23
	ds_load_b64 v[2:3], v17
	s_waitcnt lgkmcnt(1)
	v_cmp_neq_f64_e32 vcc_lo, 0, v[4:5]
	v_cndmask_b32_e32 v5, 0x3ff00000, v5, vcc_lo
	v_cndmask_b32_e32 v4, 0, v4, vcc_lo
	s_or_b32 s20, vcc_lo, s0
	s_delay_alu instid0(SALU_CYCLE_1) | instskip(NEXT) | instid1(SALU_CYCLE_1)
	s_xor_b32 s21, s20, -1
	s_and_saveexec_b32 s20, s21
	s_cbranch_execz .LBB24_38
; %bb.35:                               ;   in Loop: Header=BB24_12 Depth=1
	v_mbcnt_lo_u32_b32 v4, exec_lo, 0
	s_mov_b32 s21, exec_lo
	s_delay_alu instid0(VALU_DEP_1)
	v_cmpx_eq_u32_e32 0, v4
	s_cbranch_execz .LBB24_37
; %bb.36:                               ;   in Loop: Header=BB24_12 Depth=1
	v_mov_b32_e32 v4, s3
	global_atomic_min_i32 v23, v4, s[10:11]
.LBB24_37:                              ;   in Loop: Header=BB24_12 Depth=1
	s_or_b32 exec_lo, exec_lo, s21
	v_mov_b32_e32 v4, 0
	v_mov_b32_e32 v5, 0x3ff00000
.LBB24_38:                              ;   in Loop: Header=BB24_12 Depth=1
	s_or_b32 exec_lo, exec_lo, s20
	ds_load_b64 v[6:7], v18
	s_waitcnt lgkmcnt(0)
	v_add_f64 v[2:3], v[2:3], -v[6:7]
	s_delay_alu instid0(VALU_DEP_1) | instskip(SKIP_1) | instid1(VALU_DEP_2)
	v_div_scale_f64 v[6:7], null, v[4:5], v[4:5], v[2:3]
	v_div_scale_f64 v[28:29], vcc_lo, v[2:3], v[4:5], v[2:3]
	v_rcp_f64_e32 v[24:25], v[6:7]
	s_waitcnt_depctr 0xfff
	v_fma_f64 v[26:27], -v[6:7], v[24:25], 1.0
	s_delay_alu instid0(VALU_DEP_1) | instskip(NEXT) | instid1(VALU_DEP_1)
	v_fma_f64 v[24:25], v[24:25], v[26:27], v[24:25]
	v_fma_f64 v[26:27], -v[6:7], v[24:25], 1.0
	s_delay_alu instid0(VALU_DEP_1) | instskip(NEXT) | instid1(VALU_DEP_1)
	v_fma_f64 v[24:25], v[24:25], v[26:27], v[24:25]
	v_mul_f64 v[26:27], v[28:29], v[24:25]
	s_delay_alu instid0(VALU_DEP_1) | instskip(NEXT) | instid1(VALU_DEP_1)
	v_fma_f64 v[6:7], -v[6:7], v[26:27], v[28:29]
	v_div_fmas_f64 v[6:7], v[6:7], v[24:25], v[26:27]
	s_delay_alu instid0(VALU_DEP_1)
	v_div_fixup_f64 v[2:3], v[6:7], v[4:5], v[2:3]
	ds_store_b64 v17, v[2:3]
	s_waitcnt lgkmcnt(0)
	s_waitcnt_vscnt null, 0x0
	buffer_gl0_inv
	ds_load_b64 v[4:5], v21
	ds_load_b64 v[6:7], v11
	s_waitcnt lgkmcnt(0)
	v_fma_f64 v[2:3], v[2:3], v[4:5], v[6:7]
	ds_store_b64 v11, v[2:3]
	s_waitcnt lgkmcnt(0)
	buffer_gl0_inv
	ds_load_b64 v[4:5], v23 offset:48
	ds_load_b64 v[2:3], v17 offset:8
	s_waitcnt lgkmcnt(1)
	v_cmp_neq_f64_e32 vcc_lo, 0, v[4:5]
	v_cndmask_b32_e32 v5, 0x3ff00000, v5, vcc_lo
	v_cndmask_b32_e32 v4, 0, v4, vcc_lo
	s_or_b32 s20, vcc_lo, s0
	s_delay_alu instid0(SALU_CYCLE_1) | instskip(NEXT) | instid1(SALU_CYCLE_1)
	s_xor_b32 s21, s20, -1
	s_and_saveexec_b32 s20, s21
	s_cbranch_execz .LBB24_42
; %bb.39:                               ;   in Loop: Header=BB24_12 Depth=1
	v_mbcnt_lo_u32_b32 v4, exec_lo, 0
	s_mov_b32 s21, exec_lo
	s_delay_alu instid0(VALU_DEP_1)
	v_cmpx_eq_u32_e32 0, v4
	s_cbranch_execz .LBB24_41
; %bb.40:                               ;   in Loop: Header=BB24_12 Depth=1
	v_mov_b32_e32 v4, s3
	global_atomic_min_i32 v23, v4, s[10:11]
.LBB24_41:                              ;   in Loop: Header=BB24_12 Depth=1
	s_or_b32 exec_lo, exec_lo, s21
	v_mov_b32_e32 v4, 0
	v_mov_b32_e32 v5, 0x3ff00000
.LBB24_42:                              ;   in Loop: Header=BB24_12 Depth=1
	s_or_b32 exec_lo, exec_lo, s20
	ds_load_b64 v[6:7], v17
	ds_load_b64 v[24:25], v23 offset:40
	ds_load_b64 v[26:27], v18 offset:8
	s_waitcnt lgkmcnt(0)
	v_fma_f64 v[6:7], v[24:25], v[6:7], v[26:27]
	s_delay_alu instid0(VALU_DEP_1) | instskip(NEXT) | instid1(VALU_DEP_1)
	v_add_f64 v[2:3], v[2:3], -v[6:7]
	v_div_scale_f64 v[6:7], null, v[4:5], v[4:5], v[2:3]
	v_div_scale_f64 v[28:29], vcc_lo, v[2:3], v[4:5], v[2:3]
	s_delay_alu instid0(VALU_DEP_2) | instskip(SKIP_2) | instid1(VALU_DEP_1)
	v_rcp_f64_e32 v[24:25], v[6:7]
	s_waitcnt_depctr 0xfff
	v_fma_f64 v[26:27], -v[6:7], v[24:25], 1.0
	v_fma_f64 v[24:25], v[24:25], v[26:27], v[24:25]
	s_delay_alu instid0(VALU_DEP_1) | instskip(NEXT) | instid1(VALU_DEP_1)
	v_fma_f64 v[26:27], -v[6:7], v[24:25], 1.0
	v_fma_f64 v[24:25], v[24:25], v[26:27], v[24:25]
	s_delay_alu instid0(VALU_DEP_1) | instskip(NEXT) | instid1(VALU_DEP_1)
	v_mul_f64 v[26:27], v[28:29], v[24:25]
	v_fma_f64 v[6:7], -v[6:7], v[26:27], v[28:29]
	s_delay_alu instid0(VALU_DEP_1) | instskip(NEXT) | instid1(VALU_DEP_1)
	v_div_fmas_f64 v[6:7], v[6:7], v[24:25], v[26:27]
	v_div_fixup_f64 v[2:3], v[6:7], v[4:5], v[2:3]
	ds_store_b64 v17, v[2:3] offset:8
	s_waitcnt lgkmcnt(0)
	s_waitcnt_vscnt null, 0x0
	buffer_gl0_inv
	ds_load_b64 v[4:5], v21 offset:8
	ds_load_b64 v[6:7], v11
	s_waitcnt lgkmcnt(0)
	v_fma_f64 v[2:3], v[2:3], v[4:5], v[6:7]
	ds_store_b64 v11, v[2:3]
	s_waitcnt lgkmcnt(0)
	buffer_gl0_inv
	ds_load_b64 v[4:5], v23 offset:96
	ds_load_b64 v[2:3], v17 offset:16
	s_waitcnt lgkmcnt(1)
	v_cmp_neq_f64_e32 vcc_lo, 0, v[4:5]
	v_cndmask_b32_e32 v5, 0x3ff00000, v5, vcc_lo
	v_cndmask_b32_e32 v4, 0, v4, vcc_lo
	s_or_b32 s20, vcc_lo, s0
	s_delay_alu instid0(SALU_CYCLE_1) | instskip(NEXT) | instid1(SALU_CYCLE_1)
	s_xor_b32 s21, s20, -1
	s_and_saveexec_b32 s20, s21
	s_cbranch_execz .LBB24_46
; %bb.43:                               ;   in Loop: Header=BB24_12 Depth=1
	v_mbcnt_lo_u32_b32 v4, exec_lo, 0
	s_mov_b32 s21, exec_lo
	s_delay_alu instid0(VALU_DEP_1)
	v_cmpx_eq_u32_e32 0, v4
	s_cbranch_execz .LBB24_45
; %bb.44:                               ;   in Loop: Header=BB24_12 Depth=1
	v_mov_b32_e32 v4, s3
	global_atomic_min_i32 v23, v4, s[10:11]
.LBB24_45:                              ;   in Loop: Header=BB24_12 Depth=1
	s_or_b32 exec_lo, exec_lo, s21
	v_mov_b32_e32 v4, 0
	v_mov_b32_e32 v5, 0x3ff00000
.LBB24_46:                              ;   in Loop: Header=BB24_12 Depth=1
	s_or_b32 exec_lo, exec_lo, s20
	ds_load_b128 v[24:27], v23 offset:80
	ds_load_2addr_b64 v[28:31], v17 offset1:1
	ds_load_b64 v[6:7], v18 offset:16
	s_waitcnt lgkmcnt(0)
	v_fma_f64 v[6:7], v[24:25], v[28:29], v[6:7]
	s_delay_alu instid0(VALU_DEP_1) | instskip(NEXT) | instid1(VALU_DEP_1)
	v_fma_f64 v[6:7], v[26:27], v[30:31], v[6:7]
	v_add_f64 v[2:3], v[2:3], -v[6:7]
	s_delay_alu instid0(VALU_DEP_1) | instskip(SKIP_1) | instid1(VALU_DEP_2)
	v_div_scale_f64 v[6:7], null, v[4:5], v[4:5], v[2:3]
	v_div_scale_f64 v[28:29], vcc_lo, v[2:3], v[4:5], v[2:3]
	v_rcp_f64_e32 v[24:25], v[6:7]
	s_waitcnt_depctr 0xfff
	v_fma_f64 v[26:27], -v[6:7], v[24:25], 1.0
	s_delay_alu instid0(VALU_DEP_1) | instskip(NEXT) | instid1(VALU_DEP_1)
	v_fma_f64 v[24:25], v[24:25], v[26:27], v[24:25]
	v_fma_f64 v[26:27], -v[6:7], v[24:25], 1.0
	s_delay_alu instid0(VALU_DEP_1) | instskip(NEXT) | instid1(VALU_DEP_1)
	v_fma_f64 v[24:25], v[24:25], v[26:27], v[24:25]
	v_mul_f64 v[26:27], v[28:29], v[24:25]
	s_delay_alu instid0(VALU_DEP_1) | instskip(NEXT) | instid1(VALU_DEP_1)
	v_fma_f64 v[6:7], -v[6:7], v[26:27], v[28:29]
	v_div_fmas_f64 v[6:7], v[6:7], v[24:25], v[26:27]
	s_delay_alu instid0(VALU_DEP_1)
	v_div_fixup_f64 v[2:3], v[6:7], v[4:5], v[2:3]
	ds_store_b64 v17, v[2:3] offset:16
	s_waitcnt lgkmcnt(0)
	s_waitcnt_vscnt null, 0x0
	buffer_gl0_inv
	ds_load_b64 v[4:5], v21 offset:16
	ds_load_b64 v[6:7], v11
	s_waitcnt lgkmcnt(0)
	v_fma_f64 v[2:3], v[2:3], v[4:5], v[6:7]
	ds_store_b64 v11, v[2:3]
	s_waitcnt lgkmcnt(0)
	buffer_gl0_inv
	ds_load_b64 v[4:5], v23 offset:144
	ds_load_b64 v[2:3], v17 offset:24
	s_waitcnt lgkmcnt(1)
	v_cmp_neq_f64_e32 vcc_lo, 0, v[4:5]
	v_cndmask_b32_e32 v5, 0x3ff00000, v5, vcc_lo
	v_cndmask_b32_e32 v4, 0, v4, vcc_lo
	s_or_b32 s20, vcc_lo, s0
	s_delay_alu instid0(SALU_CYCLE_1) | instskip(NEXT) | instid1(SALU_CYCLE_1)
	s_xor_b32 s21, s20, -1
	s_and_saveexec_b32 s20, s21
	s_cbranch_execz .LBB24_10
; %bb.47:                               ;   in Loop: Header=BB24_12 Depth=1
	v_mbcnt_lo_u32_b32 v4, exec_lo, 0
	s_mov_b32 s21, exec_lo
	s_delay_alu instid0(VALU_DEP_1)
	v_cmpx_eq_u32_e32 0, v4
	s_cbranch_execz .LBB24_9
; %bb.48:                               ;   in Loop: Header=BB24_12 Depth=1
	v_mov_b32_e32 v4, s3
	global_atomic_min_i32 v23, v4, s[10:11]
	s_branch .LBB24_9
.LBB24_49:
	s_waitcnt lgkmcnt(0)
	s_cmp_eq_u32 s1, 0
	s_mov_b32 s1, exec_lo
	s_cselect_b32 vcc_lo, -1, 0
	v_cndmask_b32_e32 v0, v15, v13, vcc_lo
	s_delay_alu instid0(VALU_DEP_1) | instskip(NEXT) | instid1(VALU_DEP_1)
	v_lshl_add_u32 v0, s26, 4, v0
	v_ashrrev_i32_e32 v1, 31, v0
	s_delay_alu instid0(VALU_DEP_1) | instskip(NEXT) | instid1(VALU_DEP_1)
	v_lshlrev_b64 v[0:1], 3, v[0:1]
	v_add_co_u32 v0, vcc_lo, s18, v0
	s_delay_alu instid0(VALU_DEP_2)
	v_add_co_ci_u32_e32 v1, vcc_lo, s19, v1, vcc_lo
	v_cmp_ne_u32_e32 vcc_lo, 0, v9
	global_load_b64 v[2:3], v[0:1], off
	s_waitcnt vmcnt(0)
	ds_store_b64 v12, v[2:3] offset:320
	s_waitcnt lgkmcnt(0)
	buffer_gl0_inv
	v_cmpx_eq_u32_e32 0, v9
	s_cbranch_execz .LBB24_51
; %bb.50:
	v_mov_b32_e32 v15, 0
	ds_load_2addr_b64 v[2:5], v15 offset0:40 offset1:60
	s_waitcnt lgkmcnt(0)
	v_add_f64 v[2:3], v[2:3], -v[4:5]
	s_delay_alu instid0(VALU_DEP_1) | instskip(SKIP_1) | instid1(VALU_DEP_1)
	v_cmp_gt_f64_e64 s0, 0, v[2:3]
	v_xor_b32_e32 v4, 0x80000000, v3
	v_cndmask_b32_e64 v3, v3, v4, s0
	v_cndmask_b32_e64 v2, v2, v2, s0
	s_delay_alu instid0(VALU_DEP_1) | instskip(NEXT) | instid1(VALU_DEP_1)
	v_cmp_gt_f64_e64 s0, 0x10000000, v[2:3]
	v_cndmask_b32_e64 v4, 0, 1, s0
	s_and_b32 s0, s0, exec_lo
	s_cselect_b32 s0, 0xffffff80, 0
	s_delay_alu instid0(VALU_DEP_1) | instskip(NEXT) | instid1(VALU_DEP_1)
	v_lshlrev_b32_e32 v4, 8, v4
	v_ldexp_f64 v[2:3], v[2:3], v4
	s_delay_alu instid0(VALU_DEP_1) | instskip(SKIP_3) | instid1(VALU_DEP_1)
	v_rsq_f64_e32 v[4:5], v[2:3]
	s_waitcnt_depctr 0xfff
	v_mul_f64 v[6:7], v[2:3], v[4:5]
	v_mul_f64 v[4:5], v[4:5], 0.5
	v_fma_f64 v[13:14], -v[4:5], v[6:7], 0.5
	s_delay_alu instid0(VALU_DEP_1) | instskip(SKIP_1) | instid1(VALU_DEP_2)
	v_fma_f64 v[6:7], v[6:7], v[13:14], v[6:7]
	v_fma_f64 v[4:5], v[4:5], v[13:14], v[4:5]
	v_fma_f64 v[13:14], -v[6:7], v[6:7], v[2:3]
	s_delay_alu instid0(VALU_DEP_1) | instskip(NEXT) | instid1(VALU_DEP_1)
	v_fma_f64 v[6:7], v[13:14], v[4:5], v[6:7]
	v_fma_f64 v[13:14], -v[6:7], v[6:7], v[2:3]
	s_delay_alu instid0(VALU_DEP_1) | instskip(NEXT) | instid1(VALU_DEP_1)
	v_fma_f64 v[4:5], v[13:14], v[4:5], v[6:7]
	v_ldexp_f64 v[4:5], v[4:5], s0
	v_cmp_class_f64_e64 s0, v[2:3], 0x260
	s_delay_alu instid0(VALU_DEP_1) | instskip(NEXT) | instid1(VALU_DEP_3)
	v_cndmask_b32_e64 v3, v5, v3, s0
	v_cndmask_b32_e64 v2, v4, v2, s0
	ds_store_b64 v15, v[2:3] offset:320
.LBB24_51:
	s_or_b32 exec_lo, exec_lo, s1
	v_mov_b32_e32 v2, 0
	s_waitcnt lgkmcnt(0)
	buffer_gl0_inv
	v_cmp_ne_u32_e64 s0, 0, v10
	s_add_i32 s2, s16, s17
	ds_load_b64 v[2:3], v2 offset:320
	s_waitcnt lgkmcnt(0)
	v_cmp_neq_f64_e64 s1, 0, v[2:3]
	s_delay_alu instid0(VALU_DEP_1) | instskip(SKIP_2) | instid1(SALU_CYCLE_1)
	v_cndmask_b32_e64 v3, 0x3ff00000, v3, s1
	v_cndmask_b32_e64 v2, 0, v2, s1
	s_or_b32 s1, s1, s0
	s_xor_b32 s1, s1, -1
	s_delay_alu instid0(SALU_CYCLE_1)
	s_and_saveexec_b32 s3, s1
	s_cbranch_execz .LBB24_55
; %bb.52:
	v_mbcnt_lo_u32_b32 v2, exec_lo, 0
	s_mov_b32 s4, exec_lo
	s_delay_alu instid0(VALU_DEP_1)
	v_cmpx_eq_u32_e32 0, v2
	s_cbranch_execz .LBB24_54
; %bb.53:
	v_dual_mov_b32 v2, 0 :: v_dual_mov_b32 v3, s2
	global_atomic_min_i32 v2, v3, s[10:11]
.LBB24_54:
	s_or_b32 exec_lo, exec_lo, s4
	v_mov_b32_e32 v2, 0
	v_mov_b32_e32 v3, 0x3ff00000
.LBB24_55:
	s_or_b32 exec_lo, exec_lo, s3
	s_and_saveexec_b32 s1, vcc_lo
	s_cbranch_execz .LBB24_57
; %bb.56:
	v_mul_u32_u24_e32 v19, 40, v9
	ds_load_2addr_b64 v[4:7], v19 offset0:40 offset1:60
	s_waitcnt lgkmcnt(0)
	v_add_f64 v[4:5], v[4:5], -v[6:7]
	s_delay_alu instid0(VALU_DEP_1) | instskip(SKIP_1) | instid1(VALU_DEP_2)
	v_div_scale_f64 v[6:7], null, v[2:3], v[2:3], v[4:5]
	v_div_scale_f64 v[17:18], vcc_lo, v[4:5], v[2:3], v[4:5]
	v_rcp_f64_e32 v[13:14], v[6:7]
	s_waitcnt_depctr 0xfff
	v_fma_f64 v[15:16], -v[6:7], v[13:14], 1.0
	s_delay_alu instid0(VALU_DEP_1) | instskip(NEXT) | instid1(VALU_DEP_1)
	v_fma_f64 v[13:14], v[13:14], v[15:16], v[13:14]
	v_fma_f64 v[15:16], -v[6:7], v[13:14], 1.0
	s_delay_alu instid0(VALU_DEP_1) | instskip(NEXT) | instid1(VALU_DEP_1)
	v_fma_f64 v[13:14], v[13:14], v[15:16], v[13:14]
	v_mul_f64 v[15:16], v[17:18], v[13:14]
	s_delay_alu instid0(VALU_DEP_1) | instskip(NEXT) | instid1(VALU_DEP_1)
	v_fma_f64 v[6:7], -v[6:7], v[15:16], v[17:18]
	v_div_fmas_f64 v[6:7], v[6:7], v[13:14], v[15:16]
	s_delay_alu instid0(VALU_DEP_1)
	v_div_fixup_f64 v[2:3], v[6:7], v[2:3], v[4:5]
	v_mul_u32_u24_e32 v4, 40, v8
	ds_store_b64 v19, v[2:3] offset:320
	s_waitcnt lgkmcnt(0)
	s_waitcnt_vscnt null, 0x0
	buffer_gl0_inv
	ds_load_b64 v[4:5], v4 offset:320
	ds_load_b64 v[6:7], v11
	s_waitcnt lgkmcnt(0)
	v_fma_f64 v[2:3], v[2:3], v[4:5], v[6:7]
	ds_store_b64 v11, v[2:3]
.LBB24_57:
	s_or_b32 exec_lo, exec_lo, s1
	s_delay_alu instid0(SALU_CYCLE_1)
	s_mov_b32 s1, exec_lo
	s_waitcnt lgkmcnt(0)
	s_waitcnt_vscnt null, 0x0
	buffer_gl0_inv
	v_cmpx_eq_u32_e32 1, v9
	s_cbranch_execz .LBB24_59
; %bb.58:
	v_mov_b32_e32 v15, 0
	ds_load_2addr_b64 v[2:5], v15 offset0:46 offset1:66
	s_waitcnt lgkmcnt(0)
	v_add_f64 v[2:3], v[2:3], -v[4:5]
	s_delay_alu instid0(VALU_DEP_1) | instskip(SKIP_1) | instid1(VALU_DEP_1)
	v_cmp_gt_f64_e32 vcc_lo, 0, v[2:3]
	v_xor_b32_e32 v4, 0x80000000, v3
	v_dual_cndmask_b32 v2, v2, v2 :: v_dual_cndmask_b32 v3, v3, v4
	s_delay_alu instid0(VALU_DEP_1) | instskip(SKIP_3) | instid1(VALU_DEP_1)
	v_cmp_gt_f64_e32 vcc_lo, 0x10000000, v[2:3]
	v_cndmask_b32_e64 v4, 0, 1, vcc_lo
	s_and_b32 s3, vcc_lo, exec_lo
	s_cselect_b32 s3, 0xffffff80, 0
	v_lshlrev_b32_e32 v4, 8, v4
	s_delay_alu instid0(VALU_DEP_1) | instskip(NEXT) | instid1(VALU_DEP_1)
	v_ldexp_f64 v[2:3], v[2:3], v4
	v_rsq_f64_e32 v[4:5], v[2:3]
	v_cmp_class_f64_e64 vcc_lo, v[2:3], 0x260
	s_waitcnt_depctr 0xfff
	v_mul_f64 v[6:7], v[2:3], v[4:5]
	v_mul_f64 v[4:5], v[4:5], 0.5
	s_delay_alu instid0(VALU_DEP_1) | instskip(NEXT) | instid1(VALU_DEP_1)
	v_fma_f64 v[13:14], -v[4:5], v[6:7], 0.5
	v_fma_f64 v[6:7], v[6:7], v[13:14], v[6:7]
	v_fma_f64 v[4:5], v[4:5], v[13:14], v[4:5]
	s_delay_alu instid0(VALU_DEP_2) | instskip(NEXT) | instid1(VALU_DEP_1)
	v_fma_f64 v[13:14], -v[6:7], v[6:7], v[2:3]
	v_fma_f64 v[6:7], v[13:14], v[4:5], v[6:7]
	s_delay_alu instid0(VALU_DEP_1) | instskip(NEXT) | instid1(VALU_DEP_1)
	v_fma_f64 v[13:14], -v[6:7], v[6:7], v[2:3]
	v_fma_f64 v[4:5], v[13:14], v[4:5], v[6:7]
	s_delay_alu instid0(VALU_DEP_1) | instskip(NEXT) | instid1(VALU_DEP_1)
	v_ldexp_f64 v[4:5], v[4:5], s3
	v_dual_cndmask_b32 v3, v5, v3 :: v_dual_cndmask_b32 v2, v4, v2
	ds_store_b64 v15, v[2:3] offset:368
.LBB24_59:
	s_or_b32 exec_lo, exec_lo, s1
	v_mov_b32_e32 v2, 0
	s_waitcnt lgkmcnt(0)
	buffer_gl0_inv
	ds_load_b64 v[2:3], v2 offset:368
	s_waitcnt lgkmcnt(0)
	v_cmp_neq_f64_e32 vcc_lo, 0, v[2:3]
	v_cndmask_b32_e32 v3, 0x3ff00000, v3, vcc_lo
	v_cndmask_b32_e32 v2, 0, v2, vcc_lo
	s_or_b32 s1, vcc_lo, s0
	s_delay_alu instid0(SALU_CYCLE_1) | instskip(NEXT) | instid1(SALU_CYCLE_1)
	s_xor_b32 s3, s1, -1
	s_and_saveexec_b32 s1, s3
	s_cbranch_execz .LBB24_63
; %bb.60:
	v_mbcnt_lo_u32_b32 v2, exec_lo, 0
	s_mov_b32 s3, exec_lo
	s_delay_alu instid0(VALU_DEP_1)
	v_cmpx_eq_u32_e32 0, v2
	s_cbranch_execz .LBB24_62
; %bb.61:
	v_dual_mov_b32 v2, 0 :: v_dual_mov_b32 v3, s2
	global_atomic_min_i32 v2, v3, s[10:11]
.LBB24_62:
	s_or_b32 exec_lo, exec_lo, s3
	v_mov_b32_e32 v2, 0
	v_mov_b32_e32 v3, 0x3ff00000
.LBB24_63:
	s_or_b32 exec_lo, exec_lo, s1
	s_delay_alu instid0(SALU_CYCLE_1)
	s_mov_b32 s1, exec_lo
	v_cmpx_lt_u32_e32 1, v9
	s_cbranch_execz .LBB24_65
; %bb.64:
	v_mul_u32_u24_e32 v19, 40, v9
	ds_load_2addr_b64 v[4:7], v19 offset0:41 offset1:61
	s_waitcnt lgkmcnt(0)
	v_add_f64 v[4:5], v[4:5], -v[6:7]
	s_delay_alu instid0(VALU_DEP_1) | instskip(SKIP_1) | instid1(VALU_DEP_2)
	v_div_scale_f64 v[6:7], null, v[2:3], v[2:3], v[4:5]
	v_div_scale_f64 v[17:18], vcc_lo, v[4:5], v[2:3], v[4:5]
	v_rcp_f64_e32 v[13:14], v[6:7]
	s_waitcnt_depctr 0xfff
	v_fma_f64 v[15:16], -v[6:7], v[13:14], 1.0
	s_delay_alu instid0(VALU_DEP_1) | instskip(NEXT) | instid1(VALU_DEP_1)
	v_fma_f64 v[13:14], v[13:14], v[15:16], v[13:14]
	v_fma_f64 v[15:16], -v[6:7], v[13:14], 1.0
	s_delay_alu instid0(VALU_DEP_1) | instskip(NEXT) | instid1(VALU_DEP_1)
	v_fma_f64 v[13:14], v[13:14], v[15:16], v[13:14]
	v_mul_f64 v[15:16], v[17:18], v[13:14]
	s_delay_alu instid0(VALU_DEP_1) | instskip(NEXT) | instid1(VALU_DEP_1)
	v_fma_f64 v[6:7], -v[6:7], v[15:16], v[17:18]
	v_div_fmas_f64 v[6:7], v[6:7], v[13:14], v[15:16]
	s_delay_alu instid0(VALU_DEP_1)
	v_div_fixup_f64 v[2:3], v[6:7], v[2:3], v[4:5]
	v_mul_u32_u24_e32 v4, 40, v8
	ds_store_b64 v19, v[2:3] offset:328
	s_waitcnt lgkmcnt(0)
	s_waitcnt_vscnt null, 0x0
	buffer_gl0_inv
	ds_load_b64 v[4:5], v4 offset:328
	ds_load_b64 v[6:7], v11
	s_waitcnt lgkmcnt(0)
	v_fma_f64 v[2:3], v[2:3], v[4:5], v[6:7]
	ds_store_b64 v11, v[2:3]
.LBB24_65:
	s_or_b32 exec_lo, exec_lo, s1
	s_delay_alu instid0(SALU_CYCLE_1)
	s_mov_b32 s1, exec_lo
	s_waitcnt lgkmcnt(0)
	s_waitcnt_vscnt null, 0x0
	buffer_gl0_inv
	v_cmpx_eq_u32_e32 2, v9
	s_cbranch_execz .LBB24_67
; %bb.66:
	v_mov_b32_e32 v15, 0
	ds_load_2addr_b64 v[2:5], v15 offset0:52 offset1:72
	s_waitcnt lgkmcnt(0)
	v_add_f64 v[2:3], v[2:3], -v[4:5]
	s_delay_alu instid0(VALU_DEP_1) | instskip(SKIP_1) | instid1(VALU_DEP_1)
	v_cmp_gt_f64_e32 vcc_lo, 0, v[2:3]
	v_xor_b32_e32 v4, 0x80000000, v3
	v_dual_cndmask_b32 v2, v2, v2 :: v_dual_cndmask_b32 v3, v3, v4
	s_delay_alu instid0(VALU_DEP_1) | instskip(SKIP_3) | instid1(VALU_DEP_1)
	v_cmp_gt_f64_e32 vcc_lo, 0x10000000, v[2:3]
	v_cndmask_b32_e64 v4, 0, 1, vcc_lo
	s_and_b32 s3, vcc_lo, exec_lo
	s_cselect_b32 s3, 0xffffff80, 0
	v_lshlrev_b32_e32 v4, 8, v4
	s_delay_alu instid0(VALU_DEP_1) | instskip(NEXT) | instid1(VALU_DEP_1)
	v_ldexp_f64 v[2:3], v[2:3], v4
	v_rsq_f64_e32 v[4:5], v[2:3]
	v_cmp_class_f64_e64 vcc_lo, v[2:3], 0x260
	s_waitcnt_depctr 0xfff
	v_mul_f64 v[6:7], v[2:3], v[4:5]
	v_mul_f64 v[4:5], v[4:5], 0.5
	s_delay_alu instid0(VALU_DEP_1) | instskip(NEXT) | instid1(VALU_DEP_1)
	v_fma_f64 v[13:14], -v[4:5], v[6:7], 0.5
	v_fma_f64 v[6:7], v[6:7], v[13:14], v[6:7]
	v_fma_f64 v[4:5], v[4:5], v[13:14], v[4:5]
	s_delay_alu instid0(VALU_DEP_2) | instskip(NEXT) | instid1(VALU_DEP_1)
	v_fma_f64 v[13:14], -v[6:7], v[6:7], v[2:3]
	v_fma_f64 v[6:7], v[13:14], v[4:5], v[6:7]
	s_delay_alu instid0(VALU_DEP_1) | instskip(NEXT) | instid1(VALU_DEP_1)
	v_fma_f64 v[13:14], -v[6:7], v[6:7], v[2:3]
	v_fma_f64 v[4:5], v[13:14], v[4:5], v[6:7]
	s_delay_alu instid0(VALU_DEP_1) | instskip(NEXT) | instid1(VALU_DEP_1)
	v_ldexp_f64 v[4:5], v[4:5], s3
	v_dual_cndmask_b32 v3, v5, v3 :: v_dual_cndmask_b32 v2, v4, v2
	ds_store_b64 v15, v[2:3] offset:416
.LBB24_67:
	s_or_b32 exec_lo, exec_lo, s1
	v_mov_b32_e32 v2, 0
	s_waitcnt lgkmcnt(0)
	buffer_gl0_inv
	ds_load_b64 v[2:3], v2 offset:416
	s_waitcnt lgkmcnt(0)
	v_cmp_neq_f64_e32 vcc_lo, 0, v[2:3]
	v_cndmask_b32_e32 v3, 0x3ff00000, v3, vcc_lo
	v_cndmask_b32_e32 v2, 0, v2, vcc_lo
	s_or_b32 s1, vcc_lo, s0
	s_delay_alu instid0(SALU_CYCLE_1) | instskip(NEXT) | instid1(SALU_CYCLE_1)
	s_xor_b32 s3, s1, -1
	s_and_saveexec_b32 s1, s3
	s_cbranch_execz .LBB24_71
; %bb.68:
	v_mbcnt_lo_u32_b32 v2, exec_lo, 0
	s_mov_b32 s3, exec_lo
	s_delay_alu instid0(VALU_DEP_1)
	v_cmpx_eq_u32_e32 0, v2
	s_cbranch_execz .LBB24_70
; %bb.69:
	v_dual_mov_b32 v2, 0 :: v_dual_mov_b32 v3, s2
	global_atomic_min_i32 v2, v3, s[10:11]
.LBB24_70:
	s_or_b32 exec_lo, exec_lo, s3
	v_mov_b32_e32 v2, 0
	v_mov_b32_e32 v3, 0x3ff00000
.LBB24_71:
	s_or_b32 exec_lo, exec_lo, s1
	s_delay_alu instid0(SALU_CYCLE_1)
	s_mov_b32 s1, exec_lo
	v_cmpx_lt_u32_e32 2, v9
	s_cbranch_execz .LBB24_73
; %bb.72:
	v_mul_u32_u24_e32 v19, 40, v9
	ds_load_2addr_b64 v[4:7], v19 offset0:42 offset1:62
	s_waitcnt lgkmcnt(0)
	v_add_f64 v[4:5], v[4:5], -v[6:7]
	s_delay_alu instid0(VALU_DEP_1) | instskip(SKIP_1) | instid1(VALU_DEP_2)
	v_div_scale_f64 v[6:7], null, v[2:3], v[2:3], v[4:5]
	v_div_scale_f64 v[17:18], vcc_lo, v[4:5], v[2:3], v[4:5]
	v_rcp_f64_e32 v[13:14], v[6:7]
	s_waitcnt_depctr 0xfff
	v_fma_f64 v[15:16], -v[6:7], v[13:14], 1.0
	s_delay_alu instid0(VALU_DEP_1) | instskip(NEXT) | instid1(VALU_DEP_1)
	v_fma_f64 v[13:14], v[13:14], v[15:16], v[13:14]
	v_fma_f64 v[15:16], -v[6:7], v[13:14], 1.0
	s_delay_alu instid0(VALU_DEP_1) | instskip(NEXT) | instid1(VALU_DEP_1)
	v_fma_f64 v[13:14], v[13:14], v[15:16], v[13:14]
	v_mul_f64 v[15:16], v[17:18], v[13:14]
	s_delay_alu instid0(VALU_DEP_1) | instskip(NEXT) | instid1(VALU_DEP_1)
	v_fma_f64 v[6:7], -v[6:7], v[15:16], v[17:18]
	v_div_fmas_f64 v[6:7], v[6:7], v[13:14], v[15:16]
	s_delay_alu instid0(VALU_DEP_1)
	v_div_fixup_f64 v[2:3], v[6:7], v[2:3], v[4:5]
	v_mul_u32_u24_e32 v4, 40, v8
	ds_store_b64 v19, v[2:3] offset:336
	s_waitcnt lgkmcnt(0)
	s_waitcnt_vscnt null, 0x0
	buffer_gl0_inv
	ds_load_b64 v[4:5], v4 offset:336
	ds_load_b64 v[6:7], v11
	s_waitcnt lgkmcnt(0)
	v_fma_f64 v[2:3], v[2:3], v[4:5], v[6:7]
	ds_store_b64 v11, v[2:3]
.LBB24_73:
	s_or_b32 exec_lo, exec_lo, s1
	s_delay_alu instid0(SALU_CYCLE_1)
	s_mov_b32 s1, exec_lo
	s_waitcnt lgkmcnt(0)
	s_waitcnt_vscnt null, 0x0
	buffer_gl0_inv
	v_cmpx_eq_u32_e32 3, v9
	s_cbranch_execz .LBB24_75
; %bb.74:
	v_mov_b32_e32 v15, 0
	ds_load_2addr_b64 v[2:5], v15 offset0:58 offset1:78
	s_waitcnt lgkmcnt(0)
	v_add_f64 v[2:3], v[2:3], -v[4:5]
	s_delay_alu instid0(VALU_DEP_1) | instskip(SKIP_1) | instid1(VALU_DEP_1)
	v_cmp_gt_f64_e32 vcc_lo, 0, v[2:3]
	v_xor_b32_e32 v4, 0x80000000, v3
	v_dual_cndmask_b32 v2, v2, v2 :: v_dual_cndmask_b32 v3, v3, v4
	s_delay_alu instid0(VALU_DEP_1) | instskip(SKIP_3) | instid1(VALU_DEP_1)
	v_cmp_gt_f64_e32 vcc_lo, 0x10000000, v[2:3]
	v_cndmask_b32_e64 v4, 0, 1, vcc_lo
	s_and_b32 s3, vcc_lo, exec_lo
	s_cselect_b32 s3, 0xffffff80, 0
	v_lshlrev_b32_e32 v4, 8, v4
	s_delay_alu instid0(VALU_DEP_1) | instskip(NEXT) | instid1(VALU_DEP_1)
	v_ldexp_f64 v[2:3], v[2:3], v4
	v_rsq_f64_e32 v[4:5], v[2:3]
	v_cmp_class_f64_e64 vcc_lo, v[2:3], 0x260
	s_waitcnt_depctr 0xfff
	v_mul_f64 v[6:7], v[2:3], v[4:5]
	v_mul_f64 v[4:5], v[4:5], 0.5
	s_delay_alu instid0(VALU_DEP_1) | instskip(NEXT) | instid1(VALU_DEP_1)
	v_fma_f64 v[13:14], -v[4:5], v[6:7], 0.5
	v_fma_f64 v[6:7], v[6:7], v[13:14], v[6:7]
	v_fma_f64 v[4:5], v[4:5], v[13:14], v[4:5]
	s_delay_alu instid0(VALU_DEP_2) | instskip(NEXT) | instid1(VALU_DEP_1)
	v_fma_f64 v[13:14], -v[6:7], v[6:7], v[2:3]
	v_fma_f64 v[6:7], v[13:14], v[4:5], v[6:7]
	s_delay_alu instid0(VALU_DEP_1) | instskip(NEXT) | instid1(VALU_DEP_1)
	v_fma_f64 v[13:14], -v[6:7], v[6:7], v[2:3]
	v_fma_f64 v[4:5], v[13:14], v[4:5], v[6:7]
	s_delay_alu instid0(VALU_DEP_1) | instskip(NEXT) | instid1(VALU_DEP_1)
	v_ldexp_f64 v[4:5], v[4:5], s3
	v_dual_cndmask_b32 v3, v5, v3 :: v_dual_cndmask_b32 v2, v4, v2
	ds_store_b64 v15, v[2:3] offset:464
.LBB24_75:
	s_or_b32 exec_lo, exec_lo, s1
	v_mov_b32_e32 v2, 0
	s_waitcnt lgkmcnt(0)
	buffer_gl0_inv
	ds_load_b64 v[2:3], v2 offset:464
	s_waitcnt lgkmcnt(0)
	v_cmp_neq_f64_e32 vcc_lo, 0, v[2:3]
	v_cndmask_b32_e32 v3, 0x3ff00000, v3, vcc_lo
	v_cndmask_b32_e32 v2, 0, v2, vcc_lo
	s_or_b32 s0, vcc_lo, s0
	s_delay_alu instid0(SALU_CYCLE_1) | instskip(NEXT) | instid1(SALU_CYCLE_1)
	s_xor_b32 s1, s0, -1
	s_and_saveexec_b32 s0, s1
	s_cbranch_execz .LBB24_79
; %bb.76:
	v_mbcnt_lo_u32_b32 v2, exec_lo, 0
	s_mov_b32 s1, exec_lo
	s_delay_alu instid0(VALU_DEP_1)
	v_cmpx_eq_u32_e32 0, v2
	s_cbranch_execz .LBB24_78
; %bb.77:
	v_dual_mov_b32 v2, 0 :: v_dual_mov_b32 v3, s2
	global_atomic_min_i32 v2, v3, s[10:11]
.LBB24_78:
	s_or_b32 exec_lo, exec_lo, s1
	v_mov_b32_e32 v2, 0
	v_mov_b32_e32 v3, 0x3ff00000
.LBB24_79:
	s_or_b32 exec_lo, exec_lo, s0
	v_add_nc_u32_e32 v4, 0x140, v12
	s_mov_b32 s0, exec_lo
	v_cmpx_lt_u32_e32 3, v9
	s_cbranch_execz .LBB24_81
; %bb.80:
	v_mul_u32_u24_e32 v7, 40, v9
	ds_load_2addr_b64 v[12:15], v7 offset0:43 offset1:63
	s_waitcnt lgkmcnt(0)
	v_add_f64 v[5:6], v[12:13], -v[14:15]
	s_delay_alu instid0(VALU_DEP_1) | instskip(SKIP_1) | instid1(VALU_DEP_2)
	v_div_scale_f64 v[12:13], null, v[2:3], v[2:3], v[5:6]
	v_div_scale_f64 v[18:19], vcc_lo, v[5:6], v[2:3], v[5:6]
	v_rcp_f64_e32 v[14:15], v[12:13]
	s_waitcnt_depctr 0xfff
	v_fma_f64 v[16:17], -v[12:13], v[14:15], 1.0
	s_delay_alu instid0(VALU_DEP_1) | instskip(NEXT) | instid1(VALU_DEP_1)
	v_fma_f64 v[14:15], v[14:15], v[16:17], v[14:15]
	v_fma_f64 v[16:17], -v[12:13], v[14:15], 1.0
	s_delay_alu instid0(VALU_DEP_1) | instskip(NEXT) | instid1(VALU_DEP_1)
	v_fma_f64 v[14:15], v[14:15], v[16:17], v[14:15]
	v_mul_f64 v[16:17], v[18:19], v[14:15]
	s_delay_alu instid0(VALU_DEP_1) | instskip(NEXT) | instid1(VALU_DEP_1)
	v_fma_f64 v[12:13], -v[12:13], v[16:17], v[18:19]
	v_div_fmas_f64 v[12:13], v[12:13], v[14:15], v[16:17]
	s_delay_alu instid0(VALU_DEP_1)
	v_div_fixup_f64 v[2:3], v[12:13], v[2:3], v[5:6]
	v_mul_u32_u24_e32 v5, 40, v8
	ds_store_b64 v7, v[2:3] offset:344
	s_waitcnt lgkmcnt(0)
	s_waitcnt_vscnt null, 0x0
	buffer_gl0_inv
	ds_load_b64 v[5:6], v5 offset:344
	ds_load_b64 v[12:13], v11
	s_waitcnt lgkmcnt(0)
	v_fma_f64 v[2:3], v[2:3], v[5:6], v[12:13]
	ds_store_b64 v11, v[2:3]
.LBB24_81:
	s_or_b32 exec_lo, exec_lo, s0
	s_waitcnt lgkmcnt(0)
	s_waitcnt_vscnt null, 0x0
	buffer_gl0_inv
	ds_load_b64 v[2:3], v4
	v_cmp_eq_u32_e64 s3, 0, v10
	s_waitcnt lgkmcnt(0)
	global_store_b64 v[0:1], v[2:3], off
	s_branch .LBB24_87
.LBB24_82:
	v_or_b32_e32 v0, v8, v9
	s_mov_b32 s0, exec_lo
	s_delay_alu instid0(VALU_DEP_1)
	v_cmpx_eq_u32_e32 0, v0
	s_cbranch_execz .LBB24_86
; %bb.83:
	v_mbcnt_lo_u32_b32 v0, exec_lo, 0
	s_mov_b32 s1, exec_lo
	s_delay_alu instid0(VALU_DEP_1)
	v_cmpx_eq_u32_e32 0, v0
	s_cbranch_execz .LBB24_85
; %bb.84:
	s_add_i32 s2, s16, s17
	s_delay_alu instid0(SALU_CYCLE_1)
	v_dual_mov_b32 v0, 0 :: v_dual_mov_b32 v1, s2
	global_atomic_min_i32 v0, v1, s[10:11]
.LBB24_85:
	s_or_b32 exec_lo, exec_lo, s1
	s_delay_alu instid0(SALU_CYCLE_1)
	s_or_b32 s3, s3, exec_lo
.LBB24_86:
	s_or_b32 exec_lo, exec_lo, s0
.LBB24_87:
	s_and_saveexec_b32 s0, s3
	s_cbranch_execnz .LBB24_89
; %bb.88:
	s_nop 0
	s_sendmsg sendmsg(MSG_DEALLOC_VGPRS)
	s_endpgm
.LBB24_89:
	v_dual_mov_b32 v0, 0 :: v_dual_mov_b32 v1, 1
	s_add_u32 s0, s6, s8
	s_addc_u32 s1, s7, s9
	s_waitcnt_vscnt null, 0x0
	global_store_b32 v0, v1, s[0:1]
	s_nop 0
	s_sendmsg sendmsg(MSG_DEALLOC_VGPRS)
	s_endpgm
	.section	.rodata,"a",@progbits
	.p2align	6, 0x0
	.amdhsa_kernel _ZN9rocsparseL26bsric0_2_8_unrolled_kernelILi16ELi32ELi4EdEEv20rocsparse_direction_iiPKiS3_PT2_S3_PiS3_S6_21rocsparse_index_base_
		.amdhsa_group_segment_fixed_size 1024
		.amdhsa_private_segment_fixed_size 0
		.amdhsa_kernarg_size 76
		.amdhsa_user_sgpr_count 15
		.amdhsa_user_sgpr_dispatch_ptr 0
		.amdhsa_user_sgpr_queue_ptr 0
		.amdhsa_user_sgpr_kernarg_segment_ptr 1
		.amdhsa_user_sgpr_dispatch_id 0
		.amdhsa_user_sgpr_private_segment_size 0
		.amdhsa_wavefront_size32 1
		.amdhsa_uses_dynamic_stack 0
		.amdhsa_enable_private_segment 0
		.amdhsa_system_sgpr_workgroup_id_x 1
		.amdhsa_system_sgpr_workgroup_id_y 0
		.amdhsa_system_sgpr_workgroup_id_z 0
		.amdhsa_system_sgpr_workgroup_info 0
		.amdhsa_system_vgpr_workitem_id 1
		.amdhsa_next_free_vgpr 39
		.amdhsa_next_free_sgpr 37
		.amdhsa_reserve_vcc 1
		.amdhsa_float_round_mode_32 0
		.amdhsa_float_round_mode_16_64 0
		.amdhsa_float_denorm_mode_32 3
		.amdhsa_float_denorm_mode_16_64 3
		.amdhsa_dx10_clamp 1
		.amdhsa_ieee_mode 1
		.amdhsa_fp16_overflow 0
		.amdhsa_workgroup_processor_mode 1
		.amdhsa_memory_ordered 1
		.amdhsa_forward_progress 0
		.amdhsa_shared_vgpr_count 0
		.amdhsa_exception_fp_ieee_invalid_op 0
		.amdhsa_exception_fp_denorm_src 0
		.amdhsa_exception_fp_ieee_div_zero 0
		.amdhsa_exception_fp_ieee_overflow 0
		.amdhsa_exception_fp_ieee_underflow 0
		.amdhsa_exception_fp_ieee_inexact 0
		.amdhsa_exception_int_div_zero 0
	.end_amdhsa_kernel
	.section	.text._ZN9rocsparseL26bsric0_2_8_unrolled_kernelILi16ELi32ELi4EdEEv20rocsparse_direction_iiPKiS3_PT2_S3_PiS3_S6_21rocsparse_index_base_,"axG",@progbits,_ZN9rocsparseL26bsric0_2_8_unrolled_kernelILi16ELi32ELi4EdEEv20rocsparse_direction_iiPKiS3_PT2_S3_PiS3_S6_21rocsparse_index_base_,comdat
.Lfunc_end24:
	.size	_ZN9rocsparseL26bsric0_2_8_unrolled_kernelILi16ELi32ELi4EdEEv20rocsparse_direction_iiPKiS3_PT2_S3_PiS3_S6_21rocsparse_index_base_, .Lfunc_end24-_ZN9rocsparseL26bsric0_2_8_unrolled_kernelILi16ELi32ELi4EdEEv20rocsparse_direction_iiPKiS3_PT2_S3_PiS3_S6_21rocsparse_index_base_
                                        ; -- End function
	.section	.AMDGPU.csdata,"",@progbits
; Kernel info:
; codeLenInByte = 5984
; NumSgprs: 39
; NumVgprs: 39
; ScratchSize: 0
; MemoryBound: 1
; FloatMode: 240
; IeeeMode: 1
; LDSByteSize: 1024 bytes/workgroup (compile time only)
; SGPRBlocks: 4
; VGPRBlocks: 4
; NumSGPRsForWavesPerEU: 39
; NumVGPRsForWavesPerEU: 39
; Occupancy: 16
; WaveLimiterHint : 1
; COMPUTE_PGM_RSRC2:SCRATCH_EN: 0
; COMPUTE_PGM_RSRC2:USER_SGPR: 15
; COMPUTE_PGM_RSRC2:TRAP_HANDLER: 0
; COMPUTE_PGM_RSRC2:TGID_X_EN: 1
; COMPUTE_PGM_RSRC2:TGID_Y_EN: 0
; COMPUTE_PGM_RSRC2:TGID_Z_EN: 0
; COMPUTE_PGM_RSRC2:TIDIG_COMP_CNT: 1
	.section	.text._ZN9rocsparseL26bsric0_2_8_unrolled_kernelILi25ELi32ELi5EdEEv20rocsparse_direction_iiPKiS3_PT2_S3_PiS3_S6_21rocsparse_index_base_,"axG",@progbits,_ZN9rocsparseL26bsric0_2_8_unrolled_kernelILi25ELi32ELi5EdEEv20rocsparse_direction_iiPKiS3_PT2_S3_PiS3_S6_21rocsparse_index_base_,comdat
	.globl	_ZN9rocsparseL26bsric0_2_8_unrolled_kernelILi25ELi32ELi5EdEEv20rocsparse_direction_iiPKiS3_PT2_S3_PiS3_S6_21rocsparse_index_base_ ; -- Begin function _ZN9rocsparseL26bsric0_2_8_unrolled_kernelILi25ELi32ELi5EdEEv20rocsparse_direction_iiPKiS3_PT2_S3_PiS3_S6_21rocsparse_index_base_
	.p2align	8
	.type	_ZN9rocsparseL26bsric0_2_8_unrolled_kernelILi25ELi32ELi5EdEEv20rocsparse_direction_iiPKiS3_PT2_S3_PiS3_S6_21rocsparse_index_base_,@function
_ZN9rocsparseL26bsric0_2_8_unrolled_kernelILi25ELi32ELi5EdEEv20rocsparse_direction_iiPKiS3_PT2_S3_PiS3_S6_21rocsparse_index_base_: ; @_ZN9rocsparseL26bsric0_2_8_unrolled_kernelILi25ELi32ELi5EdEEv20rocsparse_direction_iiPKiS3_PT2_S3_PiS3_S6_21rocsparse_index_base_
; %bb.0:
	s_load_b256 s[4:11], s[0:1], 0x28
	s_mov_b32 s2, s15
	s_mov_b32 s3, 0
	v_and_b32_e32 v10, 0x3ff, v0
	s_lshl_b64 s[12:13], s[2:3], 2
	v_bfe_u32 v11, v0, 10, 10
	s_waitcnt lgkmcnt(0)
	s_add_u32 s8, s8, s12
	s_addc_u32 s9, s9, s13
	s_load_b32 s16, s[8:9], 0x0
	s_waitcnt lgkmcnt(0)
	s_ashr_i32 s17, s16, 31
	s_delay_alu instid0(SALU_CYCLE_1) | instskip(NEXT) | instid1(SALU_CYCLE_1)
	s_lshl_b64 s[8:9], s[16:17], 2
	s_add_u32 s12, s4, s8
	s_addc_u32 s13, s5, s9
	s_load_b32 s26, s[12:13], 0x0
	s_load_b32 s17, s[0:1], 0x48
	s_waitcnt lgkmcnt(0)
	s_cmp_lg_u32 s26, -1
	s_cbranch_scc0 .LBB25_97
; %bb.1:
	s_clause 0x1
	s_load_b128 s[12:15], s[0:1], 0x10
	s_load_b64 s[18:19], s[0:1], 0x20
	v_mad_u32_u24 v12, v11, 5, v10
	s_waitcnt lgkmcnt(0)
	s_add_u32 s2, s12, s8
	s_addc_u32 s3, s13, s9
	s_load_b32 s2, s[2:3], 0x0
	s_mov_b32 s3, exec_lo
	s_waitcnt lgkmcnt(0)
	s_sub_i32 s27, s2, s17
	s_delay_alu instid0(SALU_CYCLE_1) | instskip(NEXT) | instid1(VALU_DEP_1)
	v_add_nc_u32_e32 v0, s27, v12
	v_cmpx_ge_i32_e64 s26, v0
	s_cbranch_execz .LBB25_4
; %bb.2:
	v_ashrrev_i32_e32 v1, 31, v0
	v_lshl_add_u32 v3, v12, 2, 0x4c0
	s_mov_b32 s20, 0
	s_delay_alu instid0(VALU_DEP_2) | instskip(NEXT) | instid1(VALU_DEP_1)
	v_lshlrev_b64 v[1:2], 2, v[0:1]
	v_add_co_u32 v1, vcc_lo, s14, v1
	s_delay_alu instid0(VALU_DEP_2)
	v_add_co_ci_u32_e32 v2, vcc_lo, s15, v2, vcc_lo
	.p2align	6
.LBB25_3:                               ; =>This Inner Loop Header: Depth=1
	global_load_b32 v4, v[1:2], off
	v_add_nc_u32_e32 v0, 25, v0
	v_add_co_u32 v1, vcc_lo, 0x64, v1
	v_add_co_ci_u32_e32 v2, vcc_lo, 0, v2, vcc_lo
	s_delay_alu instid0(VALU_DEP_3) | instskip(NEXT) | instid1(VALU_DEP_1)
	v_cmp_lt_i32_e64 s2, s26, v0
	s_or_b32 s20, s2, s20
	s_waitcnt vmcnt(0)
	v_subrev_nc_u32_e32 v4, s17, v4
	ds_store_b32 v3, v4
	v_add_nc_u32_e32 v3, 0x64, v3
	s_and_not1_b32 exec_lo, exec_lo, s20
	s_cbranch_execnz .LBB25_3
.LBB25_4:
	s_or_b32 exec_lo, exec_lo, s3
	s_load_b32 s1, s[0:1], 0x0
	v_mov_b32_e32 v0, 0
	v_lshlrev_b32_e32 v2, 3, v10
	v_mul_u32_u24_e32 v16, 5, v11
	v_mad_u32_u24 v13, v10, 5, v11
	s_cmp_ge_i32 s27, s26
	v_mov_b32_e32 v1, v0
	v_mad_u32_u24 v15, v11, 48, v2
	s_delay_alu instid0(VALU_DEP_1)
	v_add_nc_u32_e32 v14, 0x2d0, v15
	ds_store_b64 v15, v[0:1] offset:720
	s_waitcnt lgkmcnt(0)
	buffer_gl0_inv
	s_cbranch_scc1 .LBB25_50
; %bb.5:
	v_mad_u32_u24 v1, v10, 5, v11
	v_mad_u32_u24 v17, v11, 48, 0x1e0
	;; [unrolled: 1-line block ×3, first 2 shown]
	v_or_b32_e32 v3, v10, v11
	s_cmp_eq_u32 s1, 0
	v_mul_u32_u24_e32 v19, 5, v10
	s_cselect_b32 vcc_lo, -1, 0
	v_add_nc_u32_e32 v20, v17, v2
	v_add_nc_u32_e32 v21, v18, v2
	v_cmp_ne_u32_e64 s0, 0, v3
	v_mad_u32_u24 v22, v10, 48, 0x1e0
	v_cndmask_b32_e32 v1, v1, v12, vcc_lo
	s_cmp_lg_u32 s1, 0
	s_mov_b32 s2, s27
	s_cselect_b32 s28, -1, 0
	s_branch .LBB25_9
.LBB25_6:                               ;   in Loop: Header=BB25_9 Depth=1
	s_or_b32 exec_lo, exec_lo, s21
	v_mov_b32_e32 v6, 0
	v_mov_b32_e32 v7, 0x3ff00000
.LBB25_7:                               ;   in Loop: Header=BB25_9 Depth=1
	s_or_b32 exec_lo, exec_lo, s20
	ds_load_b128 v[23:26], v0 offset:192
	ds_load_b64 v[8:9], v18 offset:32
	ds_load_b128 v[27:30], v17
	ds_load_b128 v[31:34], v17 offset:16
	s_add_i32 s2, s2, 1
	s_delay_alu instid0(SALU_CYCLE_1) | instskip(SKIP_3) | instid1(VALU_DEP_1)
	s_cmp_ge_i32 s2, s26
	s_cselect_b32 s24, -1, 0
	s_waitcnt lgkmcnt(1)
	v_fma_f64 v[8:9], v[23:24], v[27:28], v[8:9]
	v_fma_f64 v[8:9], v[25:26], v[29:30], v[8:9]
	ds_load_b128 v[23:26], v0 offset:208
	s_waitcnt lgkmcnt(0)
	v_fma_f64 v[8:9], v[23:24], v[31:32], v[8:9]
	s_delay_alu instid0(VALU_DEP_1) | instskip(NEXT) | instid1(VALU_DEP_1)
	v_fma_f64 v[8:9], v[25:26], v[33:34], v[8:9]
	v_add_f64 v[4:5], v[4:5], -v[8:9]
	s_delay_alu instid0(VALU_DEP_1) | instskip(SKIP_1) | instid1(VALU_DEP_2)
	v_div_scale_f64 v[8:9], null, v[6:7], v[6:7], v[4:5]
	v_div_scale_f64 v[27:28], vcc_lo, v[4:5], v[6:7], v[4:5]
	v_rcp_f64_e32 v[23:24], v[8:9]
	s_waitcnt_depctr 0xfff
	v_fma_f64 v[25:26], -v[8:9], v[23:24], 1.0
	s_delay_alu instid0(VALU_DEP_1) | instskip(NEXT) | instid1(VALU_DEP_1)
	v_fma_f64 v[23:24], v[23:24], v[25:26], v[23:24]
	v_fma_f64 v[25:26], -v[8:9], v[23:24], 1.0
	s_delay_alu instid0(VALU_DEP_1) | instskip(NEXT) | instid1(VALU_DEP_1)
	v_fma_f64 v[23:24], v[23:24], v[25:26], v[23:24]
	v_mul_f64 v[25:26], v[27:28], v[23:24]
	s_delay_alu instid0(VALU_DEP_1) | instskip(NEXT) | instid1(VALU_DEP_1)
	v_fma_f64 v[8:9], -v[8:9], v[25:26], v[27:28]
	v_div_fmas_f64 v[8:9], v[8:9], v[23:24], v[25:26]
	s_delay_alu instid0(VALU_DEP_1)
	v_div_fixup_f64 v[4:5], v[8:9], v[6:7], v[4:5]
	ds_store_b64 v17, v[4:5] offset:32
	s_waitcnt lgkmcnt(0)
	s_waitcnt_vscnt null, 0x0
	buffer_gl0_inv
	ds_load_b64 v[6:7], v22 offset:32
	ds_load_b64 v[8:9], v14
	s_waitcnt lgkmcnt(0)
	v_fma_f64 v[4:5], v[4:5], v[6:7], v[8:9]
	ds_store_b64 v14, v[4:5]
	s_waitcnt lgkmcnt(0)
	buffer_gl0_inv
	ds_load_b64 v[4:5], v20
	s_waitcnt lgkmcnt(0)
	global_store_b64 v[2:3], v[4:5], off
	s_waitcnt_vscnt null, 0x0
	buffer_gl1_inv
	buffer_gl0_inv
.LBB25_8:                               ;   in Loop: Header=BB25_9 Depth=1
	s_and_b32 vcc_lo, exec_lo, s24
	s_cbranch_vccnz .LBB25_50
.LBB25_9:                               ; =>This Loop Header: Depth=1
                                        ;     Child Loop BB25_12 Depth 2
                                        ;     Child Loop BB25_23 Depth 2
	s_ashr_i32 s3, s2, 31
	s_delay_alu instid0(SALU_CYCLE_1) | instskip(NEXT) | instid1(SALU_CYCLE_1)
	s_lshl_b64 s[20:21], s[2:3], 2
	s_add_u32 s20, s14, s20
	s_addc_u32 s21, s15, s21
	s_load_b32 s3, s[20:21], 0x0
	s_waitcnt lgkmcnt(0)
	s_sub_i32 s22, s3, s17
	s_delay_alu instid0(SALU_CYCLE_1) | instskip(NEXT) | instid1(SALU_CYCLE_1)
	s_ashr_i32 s23, s22, 31
	s_lshl_b64 s[20:21], s[22:23], 2
	s_delay_alu instid0(SALU_CYCLE_1)
	s_add_u32 s24, s4, s20
	s_addc_u32 s25, s5, s21
	s_load_b32 s23, s[24:25], 0x0
	s_mov_b32 s24, -1
	s_waitcnt lgkmcnt(0)
	s_cmp_eq_u32 s23, -1
	s_cbranch_scc1 .LBB25_8
; %bb.10:                               ;   in Loop: Header=BB25_9 Depth=1
	v_mad_u64_u32 v[2:3], null, s2, 25, v[1:2]
	s_add_u32 s24, s12, s20
	s_addc_u32 s25, s13, s21
	ds_load_b32 v6, v0 offset:1216
	s_load_b32 s24, s[24:25], 0x0
	v_ashrrev_i32_e32 v3, 31, v2
	s_delay_alu instid0(VALU_DEP_1) | instskip(NEXT) | instid1(VALU_DEP_1)
	v_lshlrev_b64 v[2:3], 3, v[2:3]
	v_add_co_u32 v2, vcc_lo, s18, v2
	s_delay_alu instid0(VALU_DEP_2)
	v_add_co_ci_u32_e32 v3, vcc_lo, s19, v3, vcc_lo
	s_waitcnt lgkmcnt(0)
	v_cmp_ge_i32_e32 vcc_lo, s22, v6
	s_sub_i32 s24, s24, s17
	global_load_b64 v[4:5], v[2:3], off
	s_cmp_le_i32 s24, s23
	s_cselect_b32 s25, -1, 0
	s_delay_alu instid0(SALU_CYCLE_1) | instskip(NEXT) | instid1(SALU_CYCLE_1)
	s_and_b32 s25, s25, vcc_lo
	s_and_not1_b32 vcc_lo, exec_lo, s25
	s_mov_b32 s25, 0
	s_waitcnt vmcnt(0)
	ds_store_b64 v20, v[4:5]
	s_cbranch_vccnz .LBB25_22
; %bb.11:                               ;   in Loop: Header=BB25_9 Depth=1
	s_mov_b32 s29, 0
	s_mov_b32 s30, 0
.LBB25_12:                              ;   Parent Loop BB25_9 Depth=1
                                        ; =>  This Inner Loop Header: Depth=2
	s_ashr_i32 s25, s24, 31
                                        ; implicit-def: $sgpr33
	s_delay_alu instid0(SALU_CYCLE_1) | instskip(NEXT) | instid1(SALU_CYCLE_1)
	s_lshl_b64 s[34:35], s[24:25], 2
	s_add_u32 s34, s14, s34
	s_addc_u32 s35, s15, s35
	s_lshl_b32 s25, s30, 2
	s_delay_alu instid0(SALU_CYCLE_1)
	v_mov_b32_e32 v4, s25
	s_load_b32 s25, s[34:35], 0x0
	s_mov_b32 s35, -1
                                        ; implicit-def: $sgpr34
	ds_load_b32 v4, v4 offset:1216
	s_waitcnt lgkmcnt(0)
	s_sub_i32 s36, s25, s17
                                        ; implicit-def: $sgpr25
	s_delay_alu instid0(SALU_CYCLE_1)
	v_cmp_ge_i32_e32 vcc_lo, s36, v4
	v_readfirstlane_b32 s31, v4
	s_cbranch_vccz .LBB25_18
; %bb.13:                               ;   in Loop: Header=BB25_12 Depth=2
	s_delay_alu instid0(VALU_DEP_1)
	s_cmp_le_i32 s36, s31
                                        ; implicit-def: $sgpr25
                                        ; implicit-def: $sgpr34
                                        ; implicit-def: $sgpr33
	s_cbranch_scc0 .LBB25_15
; %bb.14:                               ;   in Loop: Header=BB25_12 Depth=2
	s_add_i32 s25, s30, s27
	s_lshl_b32 s33, s29, 2
	s_mul_i32 s25, s25, 25
	s_mul_i32 s34, s24, 25
	s_delay_alu instid0(SALU_CYCLE_1)
	v_dual_mov_b32 v4, s25 :: v_dual_mov_b32 v5, s34
	v_add_nc_u32_e64 v6, 0x200, s33
	s_add_i32 s33, s30, 1
	s_add_i32 s34, s24, 1
	;; [unrolled: 1-line block ×3, first 2 shown]
	s_mov_b32 s35, 0
	ds_store_2addr_b32 v6, v5, v4 offset0:112 offset1:144
.LBB25_15:                              ;   in Loop: Header=BB25_12 Depth=2
	s_and_not1_b32 vcc_lo, exec_lo, s35
	s_cbranch_vccnz .LBB25_17
; %bb.16:                               ;   in Loop: Header=BB25_12 Depth=2
	s_add_i32 s33, s30, 1
	s_mov_b32 s25, s29
	s_mov_b32 s34, s24
.LBB25_17:                              ;   in Loop: Header=BB25_12 Depth=2
	s_mov_b32 s35, 0
.LBB25_18:                              ;   in Loop: Header=BB25_12 Depth=2
	s_delay_alu instid0(SALU_CYCLE_1)
	s_and_not1_b32 vcc_lo, exec_lo, s35
	s_cbranch_vccnz .LBB25_20
; %bb.19:                               ;   in Loop: Header=BB25_12 Depth=2
	s_add_i32 s34, s24, 1
	s_mov_b32 s33, s30
	s_mov_b32 s25, s29
.LBB25_20:                              ;   in Loop: Header=BB25_12 Depth=2
	s_cmp_le_i32 s34, s23
	s_cselect_b32 s24, -1, 0
	s_cmp_le_i32 s31, s22
	s_cselect_b32 s29, -1, 0
	s_delay_alu instid0(SALU_CYCLE_1) | instskip(NEXT) | instid1(SALU_CYCLE_1)
	s_and_b32 s24, s24, s29
	s_and_b32 vcc_lo, exec_lo, s24
	s_cbranch_vccz .LBB25_22
; %bb.21:                               ;   in Loop: Header=BB25_12 Depth=2
	s_mov_b32 s29, s25
	s_mov_b32 s24, s34
	;; [unrolled: 1-line block ×3, first 2 shown]
	s_branch .LBB25_12
.LBB25_22:                              ;   in Loop: Header=BB25_9 Depth=1
	s_add_u32 s20, s6, s20
	s_addc_u32 s21, s7, s21
	s_waitcnt lgkmcnt(0)
	buffer_gl0_inv
.LBB25_23:                              ;   Parent Loop BB25_9 Depth=1
                                        ; =>  This Inner Loop Header: Depth=2
	global_load_b32 v4, v0, s[20:21] glc
	s_waitcnt vmcnt(0)
	v_cmp_eq_u32_e32 vcc_lo, 0, v4
	s_cbranch_vccnz .LBB25_23
; %bb.24:                               ;   in Loop: Header=BB25_9 Depth=1
	v_mad_u64_u32 v[4:5], null, s23, 25, v[1:2]
	buffer_gl1_inv
	buffer_gl0_inv
	v_mov_b32_e32 v8, 0
	v_mov_b32_e32 v9, 0
	s_cmp_lt_i32 s25, 2
	v_ashrrev_i32_e32 v5, 31, v4
	s_delay_alu instid0(VALU_DEP_1) | instskip(NEXT) | instid1(VALU_DEP_1)
	v_lshlrev_b64 v[4:5], 3, v[4:5]
	v_add_co_u32 v4, vcc_lo, s18, v4
	s_delay_alu instid0(VALU_DEP_2)
	v_add_co_ci_u32_e32 v5, vcc_lo, s19, v5, vcc_lo
	global_load_b64 v[4:5], v[4:5], off
	s_waitcnt vmcnt(0)
	ds_store_b64 v15, v[4:5]
	s_waitcnt lgkmcnt(0)
	buffer_gl0_inv
	s_cbranch_scc1 .LBB25_31
; %bb.25:                               ;   in Loop: Header=BB25_9 Depth=1
	v_mov_b32_e32 v4, 0
	v_mov_b32_e32 v5, 0
	s_add_i32 s20, s25, -1
	s_movk_i32 s21, 0x3c0
	s_delay_alu instid0(SALU_CYCLE_1)
	v_mov_b32_e32 v6, s21
	s_and_b32 vcc_lo, exec_lo, s28
	ds_load_2addr_b32 v[6:7], v6 offset1:32
	s_cbranch_vccz .LBB25_27
.LBB25_26:                              ;   in Loop: Header=BB25_9 Depth=1
	s_waitcnt lgkmcnt(0)
	v_add_nc_u32_e32 v8, v6, v10
	v_add_nc_u32_e32 v23, v7, v11
	s_delay_alu instid0(VALU_DEP_2) | instskip(NEXT) | instid1(VALU_DEP_2)
	v_ashrrev_i32_e32 v9, 31, v8
	v_ashrrev_i32_e32 v24, 31, v23
	v_add_nc_u32_e32 v30, 5, v23
	v_add_nc_u32_e32 v32, 10, v8
	;; [unrolled: 1-line block ×3, first 2 shown]
	v_lshlrev_b64 v[25:26], 3, v[8:9]
	v_lshlrev_b64 v[27:28], 3, v[23:24]
	v_ashrrev_i32_e32 v31, 31, v30
	v_ashrrev_i32_e32 v33, 31, v32
	;; [unrolled: 1-line block ×3, first 2 shown]
	v_add_nc_u32_e32 v36, 15, v8
	v_add_co_u32 v24, vcc_lo, s18, v25
	v_add_co_ci_u32_e32 v25, vcc_lo, s19, v26, vcc_lo
	v_add_co_u32 v26, vcc_lo, s18, v27
	v_add_co_ci_u32_e32 v27, vcc_lo, s19, v28, vcc_lo
	v_add_nc_u32_e32 v28, 5, v8
	s_clause 0x1
	global_load_b64 v[24:25], v[24:25], off
	global_load_b64 v[26:27], v[26:27], off
	v_lshlrev_b64 v[30:31], 3, v[30:31]
	v_lshlrev_b64 v[32:33], 3, v[32:33]
	v_ashrrev_i32_e32 v29, 31, v28
	v_lshlrev_b64 v[34:35], 3, v[34:35]
	v_add_nc_u32_e32 v38, 15, v23
	v_ashrrev_i32_e32 v37, 31, v36
	v_add_nc_u32_e32 v8, 20, v8
	v_lshlrev_b64 v[28:29], 3, v[28:29]
	v_add_nc_u32_e32 v40, 20, v23
	v_ashrrev_i32_e32 v39, 31, v38
	v_lshlrev_b64 v[36:37], 3, v[36:37]
	v_ashrrev_i32_e32 v9, 31, v8
	v_add_co_u32 v28, vcc_lo, s18, v28
	v_add_co_ci_u32_e32 v29, vcc_lo, s19, v29, vcc_lo
	v_add_co_u32 v30, vcc_lo, s18, v30
	v_add_co_ci_u32_e32 v31, vcc_lo, s19, v31, vcc_lo
	s_clause 0x1
	global_load_b64 v[28:29], v[28:29], off
	global_load_b64 v[30:31], v[30:31], off
	v_add_co_u32 v32, vcc_lo, s18, v32
	v_add_co_ci_u32_e32 v33, vcc_lo, s19, v33, vcc_lo
	v_add_co_u32 v34, vcc_lo, s18, v34
	v_add_co_ci_u32_e32 v35, vcc_lo, s19, v35, vcc_lo
	s_clause 0x1
	global_load_b64 v[32:33], v[32:33], off
	global_load_b64 v[34:35], v[34:35], off
	v_lshlrev_b64 v[38:39], 3, v[38:39]
	v_add_co_u32 v36, vcc_lo, s18, v36
	v_add_co_ci_u32_e32 v37, vcc_lo, s19, v37, vcc_lo
	v_ashrrev_i32_e32 v41, 31, v40
	s_delay_alu instid0(VALU_DEP_4)
	v_add_co_u32 v38, vcc_lo, s18, v38
	v_add_co_ci_u32_e32 v39, vcc_lo, s19, v39, vcc_lo
	s_clause 0x1
	global_load_b64 v[36:37], v[36:37], off
	global_load_b64 v[38:39], v[38:39], off
	v_lshlrev_b64 v[8:9], 3, v[8:9]
	v_lshlrev_b64 v[40:41], 3, v[40:41]
	s_delay_alu instid0(VALU_DEP_2) | instskip(NEXT) | instid1(VALU_DEP_3)
	v_add_co_u32 v8, vcc_lo, s18, v8
	v_add_co_ci_u32_e32 v9, vcc_lo, s19, v9, vcc_lo
	s_delay_alu instid0(VALU_DEP_3) | instskip(NEXT) | instid1(VALU_DEP_4)
	v_add_co_u32 v40, vcc_lo, s18, v40
	v_add_co_ci_u32_e32 v41, vcc_lo, s19, v41, vcc_lo
	s_clause 0x1
	global_load_b64 v[8:9], v[8:9], off
	global_load_b64 v[40:41], v[40:41], off
	s_waitcnt vmcnt(8)
	v_fma_f64 v[23:24], v[24:25], v[26:27], v[4:5]
	s_waitcnt vmcnt(6)
	s_delay_alu instid0(VALU_DEP_1) | instskip(SKIP_1) | instid1(VALU_DEP_1)
	v_fma_f64 v[23:24], v[28:29], v[30:31], v[23:24]
	s_waitcnt vmcnt(4)
	v_fma_f64 v[23:24], v[32:33], v[34:35], v[23:24]
	s_waitcnt vmcnt(2)
	s_delay_alu instid0(VALU_DEP_1) | instskip(SKIP_1) | instid1(VALU_DEP_1)
	v_fma_f64 v[23:24], v[36:37], v[38:39], v[23:24]
	s_waitcnt vmcnt(0)
	v_fma_f64 v[8:9], v[8:9], v[40:41], v[23:24]
	s_cbranch_execz .LBB25_28
	s_branch .LBB25_29
.LBB25_27:                              ;   in Loop: Header=BB25_9 Depth=1
                                        ; implicit-def: $vgpr8_vgpr9
.LBB25_28:                              ;   in Loop: Header=BB25_9 Depth=1
	s_waitcnt lgkmcnt(0)
	v_add_nc_u32_e32 v6, v6, v19
	v_add_nc_u32_e32 v8, v7, v16
	s_delay_alu instid0(VALU_DEP_2) | instskip(NEXT) | instid1(VALU_DEP_2)
	v_ashrrev_i32_e32 v7, 31, v6
	v_ashrrev_i32_e32 v9, 31, v8
	s_delay_alu instid0(VALU_DEP_2) | instskip(NEXT) | instid1(VALU_DEP_2)
	v_lshlrev_b64 v[6:7], 3, v[6:7]
	v_lshlrev_b64 v[8:9], 3, v[8:9]
	s_delay_alu instid0(VALU_DEP_2) | instskip(NEXT) | instid1(VALU_DEP_3)
	v_add_co_u32 v35, vcc_lo, s18, v6
	v_add_co_ci_u32_e32 v36, vcc_lo, s19, v7, vcc_lo
	s_delay_alu instid0(VALU_DEP_3) | instskip(NEXT) | instid1(VALU_DEP_4)
	v_add_co_u32 v37, vcc_lo, s18, v8
	v_add_co_ci_u32_e32 v38, vcc_lo, s19, v9, vcc_lo
	s_clause 0x5
	global_load_b128 v[6:9], v[35:36], off
	global_load_b128 v[23:26], v[37:38], off
	global_load_b128 v[27:30], v[35:36], off offset:16
	global_load_b128 v[31:34], v[37:38], off offset:16
	global_load_b64 v[35:36], v[35:36], off offset:32
	global_load_b64 v[37:38], v[37:38], off offset:32
	s_waitcnt vmcnt(4)
	v_fma_f64 v[4:5], v[6:7], v[23:24], v[4:5]
	s_delay_alu instid0(VALU_DEP_1) | instskip(SKIP_1) | instid1(VALU_DEP_1)
	v_fma_f64 v[4:5], v[8:9], v[25:26], v[4:5]
	s_waitcnt vmcnt(2)
	v_fma_f64 v[4:5], v[27:28], v[31:32], v[4:5]
	s_delay_alu instid0(VALU_DEP_1) | instskip(SKIP_1) | instid1(VALU_DEP_1)
	v_fma_f64 v[4:5], v[29:30], v[33:34], v[4:5]
	s_waitcnt vmcnt(0)
	v_fma_f64 v[8:9], v[35:36], v[37:38], v[4:5]
.LBB25_29:                              ;   in Loop: Header=BB25_9 Depth=1
	s_add_i32 s20, s20, -1
	s_add_i32 s21, s21, 4
	s_cmp_eq_u32 s20, 0
	s_cbranch_scc1 .LBB25_31
; %bb.30:                               ;   in Loop: Header=BB25_9 Depth=1
	s_delay_alu instid0(VALU_DEP_1)
	v_dual_mov_b32 v4, v8 :: v_dual_mov_b32 v5, v9
	s_waitcnt lgkmcnt(0)
	v_mov_b32_e32 v6, s21
	s_and_b32 vcc_lo, exec_lo, s28
	ds_load_2addr_b32 v[6:7], v6 offset1:32
	s_cbranch_vccz .LBB25_27
	s_branch .LBB25_26
.LBB25_31:                              ;   in Loop: Header=BB25_9 Depth=1
	ds_store_b64 v21, v[8:9]
	s_waitcnt lgkmcnt(0)
	buffer_gl0_inv
	ds_load_b64 v[6:7], v0
	ds_load_b64 v[4:5], v17
	s_waitcnt lgkmcnt(1)
	v_cmp_neq_f64_e32 vcc_lo, 0, v[6:7]
	v_cndmask_b32_e32 v7, 0x3ff00000, v7, vcc_lo
	v_cndmask_b32_e32 v6, 0, v6, vcc_lo
	s_or_b32 s20, vcc_lo, s0
	s_delay_alu instid0(SALU_CYCLE_1) | instskip(NEXT) | instid1(SALU_CYCLE_1)
	s_xor_b32 s21, s20, -1
	s_and_saveexec_b32 s20, s21
	s_cbranch_execz .LBB25_35
; %bb.32:                               ;   in Loop: Header=BB25_9 Depth=1
	v_mbcnt_lo_u32_b32 v6, exec_lo, 0
	s_mov_b32 s21, exec_lo
	s_delay_alu instid0(VALU_DEP_1)
	v_cmpx_eq_u32_e32 0, v6
	s_cbranch_execz .LBB25_34
; %bb.33:                               ;   in Loop: Header=BB25_9 Depth=1
	v_mov_b32_e32 v6, s3
	global_atomic_min_i32 v0, v6, s[10:11]
.LBB25_34:                              ;   in Loop: Header=BB25_9 Depth=1
	s_or_b32 exec_lo, exec_lo, s21
	v_mov_b32_e32 v6, 0
	v_mov_b32_e32 v7, 0x3ff00000
.LBB25_35:                              ;   in Loop: Header=BB25_9 Depth=1
	s_or_b32 exec_lo, exec_lo, s20
	ds_load_b64 v[8:9], v18
	s_waitcnt lgkmcnt(0)
	v_add_f64 v[4:5], v[4:5], -v[8:9]
	s_delay_alu instid0(VALU_DEP_1) | instskip(SKIP_1) | instid1(VALU_DEP_2)
	v_div_scale_f64 v[8:9], null, v[6:7], v[6:7], v[4:5]
	v_div_scale_f64 v[27:28], vcc_lo, v[4:5], v[6:7], v[4:5]
	v_rcp_f64_e32 v[23:24], v[8:9]
	s_waitcnt_depctr 0xfff
	v_fma_f64 v[25:26], -v[8:9], v[23:24], 1.0
	s_delay_alu instid0(VALU_DEP_1) | instskip(NEXT) | instid1(VALU_DEP_1)
	v_fma_f64 v[23:24], v[23:24], v[25:26], v[23:24]
	v_fma_f64 v[25:26], -v[8:9], v[23:24], 1.0
	s_delay_alu instid0(VALU_DEP_1) | instskip(NEXT) | instid1(VALU_DEP_1)
	v_fma_f64 v[23:24], v[23:24], v[25:26], v[23:24]
	v_mul_f64 v[25:26], v[27:28], v[23:24]
	s_delay_alu instid0(VALU_DEP_1) | instskip(NEXT) | instid1(VALU_DEP_1)
	v_fma_f64 v[8:9], -v[8:9], v[25:26], v[27:28]
	v_div_fmas_f64 v[8:9], v[8:9], v[23:24], v[25:26]
	s_delay_alu instid0(VALU_DEP_1)
	v_div_fixup_f64 v[4:5], v[8:9], v[6:7], v[4:5]
	ds_store_b64 v17, v[4:5]
	s_waitcnt lgkmcnt(0)
	s_waitcnt_vscnt null, 0x0
	buffer_gl0_inv
	ds_load_b64 v[6:7], v22
	ds_load_b64 v[8:9], v14
	s_waitcnt lgkmcnt(0)
	v_fma_f64 v[4:5], v[4:5], v[6:7], v[8:9]
	ds_store_b64 v14, v[4:5]
	s_waitcnt lgkmcnt(0)
	buffer_gl0_inv
	ds_load_b64 v[6:7], v0 offset:56
	ds_load_b64 v[4:5], v17 offset:8
	s_waitcnt lgkmcnt(1)
	v_cmp_neq_f64_e32 vcc_lo, 0, v[6:7]
	v_cndmask_b32_e32 v7, 0x3ff00000, v7, vcc_lo
	v_cndmask_b32_e32 v6, 0, v6, vcc_lo
	s_or_b32 s20, vcc_lo, s0
	s_delay_alu instid0(SALU_CYCLE_1) | instskip(NEXT) | instid1(SALU_CYCLE_1)
	s_xor_b32 s21, s20, -1
	s_and_saveexec_b32 s20, s21
	s_cbranch_execz .LBB25_39
; %bb.36:                               ;   in Loop: Header=BB25_9 Depth=1
	v_mbcnt_lo_u32_b32 v6, exec_lo, 0
	s_mov_b32 s21, exec_lo
	s_delay_alu instid0(VALU_DEP_1)
	v_cmpx_eq_u32_e32 0, v6
	s_cbranch_execz .LBB25_38
; %bb.37:                               ;   in Loop: Header=BB25_9 Depth=1
	v_mov_b32_e32 v6, s3
	global_atomic_min_i32 v0, v6, s[10:11]
.LBB25_38:                              ;   in Loop: Header=BB25_9 Depth=1
	s_or_b32 exec_lo, exec_lo, s21
	v_mov_b32_e32 v6, 0
	v_mov_b32_e32 v7, 0x3ff00000
.LBB25_39:                              ;   in Loop: Header=BB25_9 Depth=1
	s_or_b32 exec_lo, exec_lo, s20
	ds_load_b64 v[8:9], v17
	ds_load_b64 v[23:24], v0 offset:48
	ds_load_b64 v[25:26], v18 offset:8
	s_waitcnt lgkmcnt(0)
	v_fma_f64 v[8:9], v[23:24], v[8:9], v[25:26]
	s_delay_alu instid0(VALU_DEP_1) | instskip(NEXT) | instid1(VALU_DEP_1)
	v_add_f64 v[4:5], v[4:5], -v[8:9]
	v_div_scale_f64 v[8:9], null, v[6:7], v[6:7], v[4:5]
	v_div_scale_f64 v[27:28], vcc_lo, v[4:5], v[6:7], v[4:5]
	s_delay_alu instid0(VALU_DEP_2) | instskip(SKIP_2) | instid1(VALU_DEP_1)
	v_rcp_f64_e32 v[23:24], v[8:9]
	s_waitcnt_depctr 0xfff
	v_fma_f64 v[25:26], -v[8:9], v[23:24], 1.0
	v_fma_f64 v[23:24], v[23:24], v[25:26], v[23:24]
	s_delay_alu instid0(VALU_DEP_1) | instskip(NEXT) | instid1(VALU_DEP_1)
	v_fma_f64 v[25:26], -v[8:9], v[23:24], 1.0
	v_fma_f64 v[23:24], v[23:24], v[25:26], v[23:24]
	s_delay_alu instid0(VALU_DEP_1) | instskip(NEXT) | instid1(VALU_DEP_1)
	v_mul_f64 v[25:26], v[27:28], v[23:24]
	v_fma_f64 v[8:9], -v[8:9], v[25:26], v[27:28]
	s_delay_alu instid0(VALU_DEP_1) | instskip(NEXT) | instid1(VALU_DEP_1)
	v_div_fmas_f64 v[8:9], v[8:9], v[23:24], v[25:26]
	v_div_fixup_f64 v[4:5], v[8:9], v[6:7], v[4:5]
	ds_store_b64 v17, v[4:5] offset:8
	s_waitcnt lgkmcnt(0)
	s_waitcnt_vscnt null, 0x0
	buffer_gl0_inv
	ds_load_b64 v[6:7], v22 offset:8
	ds_load_b64 v[8:9], v14
	s_waitcnt lgkmcnt(0)
	v_fma_f64 v[4:5], v[4:5], v[6:7], v[8:9]
	ds_store_b64 v14, v[4:5]
	s_waitcnt lgkmcnt(0)
	buffer_gl0_inv
	ds_load_b64 v[6:7], v0 offset:112
	ds_load_b64 v[4:5], v17 offset:16
	s_waitcnt lgkmcnt(1)
	v_cmp_neq_f64_e32 vcc_lo, 0, v[6:7]
	v_cndmask_b32_e32 v7, 0x3ff00000, v7, vcc_lo
	v_cndmask_b32_e32 v6, 0, v6, vcc_lo
	s_or_b32 s20, vcc_lo, s0
	s_delay_alu instid0(SALU_CYCLE_1) | instskip(NEXT) | instid1(SALU_CYCLE_1)
	s_xor_b32 s21, s20, -1
	s_and_saveexec_b32 s20, s21
	s_cbranch_execz .LBB25_43
; %bb.40:                               ;   in Loop: Header=BB25_9 Depth=1
	v_mbcnt_lo_u32_b32 v6, exec_lo, 0
	s_mov_b32 s21, exec_lo
	s_delay_alu instid0(VALU_DEP_1)
	v_cmpx_eq_u32_e32 0, v6
	s_cbranch_execz .LBB25_42
; %bb.41:                               ;   in Loop: Header=BB25_9 Depth=1
	v_mov_b32_e32 v6, s3
	global_atomic_min_i32 v0, v6, s[10:11]
.LBB25_42:                              ;   in Loop: Header=BB25_9 Depth=1
	s_or_b32 exec_lo, exec_lo, s21
	v_mov_b32_e32 v6, 0
	v_mov_b32_e32 v7, 0x3ff00000
.LBB25_43:                              ;   in Loop: Header=BB25_9 Depth=1
	s_or_b32 exec_lo, exec_lo, s20
	ds_load_b128 v[23:26], v0 offset:96
	ds_load_b128 v[27:30], v17
	ds_load_b64 v[8:9], v18 offset:16
	s_waitcnt lgkmcnt(0)
	v_fma_f64 v[8:9], v[23:24], v[27:28], v[8:9]
	s_delay_alu instid0(VALU_DEP_1) | instskip(NEXT) | instid1(VALU_DEP_1)
	v_fma_f64 v[8:9], v[25:26], v[29:30], v[8:9]
	v_add_f64 v[4:5], v[4:5], -v[8:9]
	s_delay_alu instid0(VALU_DEP_1) | instskip(SKIP_1) | instid1(VALU_DEP_2)
	v_div_scale_f64 v[8:9], null, v[6:7], v[6:7], v[4:5]
	v_div_scale_f64 v[27:28], vcc_lo, v[4:5], v[6:7], v[4:5]
	v_rcp_f64_e32 v[23:24], v[8:9]
	s_waitcnt_depctr 0xfff
	v_fma_f64 v[25:26], -v[8:9], v[23:24], 1.0
	s_delay_alu instid0(VALU_DEP_1) | instskip(NEXT) | instid1(VALU_DEP_1)
	v_fma_f64 v[23:24], v[23:24], v[25:26], v[23:24]
	v_fma_f64 v[25:26], -v[8:9], v[23:24], 1.0
	s_delay_alu instid0(VALU_DEP_1) | instskip(NEXT) | instid1(VALU_DEP_1)
	v_fma_f64 v[23:24], v[23:24], v[25:26], v[23:24]
	v_mul_f64 v[25:26], v[27:28], v[23:24]
	s_delay_alu instid0(VALU_DEP_1) | instskip(NEXT) | instid1(VALU_DEP_1)
	v_fma_f64 v[8:9], -v[8:9], v[25:26], v[27:28]
	v_div_fmas_f64 v[8:9], v[8:9], v[23:24], v[25:26]
	s_delay_alu instid0(VALU_DEP_1)
	v_div_fixup_f64 v[4:5], v[8:9], v[6:7], v[4:5]
	ds_store_b64 v17, v[4:5] offset:16
	s_waitcnt lgkmcnt(0)
	s_waitcnt_vscnt null, 0x0
	buffer_gl0_inv
	ds_load_b64 v[6:7], v22 offset:16
	ds_load_b64 v[8:9], v14
	s_waitcnt lgkmcnt(0)
	v_fma_f64 v[4:5], v[4:5], v[6:7], v[8:9]
	ds_store_b64 v14, v[4:5]
	s_waitcnt lgkmcnt(0)
	buffer_gl0_inv
	ds_load_b64 v[6:7], v0 offset:168
	ds_load_b64 v[4:5], v17 offset:24
	s_waitcnt lgkmcnt(1)
	v_cmp_neq_f64_e32 vcc_lo, 0, v[6:7]
	v_cndmask_b32_e32 v7, 0x3ff00000, v7, vcc_lo
	v_cndmask_b32_e32 v6, 0, v6, vcc_lo
	s_or_b32 s20, vcc_lo, s0
	s_delay_alu instid0(SALU_CYCLE_1) | instskip(NEXT) | instid1(SALU_CYCLE_1)
	s_xor_b32 s21, s20, -1
	s_and_saveexec_b32 s20, s21
	s_cbranch_execz .LBB25_47
; %bb.44:                               ;   in Loop: Header=BB25_9 Depth=1
	v_mbcnt_lo_u32_b32 v6, exec_lo, 0
	s_mov_b32 s21, exec_lo
	s_delay_alu instid0(VALU_DEP_1)
	v_cmpx_eq_u32_e32 0, v6
	s_cbranch_execz .LBB25_46
; %bb.45:                               ;   in Loop: Header=BB25_9 Depth=1
	v_mov_b32_e32 v6, s3
	global_atomic_min_i32 v0, v6, s[10:11]
.LBB25_46:                              ;   in Loop: Header=BB25_9 Depth=1
	s_or_b32 exec_lo, exec_lo, s21
	v_mov_b32_e32 v6, 0
	v_mov_b32_e32 v7, 0x3ff00000
.LBB25_47:                              ;   in Loop: Header=BB25_9 Depth=1
	s_or_b32 exec_lo, exec_lo, s20
	ds_load_b128 v[23:26], v0 offset:144
	ds_load_b64 v[8:9], v18 offset:24
	ds_load_b128 v[27:30], v17
	ds_load_b64 v[31:32], v17 offset:16
	s_waitcnt lgkmcnt(1)
	v_fma_f64 v[8:9], v[23:24], v[27:28], v[8:9]
	ds_load_b64 v[23:24], v0 offset:160
	v_fma_f64 v[8:9], v[25:26], v[29:30], v[8:9]
	s_waitcnt lgkmcnt(0)
	s_delay_alu instid0(VALU_DEP_1) | instskip(NEXT) | instid1(VALU_DEP_1)
	v_fma_f64 v[8:9], v[23:24], v[31:32], v[8:9]
	v_add_f64 v[4:5], v[4:5], -v[8:9]
	s_delay_alu instid0(VALU_DEP_1) | instskip(SKIP_1) | instid1(VALU_DEP_2)
	v_div_scale_f64 v[8:9], null, v[6:7], v[6:7], v[4:5]
	v_div_scale_f64 v[27:28], vcc_lo, v[4:5], v[6:7], v[4:5]
	v_rcp_f64_e32 v[23:24], v[8:9]
	s_waitcnt_depctr 0xfff
	v_fma_f64 v[25:26], -v[8:9], v[23:24], 1.0
	s_delay_alu instid0(VALU_DEP_1) | instskip(NEXT) | instid1(VALU_DEP_1)
	v_fma_f64 v[23:24], v[23:24], v[25:26], v[23:24]
	v_fma_f64 v[25:26], -v[8:9], v[23:24], 1.0
	s_delay_alu instid0(VALU_DEP_1) | instskip(NEXT) | instid1(VALU_DEP_1)
	v_fma_f64 v[23:24], v[23:24], v[25:26], v[23:24]
	v_mul_f64 v[25:26], v[27:28], v[23:24]
	s_delay_alu instid0(VALU_DEP_1) | instskip(NEXT) | instid1(VALU_DEP_1)
	v_fma_f64 v[8:9], -v[8:9], v[25:26], v[27:28]
	v_div_fmas_f64 v[8:9], v[8:9], v[23:24], v[25:26]
	s_delay_alu instid0(VALU_DEP_1)
	v_div_fixup_f64 v[4:5], v[8:9], v[6:7], v[4:5]
	ds_store_b64 v17, v[4:5] offset:24
	s_waitcnt lgkmcnt(0)
	s_waitcnt_vscnt null, 0x0
	buffer_gl0_inv
	ds_load_b64 v[6:7], v22 offset:24
	ds_load_b64 v[8:9], v14
	s_waitcnt lgkmcnt(0)
	v_fma_f64 v[4:5], v[4:5], v[6:7], v[8:9]
	ds_store_b64 v14, v[4:5]
	s_waitcnt lgkmcnt(0)
	buffer_gl0_inv
	ds_load_b64 v[6:7], v0 offset:224
	ds_load_b64 v[4:5], v17 offset:32
	s_waitcnt lgkmcnt(1)
	v_cmp_neq_f64_e32 vcc_lo, 0, v[6:7]
	v_cndmask_b32_e32 v7, 0x3ff00000, v7, vcc_lo
	v_cndmask_b32_e32 v6, 0, v6, vcc_lo
	s_or_b32 s20, vcc_lo, s0
	s_delay_alu instid0(SALU_CYCLE_1) | instskip(NEXT) | instid1(SALU_CYCLE_1)
	s_xor_b32 s21, s20, -1
	s_and_saveexec_b32 s20, s21
	s_cbranch_execz .LBB25_7
; %bb.48:                               ;   in Loop: Header=BB25_9 Depth=1
	v_mbcnt_lo_u32_b32 v6, exec_lo, 0
	s_mov_b32 s21, exec_lo
	s_delay_alu instid0(VALU_DEP_1)
	v_cmpx_eq_u32_e32 0, v6
	s_cbranch_execz .LBB25_6
; %bb.49:                               ;   in Loop: Header=BB25_9 Depth=1
	v_mov_b32_e32 v6, s3
	global_atomic_min_i32 v0, v6, s[10:11]
	s_branch .LBB25_6
.LBB25_50:
	v_mov_b32_e32 v0, v12
	s_cmp_lg_u32 s1, 0
	s_cselect_b32 s2, -1, 0
	s_cmp_eq_u32 s1, 0
	s_cbranch_scc1 .LBB25_52
; %bb.51:
	v_mad_u32_u24 v0, v10, 5, v11
.LBB25_52:
	s_mul_i32 s26, s26, 25
	s_mov_b32 s1, exec_lo
	s_delay_alu instid0(VALU_DEP_1) | instskip(NEXT) | instid1(VALU_DEP_1)
	v_add_nc_u32_e32 v0, s26, v0
	v_ashrrev_i32_e32 v1, 31, v0
	s_delay_alu instid0(VALU_DEP_1) | instskip(NEXT) | instid1(VALU_DEP_1)
	v_lshlrev_b64 v[0:1], 3, v[0:1]
	v_add_co_u32 v0, vcc_lo, s18, v0
	s_delay_alu instid0(VALU_DEP_2)
	v_add_co_ci_u32_e32 v1, vcc_lo, s19, v1, vcc_lo
	v_cmp_ne_u32_e32 vcc_lo, 0, v11
	global_load_b64 v[0:1], v[0:1], off
	s_waitcnt vmcnt(0)
	ds_store_b64 v15, v[0:1] offset:480
	s_waitcnt lgkmcnt(0)
	buffer_gl0_inv
	v_cmpx_eq_u32_e32 0, v11
	s_cbranch_execz .LBB25_54
; %bb.53:
	v_mov_b32_e32 v8, 0
	ds_load_2addr_b64 v[0:3], v8 offset0:60 offset1:90
	s_waitcnt lgkmcnt(0)
	v_add_f64 v[0:1], v[0:1], -v[2:3]
	s_delay_alu instid0(VALU_DEP_1) | instskip(SKIP_1) | instid1(VALU_DEP_1)
	v_cmp_gt_f64_e64 s0, 0, v[0:1]
	v_xor_b32_e32 v2, 0x80000000, v1
	v_cndmask_b32_e64 v1, v1, v2, s0
	v_cndmask_b32_e64 v0, v0, v0, s0
	s_delay_alu instid0(VALU_DEP_1) | instskip(NEXT) | instid1(VALU_DEP_1)
	v_cmp_gt_f64_e64 s0, 0x10000000, v[0:1]
	v_cndmask_b32_e64 v2, 0, 1, s0
	s_and_b32 s0, s0, exec_lo
	s_cselect_b32 s0, 0xffffff80, 0
	s_delay_alu instid0(VALU_DEP_1) | instskip(NEXT) | instid1(VALU_DEP_1)
	v_lshlrev_b32_e32 v2, 8, v2
	v_ldexp_f64 v[0:1], v[0:1], v2
	s_delay_alu instid0(VALU_DEP_1) | instskip(SKIP_3) | instid1(VALU_DEP_1)
	v_rsq_f64_e32 v[2:3], v[0:1]
	s_waitcnt_depctr 0xfff
	v_mul_f64 v[4:5], v[0:1], v[2:3]
	v_mul_f64 v[2:3], v[2:3], 0.5
	v_fma_f64 v[6:7], -v[2:3], v[4:5], 0.5
	s_delay_alu instid0(VALU_DEP_1) | instskip(SKIP_1) | instid1(VALU_DEP_2)
	v_fma_f64 v[4:5], v[4:5], v[6:7], v[4:5]
	v_fma_f64 v[2:3], v[2:3], v[6:7], v[2:3]
	v_fma_f64 v[6:7], -v[4:5], v[4:5], v[0:1]
	s_delay_alu instid0(VALU_DEP_1) | instskip(NEXT) | instid1(VALU_DEP_1)
	v_fma_f64 v[4:5], v[6:7], v[2:3], v[4:5]
	v_fma_f64 v[6:7], -v[4:5], v[4:5], v[0:1]
	s_delay_alu instid0(VALU_DEP_1) | instskip(NEXT) | instid1(VALU_DEP_1)
	v_fma_f64 v[2:3], v[6:7], v[2:3], v[4:5]
	v_ldexp_f64 v[2:3], v[2:3], s0
	v_cmp_class_f64_e64 s0, v[0:1], 0x260
	s_delay_alu instid0(VALU_DEP_1) | instskip(NEXT) | instid1(VALU_DEP_3)
	v_cndmask_b32_e64 v1, v3, v1, s0
	v_cndmask_b32_e64 v0, v2, v0, s0
	ds_store_b64 v8, v[0:1] offset:480
.LBB25_54:
	s_or_b32 exec_lo, exec_lo, s1
	v_mov_b32_e32 v0, 0
	s_waitcnt lgkmcnt(0)
	buffer_gl0_inv
	v_or_b32_e32 v2, v10, v11
	s_add_i32 s3, s16, s17
	ds_load_b64 v[0:1], v0 offset:480
	v_cmp_ne_u32_e64 s0, 0, v2
	s_waitcnt lgkmcnt(0)
	v_cmp_neq_f64_e64 s1, 0, v[0:1]
	s_delay_alu instid0(VALU_DEP_1) | instskip(SKIP_2) | instid1(SALU_CYCLE_1)
	v_cndmask_b32_e64 v1, 0x3ff00000, v1, s1
	v_cndmask_b32_e64 v0, 0, v0, s1
	s_or_b32 s1, s1, s0
	s_xor_b32 s1, s1, -1
	s_delay_alu instid0(SALU_CYCLE_1)
	s_and_saveexec_b32 s4, s1
	s_cbranch_execz .LBB25_58
; %bb.55:
	v_mbcnt_lo_u32_b32 v0, exec_lo, 0
	s_mov_b32 s5, exec_lo
	s_delay_alu instid0(VALU_DEP_1)
	v_cmpx_eq_u32_e32 0, v0
	s_cbranch_execz .LBB25_57
; %bb.56:
	v_dual_mov_b32 v0, 0 :: v_dual_mov_b32 v1, s3
	global_atomic_min_i32 v0, v1, s[10:11]
.LBB25_57:
	s_or_b32 exec_lo, exec_lo, s5
	v_mov_b32_e32 v0, 0
	v_mov_b32_e32 v1, 0x3ff00000
.LBB25_58:
	s_or_b32 exec_lo, exec_lo, s4
	s_and_saveexec_b32 s1, vcc_lo
	s_cbranch_execz .LBB25_60
; %bb.59:
	v_mul_u32_u24_e32 v9, 48, v11
	ds_load_2addr_b64 v[3:6], v9 offset0:60 offset1:90
	s_waitcnt lgkmcnt(0)
	v_add_f64 v[3:4], v[3:4], -v[5:6]
	s_delay_alu instid0(VALU_DEP_1) | instskip(SKIP_1) | instid1(VALU_DEP_2)
	v_div_scale_f64 v[5:6], null, v[0:1], v[0:1], v[3:4]
	v_div_scale_f64 v[18:19], vcc_lo, v[3:4], v[0:1], v[3:4]
	v_rcp_f64_e32 v[7:8], v[5:6]
	s_waitcnt_depctr 0xfff
	v_fma_f64 v[16:17], -v[5:6], v[7:8], 1.0
	s_delay_alu instid0(VALU_DEP_1) | instskip(NEXT) | instid1(VALU_DEP_1)
	v_fma_f64 v[7:8], v[7:8], v[16:17], v[7:8]
	v_fma_f64 v[16:17], -v[5:6], v[7:8], 1.0
	s_delay_alu instid0(VALU_DEP_1) | instskip(NEXT) | instid1(VALU_DEP_1)
	v_fma_f64 v[7:8], v[7:8], v[16:17], v[7:8]
	v_mul_f64 v[16:17], v[18:19], v[7:8]
	s_delay_alu instid0(VALU_DEP_1) | instskip(NEXT) | instid1(VALU_DEP_1)
	v_fma_f64 v[5:6], -v[5:6], v[16:17], v[18:19]
	v_div_fmas_f64 v[5:6], v[5:6], v[7:8], v[16:17]
	s_delay_alu instid0(VALU_DEP_1)
	v_div_fixup_f64 v[0:1], v[5:6], v[0:1], v[3:4]
	v_mul_u32_u24_e32 v3, 48, v10
	ds_store_b64 v9, v[0:1] offset:480
	s_waitcnt lgkmcnt(0)
	s_waitcnt_vscnt null, 0x0
	buffer_gl0_inv
	ds_load_b64 v[3:4], v3 offset:480
	ds_load_b64 v[5:6], v14
	s_waitcnt lgkmcnt(0)
	v_fma_f64 v[0:1], v[0:1], v[3:4], v[5:6]
	ds_store_b64 v14, v[0:1]
.LBB25_60:
	s_or_b32 exec_lo, exec_lo, s1
	s_delay_alu instid0(SALU_CYCLE_1)
	s_mov_b32 s1, exec_lo
	s_waitcnt lgkmcnt(0)
	s_waitcnt_vscnt null, 0x0
	buffer_gl0_inv
	v_cmpx_eq_u32_e32 1, v11
	s_cbranch_execz .LBB25_62
; %bb.61:
	v_mov_b32_e32 v9, 0
	ds_load_2addr_b64 v[3:6], v9 offset0:67 offset1:97
	s_waitcnt lgkmcnt(0)
	v_add_f64 v[0:1], v[3:4], -v[5:6]
	s_delay_alu instid0(VALU_DEP_1) | instskip(SKIP_1) | instid1(VALU_DEP_1)
	v_cmp_gt_f64_e32 vcc_lo, 0, v[0:1]
	v_xor_b32_e32 v3, 0x80000000, v1
	v_dual_cndmask_b32 v0, v0, v0 :: v_dual_cndmask_b32 v1, v1, v3
	s_delay_alu instid0(VALU_DEP_1) | instskip(SKIP_3) | instid1(VALU_DEP_1)
	v_cmp_gt_f64_e32 vcc_lo, 0x10000000, v[0:1]
	v_cndmask_b32_e64 v3, 0, 1, vcc_lo
	s_and_b32 s4, vcc_lo, exec_lo
	s_cselect_b32 s4, 0xffffff80, 0
	v_lshlrev_b32_e32 v3, 8, v3
	s_delay_alu instid0(VALU_DEP_1) | instskip(NEXT) | instid1(VALU_DEP_1)
	v_ldexp_f64 v[0:1], v[0:1], v3
	v_rsq_f64_e32 v[3:4], v[0:1]
	v_cmp_class_f64_e64 vcc_lo, v[0:1], 0x260
	s_waitcnt_depctr 0xfff
	v_mul_f64 v[5:6], v[0:1], v[3:4]
	v_mul_f64 v[3:4], v[3:4], 0.5
	s_delay_alu instid0(VALU_DEP_1) | instskip(NEXT) | instid1(VALU_DEP_1)
	v_fma_f64 v[7:8], -v[3:4], v[5:6], 0.5
	v_fma_f64 v[5:6], v[5:6], v[7:8], v[5:6]
	v_fma_f64 v[3:4], v[3:4], v[7:8], v[3:4]
	s_delay_alu instid0(VALU_DEP_2) | instskip(NEXT) | instid1(VALU_DEP_1)
	v_fma_f64 v[7:8], -v[5:6], v[5:6], v[0:1]
	v_fma_f64 v[5:6], v[7:8], v[3:4], v[5:6]
	s_delay_alu instid0(VALU_DEP_1) | instskip(NEXT) | instid1(VALU_DEP_1)
	v_fma_f64 v[7:8], -v[5:6], v[5:6], v[0:1]
	v_fma_f64 v[3:4], v[7:8], v[3:4], v[5:6]
	s_delay_alu instid0(VALU_DEP_1) | instskip(NEXT) | instid1(VALU_DEP_1)
	v_ldexp_f64 v[3:4], v[3:4], s4
	v_dual_cndmask_b32 v0, v3, v0 :: v_dual_cndmask_b32 v1, v4, v1
	ds_store_b64 v9, v[0:1] offset:536
.LBB25_62:
	s_or_b32 exec_lo, exec_lo, s1
	v_mov_b32_e32 v0, 0
	s_waitcnt lgkmcnt(0)
	buffer_gl0_inv
	ds_load_b64 v[0:1], v0 offset:536
	s_waitcnt lgkmcnt(0)
	v_cmp_neq_f64_e32 vcc_lo, 0, v[0:1]
	v_cndmask_b32_e32 v1, 0x3ff00000, v1, vcc_lo
	v_cndmask_b32_e32 v0, 0, v0, vcc_lo
	s_or_b32 s1, vcc_lo, s0
	s_delay_alu instid0(SALU_CYCLE_1) | instskip(NEXT) | instid1(SALU_CYCLE_1)
	s_xor_b32 s4, s1, -1
	s_and_saveexec_b32 s1, s4
	s_cbranch_execz .LBB25_66
; %bb.63:
	v_mbcnt_lo_u32_b32 v0, exec_lo, 0
	s_mov_b32 s4, exec_lo
	s_delay_alu instid0(VALU_DEP_1)
	v_cmpx_eq_u32_e32 0, v0
	s_cbranch_execz .LBB25_65
; %bb.64:
	v_dual_mov_b32 v0, 0 :: v_dual_mov_b32 v1, s3
	global_atomic_min_i32 v0, v1, s[10:11]
.LBB25_65:
	s_or_b32 exec_lo, exec_lo, s4
	v_mov_b32_e32 v0, 0
	v_mov_b32_e32 v1, 0x3ff00000
.LBB25_66:
	s_or_b32 exec_lo, exec_lo, s1
	s_delay_alu instid0(SALU_CYCLE_1)
	s_mov_b32 s1, exec_lo
	v_cmpx_lt_u32_e32 1, v11
	s_cbranch_execz .LBB25_68
; %bb.67:
	v_mul_u32_u24_e32 v9, 48, v11
	ds_load_2addr_b64 v[3:6], v9 offset0:61 offset1:91
	s_waitcnt lgkmcnt(0)
	v_add_f64 v[3:4], v[3:4], -v[5:6]
	s_delay_alu instid0(VALU_DEP_1) | instskip(SKIP_1) | instid1(VALU_DEP_2)
	v_div_scale_f64 v[5:6], null, v[0:1], v[0:1], v[3:4]
	v_div_scale_f64 v[18:19], vcc_lo, v[3:4], v[0:1], v[3:4]
	v_rcp_f64_e32 v[7:8], v[5:6]
	s_waitcnt_depctr 0xfff
	v_fma_f64 v[16:17], -v[5:6], v[7:8], 1.0
	s_delay_alu instid0(VALU_DEP_1) | instskip(NEXT) | instid1(VALU_DEP_1)
	v_fma_f64 v[7:8], v[7:8], v[16:17], v[7:8]
	v_fma_f64 v[16:17], -v[5:6], v[7:8], 1.0
	s_delay_alu instid0(VALU_DEP_1) | instskip(NEXT) | instid1(VALU_DEP_1)
	v_fma_f64 v[7:8], v[7:8], v[16:17], v[7:8]
	v_mul_f64 v[16:17], v[18:19], v[7:8]
	s_delay_alu instid0(VALU_DEP_1) | instskip(NEXT) | instid1(VALU_DEP_1)
	v_fma_f64 v[5:6], -v[5:6], v[16:17], v[18:19]
	v_div_fmas_f64 v[5:6], v[5:6], v[7:8], v[16:17]
	s_delay_alu instid0(VALU_DEP_1)
	v_div_fixup_f64 v[0:1], v[5:6], v[0:1], v[3:4]
	v_mul_u32_u24_e32 v3, 48, v10
	ds_store_b64 v9, v[0:1] offset:488
	s_waitcnt lgkmcnt(0)
	s_waitcnt_vscnt null, 0x0
	buffer_gl0_inv
	ds_load_b64 v[3:4], v3 offset:488
	ds_load_b64 v[5:6], v14
	s_waitcnt lgkmcnt(0)
	v_fma_f64 v[0:1], v[0:1], v[3:4], v[5:6]
	ds_store_b64 v14, v[0:1]
.LBB25_68:
	s_or_b32 exec_lo, exec_lo, s1
	s_delay_alu instid0(SALU_CYCLE_1)
	s_mov_b32 s1, exec_lo
	s_waitcnt lgkmcnt(0)
	s_waitcnt_vscnt null, 0x0
	buffer_gl0_inv
	v_cmpx_eq_u32_e32 2, v11
	s_cbranch_execz .LBB25_70
; %bb.69:
	v_mov_b32_e32 v9, 0
	ds_load_2addr_b64 v[3:6], v9 offset0:74 offset1:104
	s_waitcnt lgkmcnt(0)
	v_add_f64 v[0:1], v[3:4], -v[5:6]
	s_delay_alu instid0(VALU_DEP_1) | instskip(SKIP_1) | instid1(VALU_DEP_1)
	v_cmp_gt_f64_e32 vcc_lo, 0, v[0:1]
	v_xor_b32_e32 v3, 0x80000000, v1
	v_dual_cndmask_b32 v0, v0, v0 :: v_dual_cndmask_b32 v1, v1, v3
	s_delay_alu instid0(VALU_DEP_1) | instskip(SKIP_3) | instid1(VALU_DEP_1)
	v_cmp_gt_f64_e32 vcc_lo, 0x10000000, v[0:1]
	v_cndmask_b32_e64 v3, 0, 1, vcc_lo
	s_and_b32 s4, vcc_lo, exec_lo
	s_cselect_b32 s4, 0xffffff80, 0
	v_lshlrev_b32_e32 v3, 8, v3
	s_delay_alu instid0(VALU_DEP_1) | instskip(NEXT) | instid1(VALU_DEP_1)
	v_ldexp_f64 v[0:1], v[0:1], v3
	v_rsq_f64_e32 v[3:4], v[0:1]
	v_cmp_class_f64_e64 vcc_lo, v[0:1], 0x260
	s_waitcnt_depctr 0xfff
	v_mul_f64 v[5:6], v[0:1], v[3:4]
	v_mul_f64 v[3:4], v[3:4], 0.5
	s_delay_alu instid0(VALU_DEP_1) | instskip(NEXT) | instid1(VALU_DEP_1)
	v_fma_f64 v[7:8], -v[3:4], v[5:6], 0.5
	v_fma_f64 v[5:6], v[5:6], v[7:8], v[5:6]
	v_fma_f64 v[3:4], v[3:4], v[7:8], v[3:4]
	s_delay_alu instid0(VALU_DEP_2) | instskip(NEXT) | instid1(VALU_DEP_1)
	v_fma_f64 v[7:8], -v[5:6], v[5:6], v[0:1]
	v_fma_f64 v[5:6], v[7:8], v[3:4], v[5:6]
	s_delay_alu instid0(VALU_DEP_1) | instskip(NEXT) | instid1(VALU_DEP_1)
	v_fma_f64 v[7:8], -v[5:6], v[5:6], v[0:1]
	v_fma_f64 v[3:4], v[7:8], v[3:4], v[5:6]
	s_delay_alu instid0(VALU_DEP_1) | instskip(NEXT) | instid1(VALU_DEP_1)
	v_ldexp_f64 v[3:4], v[3:4], s4
	v_dual_cndmask_b32 v0, v3, v0 :: v_dual_cndmask_b32 v1, v4, v1
	ds_store_b64 v9, v[0:1] offset:592
.LBB25_70:
	s_or_b32 exec_lo, exec_lo, s1
	v_mov_b32_e32 v0, 0
	s_waitcnt lgkmcnt(0)
	buffer_gl0_inv
	ds_load_b64 v[0:1], v0 offset:592
	s_waitcnt lgkmcnt(0)
	v_cmp_neq_f64_e32 vcc_lo, 0, v[0:1]
	v_cndmask_b32_e32 v1, 0x3ff00000, v1, vcc_lo
	v_cndmask_b32_e32 v0, 0, v0, vcc_lo
	s_or_b32 s1, vcc_lo, s0
	s_delay_alu instid0(SALU_CYCLE_1) | instskip(NEXT) | instid1(SALU_CYCLE_1)
	s_xor_b32 s4, s1, -1
	s_and_saveexec_b32 s1, s4
	s_cbranch_execz .LBB25_74
; %bb.71:
	v_mbcnt_lo_u32_b32 v0, exec_lo, 0
	s_mov_b32 s4, exec_lo
	s_delay_alu instid0(VALU_DEP_1)
	v_cmpx_eq_u32_e32 0, v0
	s_cbranch_execz .LBB25_73
; %bb.72:
	v_dual_mov_b32 v0, 0 :: v_dual_mov_b32 v1, s3
	global_atomic_min_i32 v0, v1, s[10:11]
.LBB25_73:
	s_or_b32 exec_lo, exec_lo, s4
	v_mov_b32_e32 v0, 0
	v_mov_b32_e32 v1, 0x3ff00000
.LBB25_74:
	s_or_b32 exec_lo, exec_lo, s1
	s_delay_alu instid0(SALU_CYCLE_1)
	s_mov_b32 s1, exec_lo
	v_cmpx_lt_u32_e32 2, v11
	s_cbranch_execz .LBB25_76
; %bb.75:
	v_mul_u32_u24_e32 v9, 48, v11
	ds_load_2addr_b64 v[3:6], v9 offset0:62 offset1:92
	s_waitcnt lgkmcnt(0)
	v_add_f64 v[3:4], v[3:4], -v[5:6]
	s_delay_alu instid0(VALU_DEP_1) | instskip(SKIP_1) | instid1(VALU_DEP_2)
	v_div_scale_f64 v[5:6], null, v[0:1], v[0:1], v[3:4]
	v_div_scale_f64 v[18:19], vcc_lo, v[3:4], v[0:1], v[3:4]
	v_rcp_f64_e32 v[7:8], v[5:6]
	s_waitcnt_depctr 0xfff
	v_fma_f64 v[16:17], -v[5:6], v[7:8], 1.0
	s_delay_alu instid0(VALU_DEP_1) | instskip(NEXT) | instid1(VALU_DEP_1)
	v_fma_f64 v[7:8], v[7:8], v[16:17], v[7:8]
	v_fma_f64 v[16:17], -v[5:6], v[7:8], 1.0
	s_delay_alu instid0(VALU_DEP_1) | instskip(NEXT) | instid1(VALU_DEP_1)
	v_fma_f64 v[7:8], v[7:8], v[16:17], v[7:8]
	v_mul_f64 v[16:17], v[18:19], v[7:8]
	s_delay_alu instid0(VALU_DEP_1) | instskip(NEXT) | instid1(VALU_DEP_1)
	v_fma_f64 v[5:6], -v[5:6], v[16:17], v[18:19]
	v_div_fmas_f64 v[5:6], v[5:6], v[7:8], v[16:17]
	s_delay_alu instid0(VALU_DEP_1)
	v_div_fixup_f64 v[0:1], v[5:6], v[0:1], v[3:4]
	v_mul_u32_u24_e32 v3, 48, v10
	ds_store_b64 v9, v[0:1] offset:496
	s_waitcnt lgkmcnt(0)
	s_waitcnt_vscnt null, 0x0
	buffer_gl0_inv
	ds_load_b64 v[3:4], v3 offset:496
	ds_load_b64 v[5:6], v14
	s_waitcnt lgkmcnt(0)
	v_fma_f64 v[0:1], v[0:1], v[3:4], v[5:6]
	ds_store_b64 v14, v[0:1]
.LBB25_76:
	s_or_b32 exec_lo, exec_lo, s1
	s_delay_alu instid0(SALU_CYCLE_1)
	s_mov_b32 s1, exec_lo
	s_waitcnt lgkmcnt(0)
	s_waitcnt_vscnt null, 0x0
	buffer_gl0_inv
	v_cmpx_eq_u32_e32 3, v11
	s_cbranch_execz .LBB25_78
; %bb.77:
	v_mov_b32_e32 v9, 0
	ds_load_2addr_b64 v[3:6], v9 offset0:81 offset1:111
	s_waitcnt lgkmcnt(0)
	v_add_f64 v[0:1], v[3:4], -v[5:6]
	s_delay_alu instid0(VALU_DEP_1) | instskip(SKIP_1) | instid1(VALU_DEP_1)
	v_cmp_gt_f64_e32 vcc_lo, 0, v[0:1]
	v_xor_b32_e32 v3, 0x80000000, v1
	v_dual_cndmask_b32 v0, v0, v0 :: v_dual_cndmask_b32 v1, v1, v3
	s_delay_alu instid0(VALU_DEP_1) | instskip(SKIP_3) | instid1(VALU_DEP_1)
	v_cmp_gt_f64_e32 vcc_lo, 0x10000000, v[0:1]
	v_cndmask_b32_e64 v3, 0, 1, vcc_lo
	s_and_b32 s4, vcc_lo, exec_lo
	s_cselect_b32 s4, 0xffffff80, 0
	v_lshlrev_b32_e32 v3, 8, v3
	s_delay_alu instid0(VALU_DEP_1) | instskip(NEXT) | instid1(VALU_DEP_1)
	v_ldexp_f64 v[0:1], v[0:1], v3
	v_rsq_f64_e32 v[3:4], v[0:1]
	v_cmp_class_f64_e64 vcc_lo, v[0:1], 0x260
	s_waitcnt_depctr 0xfff
	v_mul_f64 v[5:6], v[0:1], v[3:4]
	v_mul_f64 v[3:4], v[3:4], 0.5
	s_delay_alu instid0(VALU_DEP_1) | instskip(NEXT) | instid1(VALU_DEP_1)
	v_fma_f64 v[7:8], -v[3:4], v[5:6], 0.5
	v_fma_f64 v[5:6], v[5:6], v[7:8], v[5:6]
	v_fma_f64 v[3:4], v[3:4], v[7:8], v[3:4]
	s_delay_alu instid0(VALU_DEP_2) | instskip(NEXT) | instid1(VALU_DEP_1)
	v_fma_f64 v[7:8], -v[5:6], v[5:6], v[0:1]
	v_fma_f64 v[5:6], v[7:8], v[3:4], v[5:6]
	s_delay_alu instid0(VALU_DEP_1) | instskip(NEXT) | instid1(VALU_DEP_1)
	v_fma_f64 v[7:8], -v[5:6], v[5:6], v[0:1]
	v_fma_f64 v[3:4], v[7:8], v[3:4], v[5:6]
	s_delay_alu instid0(VALU_DEP_1) | instskip(NEXT) | instid1(VALU_DEP_1)
	v_ldexp_f64 v[3:4], v[3:4], s4
	v_dual_cndmask_b32 v0, v3, v0 :: v_dual_cndmask_b32 v1, v4, v1
	ds_store_b64 v9, v[0:1] offset:648
.LBB25_78:
	s_or_b32 exec_lo, exec_lo, s1
	v_mov_b32_e32 v0, 0
	s_waitcnt lgkmcnt(0)
	buffer_gl0_inv
	ds_load_b64 v[0:1], v0 offset:648
	s_waitcnt lgkmcnt(0)
	v_cmp_neq_f64_e32 vcc_lo, 0, v[0:1]
	v_cndmask_b32_e32 v1, 0x3ff00000, v1, vcc_lo
	v_cndmask_b32_e32 v0, 0, v0, vcc_lo
	s_or_b32 s1, vcc_lo, s0
	s_delay_alu instid0(SALU_CYCLE_1) | instskip(NEXT) | instid1(SALU_CYCLE_1)
	s_xor_b32 s4, s1, -1
	s_and_saveexec_b32 s1, s4
	s_cbranch_execz .LBB25_82
; %bb.79:
	v_mbcnt_lo_u32_b32 v0, exec_lo, 0
	s_mov_b32 s4, exec_lo
	s_delay_alu instid0(VALU_DEP_1)
	v_cmpx_eq_u32_e32 0, v0
	s_cbranch_execz .LBB25_81
; %bb.80:
	v_dual_mov_b32 v0, 0 :: v_dual_mov_b32 v1, s3
	global_atomic_min_i32 v0, v1, s[10:11]
.LBB25_81:
	s_or_b32 exec_lo, exec_lo, s4
	v_mov_b32_e32 v0, 0
	v_mov_b32_e32 v1, 0x3ff00000
.LBB25_82:
	s_or_b32 exec_lo, exec_lo, s1
	s_delay_alu instid0(SALU_CYCLE_1)
	s_mov_b32 s1, exec_lo
	v_cmpx_lt_u32_e32 3, v11
	s_cbranch_execz .LBB25_84
; %bb.83:
	v_mul_u32_u24_e32 v9, 48, v11
	ds_load_2addr_b64 v[3:6], v9 offset0:63 offset1:93
	s_waitcnt lgkmcnt(0)
	v_add_f64 v[3:4], v[3:4], -v[5:6]
	s_delay_alu instid0(VALU_DEP_1) | instskip(SKIP_1) | instid1(VALU_DEP_2)
	v_div_scale_f64 v[5:6], null, v[0:1], v[0:1], v[3:4]
	v_div_scale_f64 v[18:19], vcc_lo, v[3:4], v[0:1], v[3:4]
	v_rcp_f64_e32 v[7:8], v[5:6]
	s_waitcnt_depctr 0xfff
	v_fma_f64 v[16:17], -v[5:6], v[7:8], 1.0
	s_delay_alu instid0(VALU_DEP_1) | instskip(NEXT) | instid1(VALU_DEP_1)
	v_fma_f64 v[7:8], v[7:8], v[16:17], v[7:8]
	v_fma_f64 v[16:17], -v[5:6], v[7:8], 1.0
	s_delay_alu instid0(VALU_DEP_1) | instskip(NEXT) | instid1(VALU_DEP_1)
	v_fma_f64 v[7:8], v[7:8], v[16:17], v[7:8]
	v_mul_f64 v[16:17], v[18:19], v[7:8]
	s_delay_alu instid0(VALU_DEP_1) | instskip(NEXT) | instid1(VALU_DEP_1)
	v_fma_f64 v[5:6], -v[5:6], v[16:17], v[18:19]
	v_div_fmas_f64 v[5:6], v[5:6], v[7:8], v[16:17]
	s_delay_alu instid0(VALU_DEP_1)
	v_div_fixup_f64 v[0:1], v[5:6], v[0:1], v[3:4]
	v_mul_u32_u24_e32 v3, 48, v10
	ds_store_b64 v9, v[0:1] offset:504
	s_waitcnt lgkmcnt(0)
	s_waitcnt_vscnt null, 0x0
	buffer_gl0_inv
	ds_load_b64 v[3:4], v3 offset:504
	ds_load_b64 v[5:6], v14
	s_waitcnt lgkmcnt(0)
	v_fma_f64 v[0:1], v[0:1], v[3:4], v[5:6]
	ds_store_b64 v14, v[0:1]
.LBB25_84:
	s_or_b32 exec_lo, exec_lo, s1
	s_delay_alu instid0(SALU_CYCLE_1)
	s_mov_b32 s1, exec_lo
	s_waitcnt lgkmcnt(0)
	s_waitcnt_vscnt null, 0x0
	buffer_gl0_inv
	v_cmpx_eq_u32_e32 4, v11
	s_cbranch_execz .LBB25_86
; %bb.85:
	v_mov_b32_e32 v9, 0
	ds_load_2addr_b64 v[3:6], v9 offset0:88 offset1:118
	s_waitcnt lgkmcnt(0)
	v_add_f64 v[0:1], v[3:4], -v[5:6]
	s_delay_alu instid0(VALU_DEP_1) | instskip(SKIP_1) | instid1(VALU_DEP_1)
	v_cmp_gt_f64_e32 vcc_lo, 0, v[0:1]
	v_xor_b32_e32 v3, 0x80000000, v1
	v_dual_cndmask_b32 v0, v0, v0 :: v_dual_cndmask_b32 v1, v1, v3
	s_delay_alu instid0(VALU_DEP_1) | instskip(SKIP_3) | instid1(VALU_DEP_1)
	v_cmp_gt_f64_e32 vcc_lo, 0x10000000, v[0:1]
	v_cndmask_b32_e64 v3, 0, 1, vcc_lo
	s_and_b32 s4, vcc_lo, exec_lo
	s_cselect_b32 s4, 0xffffff80, 0
	v_lshlrev_b32_e32 v3, 8, v3
	s_delay_alu instid0(VALU_DEP_1) | instskip(NEXT) | instid1(VALU_DEP_1)
	v_ldexp_f64 v[0:1], v[0:1], v3
	v_rsq_f64_e32 v[3:4], v[0:1]
	v_cmp_class_f64_e64 vcc_lo, v[0:1], 0x260
	s_waitcnt_depctr 0xfff
	v_mul_f64 v[5:6], v[0:1], v[3:4]
	v_mul_f64 v[3:4], v[3:4], 0.5
	s_delay_alu instid0(VALU_DEP_1) | instskip(NEXT) | instid1(VALU_DEP_1)
	v_fma_f64 v[7:8], -v[3:4], v[5:6], 0.5
	v_fma_f64 v[5:6], v[5:6], v[7:8], v[5:6]
	v_fma_f64 v[3:4], v[3:4], v[7:8], v[3:4]
	s_delay_alu instid0(VALU_DEP_2) | instskip(NEXT) | instid1(VALU_DEP_1)
	v_fma_f64 v[7:8], -v[5:6], v[5:6], v[0:1]
	v_fma_f64 v[5:6], v[7:8], v[3:4], v[5:6]
	s_delay_alu instid0(VALU_DEP_1) | instskip(NEXT) | instid1(VALU_DEP_1)
	v_fma_f64 v[7:8], -v[5:6], v[5:6], v[0:1]
	v_fma_f64 v[3:4], v[7:8], v[3:4], v[5:6]
	s_delay_alu instid0(VALU_DEP_1) | instskip(NEXT) | instid1(VALU_DEP_1)
	v_ldexp_f64 v[3:4], v[3:4], s4
	v_dual_cndmask_b32 v0, v3, v0 :: v_dual_cndmask_b32 v1, v4, v1
	ds_store_b64 v9, v[0:1] offset:704
.LBB25_86:
	s_or_b32 exec_lo, exec_lo, s1
	v_mov_b32_e32 v0, 0
	s_waitcnt lgkmcnt(0)
	buffer_gl0_inv
	ds_load_b64 v[0:1], v0 offset:704
	s_waitcnt lgkmcnt(0)
	v_cmp_neq_f64_e32 vcc_lo, 0, v[0:1]
	v_cndmask_b32_e32 v1, 0x3ff00000, v1, vcc_lo
	v_cndmask_b32_e32 v0, 0, v0, vcc_lo
	s_or_b32 s0, vcc_lo, s0
	s_delay_alu instid0(SALU_CYCLE_1) | instskip(NEXT) | instid1(SALU_CYCLE_1)
	s_xor_b32 s1, s0, -1
	s_and_saveexec_b32 s0, s1
	s_cbranch_execz .LBB25_90
; %bb.87:
	v_mbcnt_lo_u32_b32 v0, exec_lo, 0
	s_mov_b32 s1, exec_lo
	s_delay_alu instid0(VALU_DEP_1)
	v_cmpx_eq_u32_e32 0, v0
	s_cbranch_execz .LBB25_89
; %bb.88:
	v_dual_mov_b32 v0, 0 :: v_dual_mov_b32 v1, s3
	global_atomic_min_i32 v0, v1, s[10:11]
.LBB25_89:
	s_or_b32 exec_lo, exec_lo, s1
	v_mov_b32_e32 v0, 0
	v_mov_b32_e32 v1, 0x3ff00000
.LBB25_90:
	s_or_b32 exec_lo, exec_lo, s0
	v_add_nc_u32_e32 v3, 0x1e0, v15
	s_mov_b32 s0, exec_lo
	v_cmpx_lt_u32_e32 4, v11
	s_cbranch_execz .LBB25_92
; %bb.91:
	v_mul_u32_u24_e32 v19, 48, v11
	ds_load_2addr_b64 v[4:7], v19 offset0:64 offset1:94
	s_waitcnt lgkmcnt(0)
	v_add_f64 v[4:5], v[4:5], -v[6:7]
	s_delay_alu instid0(VALU_DEP_1) | instskip(SKIP_1) | instid1(VALU_DEP_2)
	v_div_scale_f64 v[6:7], null, v[0:1], v[0:1], v[4:5]
	v_div_scale_f64 v[17:18], vcc_lo, v[4:5], v[0:1], v[4:5]
	v_rcp_f64_e32 v[8:9], v[6:7]
	s_waitcnt_depctr 0xfff
	v_fma_f64 v[15:16], -v[6:7], v[8:9], 1.0
	s_delay_alu instid0(VALU_DEP_1) | instskip(NEXT) | instid1(VALU_DEP_1)
	v_fma_f64 v[8:9], v[8:9], v[15:16], v[8:9]
	v_fma_f64 v[15:16], -v[6:7], v[8:9], 1.0
	s_delay_alu instid0(VALU_DEP_1) | instskip(NEXT) | instid1(VALU_DEP_1)
	v_fma_f64 v[8:9], v[8:9], v[15:16], v[8:9]
	v_mul_f64 v[15:16], v[17:18], v[8:9]
	s_delay_alu instid0(VALU_DEP_1) | instskip(NEXT) | instid1(VALU_DEP_1)
	v_fma_f64 v[6:7], -v[6:7], v[15:16], v[17:18]
	v_div_fmas_f64 v[6:7], v[6:7], v[8:9], v[15:16]
	s_delay_alu instid0(VALU_DEP_1)
	v_div_fixup_f64 v[0:1], v[6:7], v[0:1], v[4:5]
	v_mul_u32_u24_e32 v4, 48, v10
	ds_store_b64 v19, v[0:1] offset:512
	s_waitcnt lgkmcnt(0)
	s_waitcnt_vscnt null, 0x0
	buffer_gl0_inv
	ds_load_b64 v[4:5], v4 offset:512
	ds_load_b64 v[6:7], v14
	s_waitcnt lgkmcnt(0)
	v_fma_f64 v[0:1], v[0:1], v[4:5], v[6:7]
	ds_store_b64 v14, v[0:1]
.LBB25_92:
	s_or_b32 exec_lo, exec_lo, s0
	s_waitcnt lgkmcnt(0)
	s_waitcnt_vscnt null, 0x0
	buffer_gl0_inv
	ds_load_b64 v[0:1], v3
	s_and_not1_b32 vcc_lo, exec_lo, s2
	s_cbranch_vccnz .LBB25_94
; %bb.93:
	v_mov_b32_e32 v12, v13
.LBB25_94:
	s_delay_alu instid0(VALU_DEP_1) | instskip(SKIP_1) | instid1(VALU_DEP_2)
	v_add_nc_u32_e32 v3, s26, v12
	v_cmp_eq_u32_e64 s3, 0, v2
	v_ashrrev_i32_e32 v4, 31, v3
	s_delay_alu instid0(VALU_DEP_1) | instskip(NEXT) | instid1(VALU_DEP_1)
	v_lshlrev_b64 v[3:4], 3, v[3:4]
	v_add_co_u32 v3, vcc_lo, s18, v3
	s_delay_alu instid0(VALU_DEP_2)
	v_add_co_ci_u32_e32 v4, vcc_lo, s19, v4, vcc_lo
	s_waitcnt lgkmcnt(0)
	global_store_b64 v[3:4], v[0:1], off
.LBB25_95:
	s_and_saveexec_b32 s0, s3
	s_cbranch_execnz .LBB25_103
.LBB25_96:
	s_nop 0
	s_sendmsg sendmsg(MSG_DEALLOC_VGPRS)
	s_endpgm
.LBB25_97:
	s_cbranch_execz .LBB25_95
; %bb.98:
	v_or_b32_e32 v0, v10, v11
	s_mov_b32 s0, exec_lo
	s_delay_alu instid0(VALU_DEP_1)
	v_cmpx_eq_u32_e32 0, v0
	s_cbranch_execz .LBB25_102
; %bb.99:
	v_mbcnt_lo_u32_b32 v0, exec_lo, 0
	s_mov_b32 s1, exec_lo
	s_delay_alu instid0(VALU_DEP_1)
	v_cmpx_eq_u32_e32 0, v0
	s_cbranch_execz .LBB25_101
; %bb.100:
	s_add_i32 s2, s16, s17
	s_delay_alu instid0(SALU_CYCLE_1)
	v_dual_mov_b32 v0, 0 :: v_dual_mov_b32 v1, s2
	global_atomic_min_i32 v0, v1, s[10:11]
.LBB25_101:
	s_or_b32 exec_lo, exec_lo, s1
	s_delay_alu instid0(SALU_CYCLE_1)
	s_or_b32 s3, s3, exec_lo
.LBB25_102:
	s_or_b32 exec_lo, exec_lo, s0
	s_and_saveexec_b32 s0, s3
	s_cbranch_execz .LBB25_96
.LBB25_103:
	v_dual_mov_b32 v0, 0 :: v_dual_mov_b32 v1, 1
	s_add_u32 s0, s6, s8
	s_addc_u32 s1, s7, s9
	s_waitcnt_vscnt null, 0x0
	global_store_b32 v0, v1, s[0:1]
	s_nop 0
	s_sendmsg sendmsg(MSG_DEALLOC_VGPRS)
	s_endpgm
	.section	.rodata,"a",@progbits
	.p2align	6, 0x0
	.amdhsa_kernel _ZN9rocsparseL26bsric0_2_8_unrolled_kernelILi25ELi32ELi5EdEEv20rocsparse_direction_iiPKiS3_PT2_S3_PiS3_S6_21rocsparse_index_base_
		.amdhsa_group_segment_fixed_size 1344
		.amdhsa_private_segment_fixed_size 0
		.amdhsa_kernarg_size 76
		.amdhsa_user_sgpr_count 15
		.amdhsa_user_sgpr_dispatch_ptr 0
		.amdhsa_user_sgpr_queue_ptr 0
		.amdhsa_user_sgpr_kernarg_segment_ptr 1
		.amdhsa_user_sgpr_dispatch_id 0
		.amdhsa_user_sgpr_private_segment_size 0
		.amdhsa_wavefront_size32 1
		.amdhsa_uses_dynamic_stack 0
		.amdhsa_enable_private_segment 0
		.amdhsa_system_sgpr_workgroup_id_x 1
		.amdhsa_system_sgpr_workgroup_id_y 0
		.amdhsa_system_sgpr_workgroup_id_z 0
		.amdhsa_system_sgpr_workgroup_info 0
		.amdhsa_system_vgpr_workitem_id 1
		.amdhsa_next_free_vgpr 42
		.amdhsa_next_free_sgpr 37
		.amdhsa_reserve_vcc 1
		.amdhsa_float_round_mode_32 0
		.amdhsa_float_round_mode_16_64 0
		.amdhsa_float_denorm_mode_32 3
		.amdhsa_float_denorm_mode_16_64 3
		.amdhsa_dx10_clamp 1
		.amdhsa_ieee_mode 1
		.amdhsa_fp16_overflow 0
		.amdhsa_workgroup_processor_mode 1
		.amdhsa_memory_ordered 1
		.amdhsa_forward_progress 0
		.amdhsa_shared_vgpr_count 0
		.amdhsa_exception_fp_ieee_invalid_op 0
		.amdhsa_exception_fp_denorm_src 0
		.amdhsa_exception_fp_ieee_div_zero 0
		.amdhsa_exception_fp_ieee_overflow 0
		.amdhsa_exception_fp_ieee_underflow 0
		.amdhsa_exception_fp_ieee_inexact 0
		.amdhsa_exception_int_div_zero 0
	.end_amdhsa_kernel
	.section	.text._ZN9rocsparseL26bsric0_2_8_unrolled_kernelILi25ELi32ELi5EdEEv20rocsparse_direction_iiPKiS3_PT2_S3_PiS3_S6_21rocsparse_index_base_,"axG",@progbits,_ZN9rocsparseL26bsric0_2_8_unrolled_kernelILi25ELi32ELi5EdEEv20rocsparse_direction_iiPKiS3_PT2_S3_PiS3_S6_21rocsparse_index_base_,comdat
.Lfunc_end25:
	.size	_ZN9rocsparseL26bsric0_2_8_unrolled_kernelILi25ELi32ELi5EdEEv20rocsparse_direction_iiPKiS3_PT2_S3_PiS3_S6_21rocsparse_index_base_, .Lfunc_end25-_ZN9rocsparseL26bsric0_2_8_unrolled_kernelILi25ELi32ELi5EdEEv20rocsparse_direction_iiPKiS3_PT2_S3_PiS3_S6_21rocsparse_index_base_
                                        ; -- End function
	.section	.AMDGPU.csdata,"",@progbits
; Kernel info:
; codeLenInByte = 7120
; NumSgprs: 39
; NumVgprs: 42
; ScratchSize: 0
; MemoryBound: 1
; FloatMode: 240
; IeeeMode: 1
; LDSByteSize: 1344 bytes/workgroup (compile time only)
; SGPRBlocks: 4
; VGPRBlocks: 5
; NumSGPRsForWavesPerEU: 39
; NumVGPRsForWavesPerEU: 42
; Occupancy: 16
; WaveLimiterHint : 1
; COMPUTE_PGM_RSRC2:SCRATCH_EN: 0
; COMPUTE_PGM_RSRC2:USER_SGPR: 15
; COMPUTE_PGM_RSRC2:TRAP_HANDLER: 0
; COMPUTE_PGM_RSRC2:TGID_X_EN: 1
; COMPUTE_PGM_RSRC2:TGID_Y_EN: 0
; COMPUTE_PGM_RSRC2:TGID_Z_EN: 0
; COMPUTE_PGM_RSRC2:TIDIG_COMP_CNT: 1
	.section	.text._ZN9rocsparseL26bsric0_2_8_unrolled_kernelILi36ELi32ELi6EdEEv20rocsparse_direction_iiPKiS3_PT2_S3_PiS3_S6_21rocsparse_index_base_,"axG",@progbits,_ZN9rocsparseL26bsric0_2_8_unrolled_kernelILi36ELi32ELi6EdEEv20rocsparse_direction_iiPKiS3_PT2_S3_PiS3_S6_21rocsparse_index_base_,comdat
	.globl	_ZN9rocsparseL26bsric0_2_8_unrolled_kernelILi36ELi32ELi6EdEEv20rocsparse_direction_iiPKiS3_PT2_S3_PiS3_S6_21rocsparse_index_base_ ; -- Begin function _ZN9rocsparseL26bsric0_2_8_unrolled_kernelILi36ELi32ELi6EdEEv20rocsparse_direction_iiPKiS3_PT2_S3_PiS3_S6_21rocsparse_index_base_
	.p2align	8
	.type	_ZN9rocsparseL26bsric0_2_8_unrolled_kernelILi36ELi32ELi6EdEEv20rocsparse_direction_iiPKiS3_PT2_S3_PiS3_S6_21rocsparse_index_base_,@function
_ZN9rocsparseL26bsric0_2_8_unrolled_kernelILi36ELi32ELi6EdEEv20rocsparse_direction_iiPKiS3_PT2_S3_PiS3_S6_21rocsparse_index_base_: ; @_ZN9rocsparseL26bsric0_2_8_unrolled_kernelILi36ELi32ELi6EdEEv20rocsparse_direction_iiPKiS3_PT2_S3_PiS3_S6_21rocsparse_index_base_
; %bb.0:
	s_load_b256 s[4:11], s[0:1], 0x28
	s_mov_b32 s2, s15
	s_mov_b32 s3, 0
	v_and_b32_e32 v10, 0x3ff, v0
	s_lshl_b64 s[12:13], s[2:3], 2
	v_bfe_u32 v11, v0, 10, 10
	s_waitcnt lgkmcnt(0)
	s_add_u32 s8, s8, s12
	s_addc_u32 s9, s9, s13
	s_load_b32 s16, s[8:9], 0x0
	s_waitcnt lgkmcnt(0)
	s_ashr_i32 s17, s16, 31
	s_delay_alu instid0(SALU_CYCLE_1) | instskip(NEXT) | instid1(SALU_CYCLE_1)
	s_lshl_b64 s[8:9], s[16:17], 2
	s_add_u32 s12, s4, s8
	s_addc_u32 s13, s5, s9
	s_load_b32 s26, s[12:13], 0x0
	s_load_b32 s17, s[0:1], 0x48
	s_waitcnt lgkmcnt(0)
	s_cmp_lg_u32 s26, -1
	s_cbranch_scc0 .LBB26_109
; %bb.1:
	s_clause 0x1
	s_load_b128 s[12:15], s[0:1], 0x10
	s_load_b64 s[18:19], s[0:1], 0x20
	v_mad_u32_u24 v12, v11, 6, v10
	s_waitcnt lgkmcnt(0)
	s_add_u32 s2, s12, s8
	s_addc_u32 s3, s13, s9
	s_load_b32 s2, s[2:3], 0x0
	s_mov_b32 s3, exec_lo
	s_waitcnt lgkmcnt(0)
	s_sub_i32 s27, s2, s17
	s_delay_alu instid0(SALU_CYCLE_1) | instskip(NEXT) | instid1(VALU_DEP_1)
	v_add_nc_u32_e32 v0, s27, v12
	v_cmpx_ge_i32_e64 s26, v0
	s_cbranch_execz .LBB26_4
; %bb.2:
	v_ashrrev_i32_e32 v1, 31, v0
	v_lshl_add_u32 v3, v12, 2, 0x640
	s_mov_b32 s20, 0
	s_delay_alu instid0(VALU_DEP_2) | instskip(NEXT) | instid1(VALU_DEP_1)
	v_lshlrev_b64 v[1:2], 2, v[0:1]
	v_add_co_u32 v1, vcc_lo, s14, v1
	s_delay_alu instid0(VALU_DEP_2)
	v_add_co_ci_u32_e32 v2, vcc_lo, s15, v2, vcc_lo
	.p2align	6
.LBB26_3:                               ; =>This Inner Loop Header: Depth=1
	global_load_b32 v4, v[1:2], off
	v_add_nc_u32_e32 v0, 36, v0
	v_add_co_u32 v1, vcc_lo, 0x90, v1
	v_add_co_ci_u32_e32 v2, vcc_lo, 0, v2, vcc_lo
	s_delay_alu instid0(VALU_DEP_3) | instskip(NEXT) | instid1(VALU_DEP_1)
	v_cmp_lt_i32_e64 s2, s26, v0
	s_or_b32 s20, s2, s20
	s_waitcnt vmcnt(0)
	v_subrev_nc_u32_e32 v4, s17, v4
	ds_store_b32 v3, v4
	v_add_nc_u32_e32 v3, 0x90, v3
	s_and_not1_b32 exec_lo, exec_lo, s20
	s_cbranch_execnz .LBB26_3
.LBB26_4:
	s_or_b32 exec_lo, exec_lo, s3
	s_load_b32 s1, s[0:1], 0x0
	v_mov_b32_e32 v0, 0
	v_lshlrev_b32_e32 v2, 3, v10
	v_mul_u32_u24_e32 v16, 6, v11
	v_mad_u32_u24 v13, v10, 6, v11
	s_cmp_ge_i32 s27, s26
	v_mov_b32_e32 v1, v0
	v_mad_u32_u24 v15, v11, 56, v2
	s_delay_alu instid0(VALU_DEP_1)
	v_add_nc_u32_e32 v14, 0x3f0, v15
	ds_store_b64 v15, v[0:1] offset:1008
	s_waitcnt lgkmcnt(0)
	buffer_gl0_inv
	s_cbranch_scc1 .LBB26_54
; %bb.5:
	v_mad_u32_u24 v1, v10, 6, v11
	v_mad_u32_u24 v17, v11, 56, 0x2a0
	;; [unrolled: 1-line block ×3, first 2 shown]
	v_or_b32_e32 v3, v10, v11
	s_cmp_eq_u32 s1, 0
	v_mul_u32_u24_e32 v19, 6, v10
	s_cselect_b32 vcc_lo, -1, 0
	v_add_nc_u32_e32 v20, v17, v2
	v_add_nc_u32_e32 v21, v18, v2
	v_cmp_ne_u32_e64 s0, 0, v3
	v_mad_u32_u24 v22, v10, 56, 0x2a0
	v_cndmask_b32_e32 v1, v1, v12, vcc_lo
	s_cmp_lg_u32 s1, 0
	s_mov_b32 s2, s27
	s_cselect_b32 s28, -1, 0
	s_branch .LBB26_9
.LBB26_6:                               ;   in Loop: Header=BB26_9 Depth=1
	s_or_b32 exec_lo, exec_lo, s21
	v_mov_b32_e32 v6, 0
	v_mov_b32_e32 v7, 0x3ff00000
.LBB26_7:                               ;   in Loop: Header=BB26_9 Depth=1
	s_or_b32 exec_lo, exec_lo, s20
	ds_load_2addr_b64 v[23:26], v0 offset0:35 offset1:36
	ds_load_2addr_b64 v[27:30], v17 offset1:1
	ds_load_b64 v[8:9], v18 offset:40
	s_add_i32 s2, s2, 1
	s_delay_alu instid0(SALU_CYCLE_1) | instskip(SKIP_3) | instid1(VALU_DEP_1)
	s_cmp_ge_i32 s2, s26
	s_cselect_b32 s24, -1, 0
	s_waitcnt lgkmcnt(0)
	v_fma_f64 v[8:9], v[23:24], v[27:28], v[8:9]
	v_fma_f64 v[8:9], v[25:26], v[29:30], v[8:9]
	ds_load_2addr_b64 v[23:26], v0 offset0:37 offset1:38
	ds_load_2addr_b64 v[27:30], v17 offset0:2 offset1:3
	s_waitcnt lgkmcnt(0)
	v_fma_f64 v[8:9], v[23:24], v[27:28], v[8:9]
	s_delay_alu instid0(VALU_DEP_1) | instskip(SKIP_4) | instid1(VALU_DEP_1)
	v_fma_f64 v[8:9], v[25:26], v[29:30], v[8:9]
	ds_load_b64 v[23:24], v17 offset:32
	ds_load_b64 v[25:26], v0 offset:312
	s_waitcnt lgkmcnt(0)
	v_fma_f64 v[8:9], v[25:26], v[23:24], v[8:9]
	v_add_f64 v[4:5], v[4:5], -v[8:9]
	s_delay_alu instid0(VALU_DEP_1) | instskip(SKIP_1) | instid1(VALU_DEP_2)
	v_div_scale_f64 v[8:9], null, v[6:7], v[6:7], v[4:5]
	v_div_scale_f64 v[27:28], vcc_lo, v[4:5], v[6:7], v[4:5]
	v_rcp_f64_e32 v[23:24], v[8:9]
	s_waitcnt_depctr 0xfff
	v_fma_f64 v[25:26], -v[8:9], v[23:24], 1.0
	s_delay_alu instid0(VALU_DEP_1) | instskip(NEXT) | instid1(VALU_DEP_1)
	v_fma_f64 v[23:24], v[23:24], v[25:26], v[23:24]
	v_fma_f64 v[25:26], -v[8:9], v[23:24], 1.0
	s_delay_alu instid0(VALU_DEP_1) | instskip(NEXT) | instid1(VALU_DEP_1)
	v_fma_f64 v[23:24], v[23:24], v[25:26], v[23:24]
	v_mul_f64 v[25:26], v[27:28], v[23:24]
	s_delay_alu instid0(VALU_DEP_1) | instskip(NEXT) | instid1(VALU_DEP_1)
	v_fma_f64 v[8:9], -v[8:9], v[25:26], v[27:28]
	v_div_fmas_f64 v[8:9], v[8:9], v[23:24], v[25:26]
	s_delay_alu instid0(VALU_DEP_1)
	v_div_fixup_f64 v[4:5], v[8:9], v[6:7], v[4:5]
	ds_store_b64 v17, v[4:5] offset:40
	s_waitcnt lgkmcnt(0)
	s_waitcnt_vscnt null, 0x0
	buffer_gl0_inv
	ds_load_b64 v[6:7], v22 offset:40
	ds_load_b64 v[8:9], v14
	s_waitcnt lgkmcnt(0)
	v_fma_f64 v[4:5], v[4:5], v[6:7], v[8:9]
	ds_store_b64 v14, v[4:5]
	s_waitcnt lgkmcnt(0)
	buffer_gl0_inv
	ds_load_b64 v[4:5], v20
	s_waitcnt lgkmcnt(0)
	global_store_b64 v[2:3], v[4:5], off
	s_waitcnt_vscnt null, 0x0
	buffer_gl1_inv
	buffer_gl0_inv
.LBB26_8:                               ;   in Loop: Header=BB26_9 Depth=1
	s_and_b32 vcc_lo, exec_lo, s24
	s_cbranch_vccnz .LBB26_54
.LBB26_9:                               ; =>This Loop Header: Depth=1
                                        ;     Child Loop BB26_12 Depth 2
                                        ;     Child Loop BB26_23 Depth 2
	s_ashr_i32 s3, s2, 31
	s_delay_alu instid0(SALU_CYCLE_1) | instskip(NEXT) | instid1(SALU_CYCLE_1)
	s_lshl_b64 s[20:21], s[2:3], 2
	s_add_u32 s20, s14, s20
	s_addc_u32 s21, s15, s21
	s_load_b32 s3, s[20:21], 0x0
	s_waitcnt lgkmcnt(0)
	s_sub_i32 s22, s3, s17
	s_delay_alu instid0(SALU_CYCLE_1) | instskip(NEXT) | instid1(SALU_CYCLE_1)
	s_ashr_i32 s23, s22, 31
	s_lshl_b64 s[20:21], s[22:23], 2
	s_delay_alu instid0(SALU_CYCLE_1)
	s_add_u32 s24, s4, s20
	s_addc_u32 s25, s5, s21
	s_load_b32 s23, s[24:25], 0x0
	s_mov_b32 s24, -1
	s_waitcnt lgkmcnt(0)
	s_cmp_eq_u32 s23, -1
	s_cbranch_scc1 .LBB26_8
; %bb.10:                               ;   in Loop: Header=BB26_9 Depth=1
	v_mad_u64_u32 v[2:3], null, s2, 36, v[1:2]
	s_add_u32 s24, s12, s20
	s_addc_u32 s25, s13, s21
	ds_load_b32 v6, v0 offset:1600
	s_load_b32 s24, s[24:25], 0x0
	v_ashrrev_i32_e32 v3, 31, v2
	s_delay_alu instid0(VALU_DEP_1) | instskip(NEXT) | instid1(VALU_DEP_1)
	v_lshlrev_b64 v[2:3], 3, v[2:3]
	v_add_co_u32 v2, vcc_lo, s18, v2
	s_delay_alu instid0(VALU_DEP_2)
	v_add_co_ci_u32_e32 v3, vcc_lo, s19, v3, vcc_lo
	s_waitcnt lgkmcnt(0)
	v_cmp_ge_i32_e32 vcc_lo, s22, v6
	s_sub_i32 s24, s24, s17
	global_load_b64 v[4:5], v[2:3], off
	s_cmp_le_i32 s24, s23
	s_cselect_b32 s25, -1, 0
	s_delay_alu instid0(SALU_CYCLE_1) | instskip(NEXT) | instid1(SALU_CYCLE_1)
	s_and_b32 s25, s25, vcc_lo
	s_and_not1_b32 vcc_lo, exec_lo, s25
	s_mov_b32 s25, 0
	s_waitcnt vmcnt(0)
	ds_store_b64 v20, v[4:5]
	s_cbranch_vccnz .LBB26_22
; %bb.11:                               ;   in Loop: Header=BB26_9 Depth=1
	s_mov_b32 s29, 0
	s_mov_b32 s30, 0
.LBB26_12:                              ;   Parent Loop BB26_9 Depth=1
                                        ; =>  This Inner Loop Header: Depth=2
	s_ashr_i32 s25, s24, 31
                                        ; implicit-def: $sgpr33
	s_delay_alu instid0(SALU_CYCLE_1) | instskip(NEXT) | instid1(SALU_CYCLE_1)
	s_lshl_b64 s[34:35], s[24:25], 2
	s_add_u32 s34, s14, s34
	s_addc_u32 s35, s15, s35
	s_lshl_b32 s25, s30, 2
	s_delay_alu instid0(SALU_CYCLE_1)
	v_mov_b32_e32 v4, s25
	s_load_b32 s25, s[34:35], 0x0
	s_mov_b32 s35, -1
                                        ; implicit-def: $sgpr34
	ds_load_b32 v4, v4 offset:1600
	s_waitcnt lgkmcnt(0)
	s_sub_i32 s36, s25, s17
                                        ; implicit-def: $sgpr25
	s_delay_alu instid0(SALU_CYCLE_1)
	v_cmp_ge_i32_e32 vcc_lo, s36, v4
	v_readfirstlane_b32 s31, v4
	s_cbranch_vccz .LBB26_18
; %bb.13:                               ;   in Loop: Header=BB26_12 Depth=2
	s_delay_alu instid0(VALU_DEP_1)
	s_cmp_le_i32 s36, s31
                                        ; implicit-def: $sgpr25
                                        ; implicit-def: $sgpr34
                                        ; implicit-def: $sgpr33
	s_cbranch_scc0 .LBB26_15
; %bb.14:                               ;   in Loop: Header=BB26_12 Depth=2
	s_add_i32 s25, s30, s27
	s_lshl_b32 s33, s29, 2
	s_mul_i32 s25, s25, 36
	s_mul_i32 s34, s24, 36
	s_delay_alu instid0(SALU_CYCLE_1)
	v_dual_mov_b32 v4, s25 :: v_dual_mov_b32 v5, s34
	v_add_nc_u32_e64 v6, 0x400, s33
	s_add_i32 s33, s30, 1
	s_add_i32 s34, s24, 1
	;; [unrolled: 1-line block ×3, first 2 shown]
	s_mov_b32 s35, 0
	ds_store_2addr_b32 v6, v5, v4 offset0:80 offset1:112
.LBB26_15:                              ;   in Loop: Header=BB26_12 Depth=2
	s_and_not1_b32 vcc_lo, exec_lo, s35
	s_cbranch_vccnz .LBB26_17
; %bb.16:                               ;   in Loop: Header=BB26_12 Depth=2
	s_add_i32 s33, s30, 1
	s_mov_b32 s25, s29
	s_mov_b32 s34, s24
.LBB26_17:                              ;   in Loop: Header=BB26_12 Depth=2
	s_mov_b32 s35, 0
.LBB26_18:                              ;   in Loop: Header=BB26_12 Depth=2
	s_delay_alu instid0(SALU_CYCLE_1)
	s_and_not1_b32 vcc_lo, exec_lo, s35
	s_cbranch_vccnz .LBB26_20
; %bb.19:                               ;   in Loop: Header=BB26_12 Depth=2
	s_add_i32 s34, s24, 1
	s_mov_b32 s33, s30
	s_mov_b32 s25, s29
.LBB26_20:                              ;   in Loop: Header=BB26_12 Depth=2
	s_cmp_le_i32 s34, s23
	s_cselect_b32 s24, -1, 0
	s_cmp_le_i32 s31, s22
	s_cselect_b32 s29, -1, 0
	s_delay_alu instid0(SALU_CYCLE_1) | instskip(NEXT) | instid1(SALU_CYCLE_1)
	s_and_b32 s24, s24, s29
	s_and_b32 vcc_lo, exec_lo, s24
	s_cbranch_vccz .LBB26_22
; %bb.21:                               ;   in Loop: Header=BB26_12 Depth=2
	s_mov_b32 s29, s25
	s_mov_b32 s24, s34
	;; [unrolled: 1-line block ×3, first 2 shown]
	s_branch .LBB26_12
.LBB26_22:                              ;   in Loop: Header=BB26_9 Depth=1
	s_add_u32 s20, s6, s20
	s_addc_u32 s21, s7, s21
	s_waitcnt lgkmcnt(0)
	buffer_gl0_inv
.LBB26_23:                              ;   Parent Loop BB26_9 Depth=1
                                        ; =>  This Inner Loop Header: Depth=2
	global_load_b32 v4, v0, s[20:21] glc
	s_waitcnt vmcnt(0)
	v_cmp_eq_u32_e32 vcc_lo, 0, v4
	s_cbranch_vccnz .LBB26_23
; %bb.24:                               ;   in Loop: Header=BB26_9 Depth=1
	v_mad_u64_u32 v[4:5], null, s23, 36, v[1:2]
	buffer_gl1_inv
	buffer_gl0_inv
	v_mov_b32_e32 v8, 0
	v_mov_b32_e32 v9, 0
	s_cmp_lt_i32 s25, 2
	v_ashrrev_i32_e32 v5, 31, v4
	s_delay_alu instid0(VALU_DEP_1) | instskip(NEXT) | instid1(VALU_DEP_1)
	v_lshlrev_b64 v[4:5], 3, v[4:5]
	v_add_co_u32 v4, vcc_lo, s18, v4
	s_delay_alu instid0(VALU_DEP_2)
	v_add_co_ci_u32_e32 v5, vcc_lo, s19, v5, vcc_lo
	global_load_b64 v[4:5], v[4:5], off
	s_waitcnt vmcnt(0)
	ds_store_b64 v15, v[4:5]
	s_waitcnt lgkmcnt(0)
	buffer_gl0_inv
	s_cbranch_scc1 .LBB26_31
; %bb.25:                               ;   in Loop: Header=BB26_9 Depth=1
	v_mov_b32_e32 v4, 0
	v_mov_b32_e32 v5, 0
	s_add_i32 s20, s25, -1
	s_movk_i32 s21, 0x540
	s_delay_alu instid0(SALU_CYCLE_1)
	v_mov_b32_e32 v6, s21
	s_and_b32 vcc_lo, exec_lo, s28
	ds_load_2addr_b32 v[6:7], v6 offset1:32
	s_cbranch_vccz .LBB26_27
.LBB26_26:                              ;   in Loop: Header=BB26_9 Depth=1
	s_waitcnt lgkmcnt(0)
	v_add_nc_u32_e32 v8, v6, v10
	v_add_nc_u32_e32 v23, v7, v11
	s_delay_alu instid0(VALU_DEP_2) | instskip(NEXT) | instid1(VALU_DEP_2)
	v_ashrrev_i32_e32 v9, 31, v8
	v_ashrrev_i32_e32 v24, 31, v23
	v_add_nc_u32_e32 v30, 6, v23
	v_add_nc_u32_e32 v32, 12, v8
	;; [unrolled: 1-line block ×3, first 2 shown]
	v_lshlrev_b64 v[25:26], 3, v[8:9]
	v_lshlrev_b64 v[27:28], 3, v[23:24]
	v_ashrrev_i32_e32 v31, 31, v30
	v_ashrrev_i32_e32 v33, 31, v32
	;; [unrolled: 1-line block ×3, first 2 shown]
	v_add_nc_u32_e32 v36, 18, v8
	v_add_co_u32 v24, vcc_lo, s18, v25
	v_add_co_ci_u32_e32 v25, vcc_lo, s19, v26, vcc_lo
	v_add_co_u32 v26, vcc_lo, s18, v27
	v_add_co_ci_u32_e32 v27, vcc_lo, s19, v28, vcc_lo
	v_add_nc_u32_e32 v28, 6, v8
	s_clause 0x1
	global_load_b64 v[24:25], v[24:25], off
	global_load_b64 v[26:27], v[26:27], off
	v_lshlrev_b64 v[30:31], 3, v[30:31]
	v_lshlrev_b64 v[32:33], 3, v[32:33]
	v_ashrrev_i32_e32 v29, 31, v28
	v_lshlrev_b64 v[34:35], 3, v[34:35]
	v_add_nc_u32_e32 v38, 18, v23
	v_ashrrev_i32_e32 v37, 31, v36
	v_add_nc_u32_e32 v40, 24, v8
	v_lshlrev_b64 v[28:29], 3, v[28:29]
	v_add_nc_u32_e32 v42, 24, v23
	v_ashrrev_i32_e32 v39, 31, v38
	v_lshlrev_b64 v[36:37], 3, v[36:37]
	v_ashrrev_i32_e32 v41, 31, v40
	v_add_nc_u32_e32 v8, 30, v8
	v_add_co_u32 v28, vcc_lo, s18, v28
	v_add_co_ci_u32_e32 v29, vcc_lo, s19, v29, vcc_lo
	v_add_co_u32 v30, vcc_lo, s18, v30
	v_add_co_ci_u32_e32 v31, vcc_lo, s19, v31, vcc_lo
	s_clause 0x1
	global_load_b64 v[28:29], v[28:29], off
	global_load_b64 v[30:31], v[30:31], off
	v_add_co_u32 v32, vcc_lo, s18, v32
	v_add_co_ci_u32_e32 v33, vcc_lo, s19, v33, vcc_lo
	v_add_co_u32 v34, vcc_lo, s18, v34
	v_add_co_ci_u32_e32 v35, vcc_lo, s19, v35, vcc_lo
	s_clause 0x1
	global_load_b64 v[32:33], v[32:33], off
	global_load_b64 v[34:35], v[34:35], off
	v_lshlrev_b64 v[38:39], 3, v[38:39]
	v_add_co_u32 v36, vcc_lo, s18, v36
	v_add_co_ci_u32_e32 v37, vcc_lo, s19, v37, vcc_lo
	v_ashrrev_i32_e32 v43, 31, v42
	s_delay_alu instid0(VALU_DEP_4)
	v_add_co_u32 v38, vcc_lo, s18, v38
	v_add_co_ci_u32_e32 v39, vcc_lo, s19, v39, vcc_lo
	s_clause 0x1
	global_load_b64 v[36:37], v[36:37], off
	global_load_b64 v[38:39], v[38:39], off
	v_lshlrev_b64 v[40:41], 3, v[40:41]
	v_lshlrev_b64 v[42:43], 3, v[42:43]
	v_add_nc_u32_e32 v44, 30, v23
	v_ashrrev_i32_e32 v9, 31, v8
	s_delay_alu instid0(VALU_DEP_4)
	v_add_co_u32 v40, vcc_lo, s18, v40
	v_add_co_ci_u32_e32 v41, vcc_lo, s19, v41, vcc_lo
	v_add_co_u32 v42, vcc_lo, s18, v42
	v_add_co_ci_u32_e32 v43, vcc_lo, s19, v43, vcc_lo
	s_clause 0x1
	global_load_b64 v[40:41], v[40:41], off
	global_load_b64 v[42:43], v[42:43], off
	v_ashrrev_i32_e32 v45, 31, v44
	v_lshlrev_b64 v[8:9], 3, v[8:9]
	s_delay_alu instid0(VALU_DEP_2) | instskip(NEXT) | instid1(VALU_DEP_2)
	v_lshlrev_b64 v[44:45], 3, v[44:45]
	v_add_co_u32 v8, vcc_lo, s18, v8
	s_delay_alu instid0(VALU_DEP_3) | instskip(NEXT) | instid1(VALU_DEP_3)
	v_add_co_ci_u32_e32 v9, vcc_lo, s19, v9, vcc_lo
	v_add_co_u32 v44, vcc_lo, s18, v44
	s_delay_alu instid0(VALU_DEP_4)
	v_add_co_ci_u32_e32 v45, vcc_lo, s19, v45, vcc_lo
	s_clause 0x1
	global_load_b64 v[8:9], v[8:9], off
	global_load_b64 v[44:45], v[44:45], off
	s_waitcnt vmcnt(10)
	v_fma_f64 v[23:24], v[24:25], v[26:27], v[4:5]
	s_waitcnt vmcnt(8)
	s_delay_alu instid0(VALU_DEP_1) | instskip(SKIP_1) | instid1(VALU_DEP_1)
	v_fma_f64 v[23:24], v[28:29], v[30:31], v[23:24]
	s_waitcnt vmcnt(6)
	v_fma_f64 v[23:24], v[32:33], v[34:35], v[23:24]
	s_waitcnt vmcnt(4)
	s_delay_alu instid0(VALU_DEP_1) | instskip(SKIP_1) | instid1(VALU_DEP_1)
	v_fma_f64 v[23:24], v[36:37], v[38:39], v[23:24]
	s_waitcnt vmcnt(2)
	v_fma_f64 v[23:24], v[40:41], v[42:43], v[23:24]
	s_waitcnt vmcnt(0)
	s_delay_alu instid0(VALU_DEP_1)
	v_fma_f64 v[8:9], v[8:9], v[44:45], v[23:24]
	s_cbranch_execz .LBB26_28
	s_branch .LBB26_29
.LBB26_27:                              ;   in Loop: Header=BB26_9 Depth=1
                                        ; implicit-def: $vgpr8_vgpr9
.LBB26_28:                              ;   in Loop: Header=BB26_9 Depth=1
	s_waitcnt lgkmcnt(0)
	v_add_nc_u32_e32 v6, v6, v19
	v_add_nc_u32_e32 v8, v7, v16
	s_delay_alu instid0(VALU_DEP_2) | instskip(NEXT) | instid1(VALU_DEP_2)
	v_ashrrev_i32_e32 v7, 31, v6
	v_ashrrev_i32_e32 v9, 31, v8
	s_delay_alu instid0(VALU_DEP_2) | instskip(NEXT) | instid1(VALU_DEP_2)
	v_lshlrev_b64 v[6:7], 3, v[6:7]
	v_lshlrev_b64 v[8:9], 3, v[8:9]
	s_delay_alu instid0(VALU_DEP_2) | instskip(NEXT) | instid1(VALU_DEP_3)
	v_add_co_u32 v35, vcc_lo, s18, v6
	v_add_co_ci_u32_e32 v36, vcc_lo, s19, v7, vcc_lo
	s_delay_alu instid0(VALU_DEP_3) | instskip(NEXT) | instid1(VALU_DEP_4)
	v_add_co_u32 v39, vcc_lo, s18, v8
	v_add_co_ci_u32_e32 v40, vcc_lo, s19, v9, vcc_lo
	s_clause 0x5
	global_load_b128 v[6:9], v[35:36], off
	global_load_b128 v[23:26], v[39:40], off
	global_load_b128 v[27:30], v[35:36], off offset:16
	global_load_b128 v[31:34], v[39:40], off offset:16
	;; [unrolled: 1-line block ×4, first 2 shown]
	s_waitcnt vmcnt(4)
	v_fma_f64 v[4:5], v[6:7], v[23:24], v[4:5]
	s_delay_alu instid0(VALU_DEP_1) | instskip(SKIP_1) | instid1(VALU_DEP_1)
	v_fma_f64 v[4:5], v[8:9], v[25:26], v[4:5]
	s_waitcnt vmcnt(2)
	v_fma_f64 v[4:5], v[27:28], v[31:32], v[4:5]
	s_delay_alu instid0(VALU_DEP_1) | instskip(SKIP_1) | instid1(VALU_DEP_1)
	v_fma_f64 v[4:5], v[29:30], v[33:34], v[4:5]
	s_waitcnt vmcnt(0)
	v_fma_f64 v[4:5], v[35:36], v[39:40], v[4:5]
	s_delay_alu instid0(VALU_DEP_1)
	v_fma_f64 v[8:9], v[37:38], v[41:42], v[4:5]
.LBB26_29:                              ;   in Loop: Header=BB26_9 Depth=1
	s_add_i32 s20, s20, -1
	s_add_i32 s21, s21, 4
	s_cmp_eq_u32 s20, 0
	s_cbranch_scc1 .LBB26_31
; %bb.30:                               ;   in Loop: Header=BB26_9 Depth=1
	s_delay_alu instid0(VALU_DEP_1)
	v_dual_mov_b32 v4, v8 :: v_dual_mov_b32 v5, v9
	s_waitcnt lgkmcnt(0)
	v_mov_b32_e32 v6, s21
	s_and_b32 vcc_lo, exec_lo, s28
	ds_load_2addr_b32 v[6:7], v6 offset1:32
	s_cbranch_vccz .LBB26_27
	s_branch .LBB26_26
.LBB26_31:                              ;   in Loop: Header=BB26_9 Depth=1
	ds_store_b64 v21, v[8:9]
	s_waitcnt lgkmcnt(0)
	buffer_gl0_inv
	ds_load_b64 v[6:7], v0
	ds_load_b64 v[4:5], v17
	s_waitcnt lgkmcnt(1)
	v_cmp_neq_f64_e32 vcc_lo, 0, v[6:7]
	v_cndmask_b32_e32 v7, 0x3ff00000, v7, vcc_lo
	v_cndmask_b32_e32 v6, 0, v6, vcc_lo
	s_or_b32 s20, vcc_lo, s0
	s_delay_alu instid0(SALU_CYCLE_1) | instskip(NEXT) | instid1(SALU_CYCLE_1)
	s_xor_b32 s21, s20, -1
	s_and_saveexec_b32 s20, s21
	s_cbranch_execz .LBB26_35
; %bb.32:                               ;   in Loop: Header=BB26_9 Depth=1
	v_mbcnt_lo_u32_b32 v6, exec_lo, 0
	s_mov_b32 s21, exec_lo
	s_delay_alu instid0(VALU_DEP_1)
	v_cmpx_eq_u32_e32 0, v6
	s_cbranch_execz .LBB26_34
; %bb.33:                               ;   in Loop: Header=BB26_9 Depth=1
	v_mov_b32_e32 v6, s3
	global_atomic_min_i32 v0, v6, s[10:11]
.LBB26_34:                              ;   in Loop: Header=BB26_9 Depth=1
	s_or_b32 exec_lo, exec_lo, s21
	v_mov_b32_e32 v6, 0
	v_mov_b32_e32 v7, 0x3ff00000
.LBB26_35:                              ;   in Loop: Header=BB26_9 Depth=1
	s_or_b32 exec_lo, exec_lo, s20
	ds_load_b64 v[8:9], v18
	s_waitcnt lgkmcnt(0)
	v_add_f64 v[4:5], v[4:5], -v[8:9]
	s_delay_alu instid0(VALU_DEP_1) | instskip(SKIP_1) | instid1(VALU_DEP_2)
	v_div_scale_f64 v[8:9], null, v[6:7], v[6:7], v[4:5]
	v_div_scale_f64 v[27:28], vcc_lo, v[4:5], v[6:7], v[4:5]
	v_rcp_f64_e32 v[23:24], v[8:9]
	s_waitcnt_depctr 0xfff
	v_fma_f64 v[25:26], -v[8:9], v[23:24], 1.0
	s_delay_alu instid0(VALU_DEP_1) | instskip(NEXT) | instid1(VALU_DEP_1)
	v_fma_f64 v[23:24], v[23:24], v[25:26], v[23:24]
	v_fma_f64 v[25:26], -v[8:9], v[23:24], 1.0
	s_delay_alu instid0(VALU_DEP_1) | instskip(NEXT) | instid1(VALU_DEP_1)
	v_fma_f64 v[23:24], v[23:24], v[25:26], v[23:24]
	v_mul_f64 v[25:26], v[27:28], v[23:24]
	s_delay_alu instid0(VALU_DEP_1) | instskip(NEXT) | instid1(VALU_DEP_1)
	v_fma_f64 v[8:9], -v[8:9], v[25:26], v[27:28]
	v_div_fmas_f64 v[8:9], v[8:9], v[23:24], v[25:26]
	s_delay_alu instid0(VALU_DEP_1)
	v_div_fixup_f64 v[4:5], v[8:9], v[6:7], v[4:5]
	ds_store_b64 v17, v[4:5]
	s_waitcnt lgkmcnt(0)
	s_waitcnt_vscnt null, 0x0
	buffer_gl0_inv
	ds_load_b64 v[6:7], v22
	ds_load_b64 v[8:9], v14
	s_waitcnt lgkmcnt(0)
	v_fma_f64 v[4:5], v[4:5], v[6:7], v[8:9]
	ds_store_b64 v14, v[4:5]
	s_waitcnt lgkmcnt(0)
	buffer_gl0_inv
	ds_load_b64 v[6:7], v0 offset:64
	ds_load_b64 v[4:5], v17 offset:8
	s_waitcnt lgkmcnt(1)
	v_cmp_neq_f64_e32 vcc_lo, 0, v[6:7]
	v_cndmask_b32_e32 v7, 0x3ff00000, v7, vcc_lo
	v_cndmask_b32_e32 v6, 0, v6, vcc_lo
	s_or_b32 s20, vcc_lo, s0
	s_delay_alu instid0(SALU_CYCLE_1) | instskip(NEXT) | instid1(SALU_CYCLE_1)
	s_xor_b32 s21, s20, -1
	s_and_saveexec_b32 s20, s21
	s_cbranch_execz .LBB26_39
; %bb.36:                               ;   in Loop: Header=BB26_9 Depth=1
	v_mbcnt_lo_u32_b32 v6, exec_lo, 0
	s_mov_b32 s21, exec_lo
	s_delay_alu instid0(VALU_DEP_1)
	v_cmpx_eq_u32_e32 0, v6
	s_cbranch_execz .LBB26_38
; %bb.37:                               ;   in Loop: Header=BB26_9 Depth=1
	v_mov_b32_e32 v6, s3
	global_atomic_min_i32 v0, v6, s[10:11]
.LBB26_38:                              ;   in Loop: Header=BB26_9 Depth=1
	s_or_b32 exec_lo, exec_lo, s21
	v_mov_b32_e32 v6, 0
	v_mov_b32_e32 v7, 0x3ff00000
.LBB26_39:                              ;   in Loop: Header=BB26_9 Depth=1
	s_or_b32 exec_lo, exec_lo, s20
	ds_load_b64 v[8:9], v17
	ds_load_b64 v[23:24], v0 offset:56
	ds_load_b64 v[25:26], v18 offset:8
	s_waitcnt lgkmcnt(0)
	v_fma_f64 v[8:9], v[23:24], v[8:9], v[25:26]
	s_delay_alu instid0(VALU_DEP_1) | instskip(NEXT) | instid1(VALU_DEP_1)
	v_add_f64 v[4:5], v[4:5], -v[8:9]
	v_div_scale_f64 v[8:9], null, v[6:7], v[6:7], v[4:5]
	v_div_scale_f64 v[27:28], vcc_lo, v[4:5], v[6:7], v[4:5]
	s_delay_alu instid0(VALU_DEP_2) | instskip(SKIP_2) | instid1(VALU_DEP_1)
	v_rcp_f64_e32 v[23:24], v[8:9]
	s_waitcnt_depctr 0xfff
	v_fma_f64 v[25:26], -v[8:9], v[23:24], 1.0
	v_fma_f64 v[23:24], v[23:24], v[25:26], v[23:24]
	s_delay_alu instid0(VALU_DEP_1) | instskip(NEXT) | instid1(VALU_DEP_1)
	v_fma_f64 v[25:26], -v[8:9], v[23:24], 1.0
	v_fma_f64 v[23:24], v[23:24], v[25:26], v[23:24]
	s_delay_alu instid0(VALU_DEP_1) | instskip(NEXT) | instid1(VALU_DEP_1)
	v_mul_f64 v[25:26], v[27:28], v[23:24]
	v_fma_f64 v[8:9], -v[8:9], v[25:26], v[27:28]
	s_delay_alu instid0(VALU_DEP_1) | instskip(NEXT) | instid1(VALU_DEP_1)
	v_div_fmas_f64 v[8:9], v[8:9], v[23:24], v[25:26]
	v_div_fixup_f64 v[4:5], v[8:9], v[6:7], v[4:5]
	ds_store_b64 v17, v[4:5] offset:8
	s_waitcnt lgkmcnt(0)
	s_waitcnt_vscnt null, 0x0
	buffer_gl0_inv
	ds_load_b64 v[6:7], v22 offset:8
	ds_load_b64 v[8:9], v14
	s_waitcnt lgkmcnt(0)
	v_fma_f64 v[4:5], v[4:5], v[6:7], v[8:9]
	ds_store_b64 v14, v[4:5]
	s_waitcnt lgkmcnt(0)
	buffer_gl0_inv
	ds_load_b64 v[6:7], v0 offset:128
	ds_load_b64 v[4:5], v17 offset:16
	s_waitcnt lgkmcnt(1)
	v_cmp_neq_f64_e32 vcc_lo, 0, v[6:7]
	v_cndmask_b32_e32 v7, 0x3ff00000, v7, vcc_lo
	v_cndmask_b32_e32 v6, 0, v6, vcc_lo
	s_or_b32 s20, vcc_lo, s0
	s_delay_alu instid0(SALU_CYCLE_1) | instskip(NEXT) | instid1(SALU_CYCLE_1)
	s_xor_b32 s21, s20, -1
	s_and_saveexec_b32 s20, s21
	s_cbranch_execz .LBB26_43
; %bb.40:                               ;   in Loop: Header=BB26_9 Depth=1
	v_mbcnt_lo_u32_b32 v6, exec_lo, 0
	s_mov_b32 s21, exec_lo
	s_delay_alu instid0(VALU_DEP_1)
	v_cmpx_eq_u32_e32 0, v6
	s_cbranch_execz .LBB26_42
; %bb.41:                               ;   in Loop: Header=BB26_9 Depth=1
	v_mov_b32_e32 v6, s3
	global_atomic_min_i32 v0, v6, s[10:11]
.LBB26_42:                              ;   in Loop: Header=BB26_9 Depth=1
	s_or_b32 exec_lo, exec_lo, s21
	v_mov_b32_e32 v6, 0
	v_mov_b32_e32 v7, 0x3ff00000
.LBB26_43:                              ;   in Loop: Header=BB26_9 Depth=1
	s_or_b32 exec_lo, exec_lo, s20
	ds_load_b128 v[23:26], v0 offset:112
	ds_load_2addr_b64 v[27:30], v17 offset1:1
	ds_load_b64 v[8:9], v18 offset:16
	s_waitcnt lgkmcnt(0)
	v_fma_f64 v[8:9], v[23:24], v[27:28], v[8:9]
	s_delay_alu instid0(VALU_DEP_1) | instskip(NEXT) | instid1(VALU_DEP_1)
	v_fma_f64 v[8:9], v[25:26], v[29:30], v[8:9]
	v_add_f64 v[4:5], v[4:5], -v[8:9]
	s_delay_alu instid0(VALU_DEP_1) | instskip(SKIP_1) | instid1(VALU_DEP_2)
	v_div_scale_f64 v[8:9], null, v[6:7], v[6:7], v[4:5]
	v_div_scale_f64 v[27:28], vcc_lo, v[4:5], v[6:7], v[4:5]
	v_rcp_f64_e32 v[23:24], v[8:9]
	s_waitcnt_depctr 0xfff
	v_fma_f64 v[25:26], -v[8:9], v[23:24], 1.0
	s_delay_alu instid0(VALU_DEP_1) | instskip(NEXT) | instid1(VALU_DEP_1)
	v_fma_f64 v[23:24], v[23:24], v[25:26], v[23:24]
	v_fma_f64 v[25:26], -v[8:9], v[23:24], 1.0
	s_delay_alu instid0(VALU_DEP_1) | instskip(NEXT) | instid1(VALU_DEP_1)
	v_fma_f64 v[23:24], v[23:24], v[25:26], v[23:24]
	v_mul_f64 v[25:26], v[27:28], v[23:24]
	s_delay_alu instid0(VALU_DEP_1) | instskip(NEXT) | instid1(VALU_DEP_1)
	v_fma_f64 v[8:9], -v[8:9], v[25:26], v[27:28]
	v_div_fmas_f64 v[8:9], v[8:9], v[23:24], v[25:26]
	s_delay_alu instid0(VALU_DEP_1)
	v_div_fixup_f64 v[4:5], v[8:9], v[6:7], v[4:5]
	ds_store_b64 v17, v[4:5] offset:16
	s_waitcnt lgkmcnt(0)
	s_waitcnt_vscnt null, 0x0
	buffer_gl0_inv
	ds_load_b64 v[6:7], v22 offset:16
	ds_load_b64 v[8:9], v14
	s_waitcnt lgkmcnt(0)
	v_fma_f64 v[4:5], v[4:5], v[6:7], v[8:9]
	ds_store_b64 v14, v[4:5]
	s_waitcnt lgkmcnt(0)
	buffer_gl0_inv
	ds_load_b64 v[6:7], v0 offset:192
	ds_load_b64 v[4:5], v17 offset:24
	s_waitcnt lgkmcnt(1)
	v_cmp_neq_f64_e32 vcc_lo, 0, v[6:7]
	v_cndmask_b32_e32 v7, 0x3ff00000, v7, vcc_lo
	v_cndmask_b32_e32 v6, 0, v6, vcc_lo
	s_or_b32 s20, vcc_lo, s0
	s_delay_alu instid0(SALU_CYCLE_1) | instskip(NEXT) | instid1(SALU_CYCLE_1)
	s_xor_b32 s21, s20, -1
	s_and_saveexec_b32 s20, s21
	s_cbranch_execz .LBB26_47
; %bb.44:                               ;   in Loop: Header=BB26_9 Depth=1
	v_mbcnt_lo_u32_b32 v6, exec_lo, 0
	s_mov_b32 s21, exec_lo
	s_delay_alu instid0(VALU_DEP_1)
	v_cmpx_eq_u32_e32 0, v6
	s_cbranch_execz .LBB26_46
; %bb.45:                               ;   in Loop: Header=BB26_9 Depth=1
	v_mov_b32_e32 v6, s3
	global_atomic_min_i32 v0, v6, s[10:11]
.LBB26_46:                              ;   in Loop: Header=BB26_9 Depth=1
	s_or_b32 exec_lo, exec_lo, s21
	v_mov_b32_e32 v6, 0
	v_mov_b32_e32 v7, 0x3ff00000
.LBB26_47:                              ;   in Loop: Header=BB26_9 Depth=1
	s_or_b32 exec_lo, exec_lo, s20
	ds_load_2addr_b64 v[23:26], v17 offset1:1
	ds_load_2addr_b64 v[27:30], v0 offset0:21 offset1:22
	ds_load_b64 v[8:9], v18 offset:24
	s_waitcnt lgkmcnt(0)
	v_fma_f64 v[8:9], v[27:28], v[23:24], v[8:9]
	s_delay_alu instid0(VALU_DEP_1) | instskip(SKIP_4) | instid1(VALU_DEP_1)
	v_fma_f64 v[8:9], v[29:30], v[25:26], v[8:9]
	ds_load_b64 v[23:24], v17 offset:16
	ds_load_b64 v[25:26], v0 offset:184
	s_waitcnt lgkmcnt(0)
	v_fma_f64 v[8:9], v[25:26], v[23:24], v[8:9]
	v_add_f64 v[4:5], v[4:5], -v[8:9]
	s_delay_alu instid0(VALU_DEP_1) | instskip(SKIP_1) | instid1(VALU_DEP_2)
	v_div_scale_f64 v[8:9], null, v[6:7], v[6:7], v[4:5]
	v_div_scale_f64 v[27:28], vcc_lo, v[4:5], v[6:7], v[4:5]
	v_rcp_f64_e32 v[23:24], v[8:9]
	s_waitcnt_depctr 0xfff
	v_fma_f64 v[25:26], -v[8:9], v[23:24], 1.0
	s_delay_alu instid0(VALU_DEP_1) | instskip(NEXT) | instid1(VALU_DEP_1)
	v_fma_f64 v[23:24], v[23:24], v[25:26], v[23:24]
	v_fma_f64 v[25:26], -v[8:9], v[23:24], 1.0
	s_delay_alu instid0(VALU_DEP_1) | instskip(NEXT) | instid1(VALU_DEP_1)
	v_fma_f64 v[23:24], v[23:24], v[25:26], v[23:24]
	v_mul_f64 v[25:26], v[27:28], v[23:24]
	s_delay_alu instid0(VALU_DEP_1) | instskip(NEXT) | instid1(VALU_DEP_1)
	v_fma_f64 v[8:9], -v[8:9], v[25:26], v[27:28]
	v_div_fmas_f64 v[8:9], v[8:9], v[23:24], v[25:26]
	s_delay_alu instid0(VALU_DEP_1)
	v_div_fixup_f64 v[4:5], v[8:9], v[6:7], v[4:5]
	ds_store_b64 v17, v[4:5] offset:24
	s_waitcnt lgkmcnt(0)
	s_waitcnt_vscnt null, 0x0
	buffer_gl0_inv
	ds_load_b64 v[6:7], v22 offset:24
	ds_load_b64 v[8:9], v14
	s_waitcnt lgkmcnt(0)
	v_fma_f64 v[4:5], v[4:5], v[6:7], v[8:9]
	ds_store_b64 v14, v[4:5]
	s_waitcnt lgkmcnt(0)
	buffer_gl0_inv
	ds_load_b64 v[6:7], v0 offset:256
	ds_load_b64 v[4:5], v17 offset:32
	s_waitcnt lgkmcnt(1)
	v_cmp_neq_f64_e32 vcc_lo, 0, v[6:7]
	v_cndmask_b32_e32 v7, 0x3ff00000, v7, vcc_lo
	v_cndmask_b32_e32 v6, 0, v6, vcc_lo
	s_or_b32 s20, vcc_lo, s0
	s_delay_alu instid0(SALU_CYCLE_1) | instskip(NEXT) | instid1(SALU_CYCLE_1)
	s_xor_b32 s21, s20, -1
	s_and_saveexec_b32 s20, s21
	s_cbranch_execz .LBB26_51
; %bb.48:                               ;   in Loop: Header=BB26_9 Depth=1
	v_mbcnt_lo_u32_b32 v6, exec_lo, 0
	s_mov_b32 s21, exec_lo
	s_delay_alu instid0(VALU_DEP_1)
	v_cmpx_eq_u32_e32 0, v6
	s_cbranch_execz .LBB26_50
; %bb.49:                               ;   in Loop: Header=BB26_9 Depth=1
	v_mov_b32_e32 v6, s3
	global_atomic_min_i32 v0, v6, s[10:11]
.LBB26_50:                              ;   in Loop: Header=BB26_9 Depth=1
	s_or_b32 exec_lo, exec_lo, s21
	v_mov_b32_e32 v6, 0
	v_mov_b32_e32 v7, 0x3ff00000
.LBB26_51:                              ;   in Loop: Header=BB26_9 Depth=1
	s_or_b32 exec_lo, exec_lo, s20
	ds_load_2addr_b64 v[23:26], v17 offset1:1
	ds_load_b128 v[27:30], v0 offset:224
	ds_load_b64 v[8:9], v18 offset:32
	s_waitcnt lgkmcnt(0)
	v_fma_f64 v[8:9], v[27:28], v[23:24], v[8:9]
	s_delay_alu instid0(VALU_DEP_1) | instskip(SKIP_4) | instid1(VALU_DEP_1)
	v_fma_f64 v[8:9], v[29:30], v[25:26], v[8:9]
	ds_load_2addr_b64 v[23:26], v17 offset0:2 offset1:3
	ds_load_b128 v[27:30], v0 offset:240
	s_waitcnt lgkmcnt(0)
	v_fma_f64 v[8:9], v[27:28], v[23:24], v[8:9]
	v_fma_f64 v[8:9], v[29:30], v[25:26], v[8:9]
	s_delay_alu instid0(VALU_DEP_1) | instskip(NEXT) | instid1(VALU_DEP_1)
	v_add_f64 v[4:5], v[4:5], -v[8:9]
	v_div_scale_f64 v[8:9], null, v[6:7], v[6:7], v[4:5]
	v_div_scale_f64 v[27:28], vcc_lo, v[4:5], v[6:7], v[4:5]
	s_delay_alu instid0(VALU_DEP_2) | instskip(SKIP_2) | instid1(VALU_DEP_1)
	v_rcp_f64_e32 v[23:24], v[8:9]
	s_waitcnt_depctr 0xfff
	v_fma_f64 v[25:26], -v[8:9], v[23:24], 1.0
	v_fma_f64 v[23:24], v[23:24], v[25:26], v[23:24]
	s_delay_alu instid0(VALU_DEP_1) | instskip(NEXT) | instid1(VALU_DEP_1)
	v_fma_f64 v[25:26], -v[8:9], v[23:24], 1.0
	v_fma_f64 v[23:24], v[23:24], v[25:26], v[23:24]
	s_delay_alu instid0(VALU_DEP_1) | instskip(NEXT) | instid1(VALU_DEP_1)
	v_mul_f64 v[25:26], v[27:28], v[23:24]
	v_fma_f64 v[8:9], -v[8:9], v[25:26], v[27:28]
	s_delay_alu instid0(VALU_DEP_1) | instskip(NEXT) | instid1(VALU_DEP_1)
	v_div_fmas_f64 v[8:9], v[8:9], v[23:24], v[25:26]
	v_div_fixup_f64 v[4:5], v[8:9], v[6:7], v[4:5]
	ds_store_b64 v17, v[4:5] offset:32
	s_waitcnt lgkmcnt(0)
	s_waitcnt_vscnt null, 0x0
	buffer_gl0_inv
	ds_load_b64 v[6:7], v22 offset:32
	ds_load_b64 v[8:9], v14
	s_waitcnt lgkmcnt(0)
	v_fma_f64 v[4:5], v[4:5], v[6:7], v[8:9]
	ds_store_b64 v14, v[4:5]
	s_waitcnt lgkmcnt(0)
	buffer_gl0_inv
	ds_load_b64 v[6:7], v0 offset:320
	ds_load_b64 v[4:5], v17 offset:40
	s_waitcnt lgkmcnt(1)
	v_cmp_neq_f64_e32 vcc_lo, 0, v[6:7]
	v_cndmask_b32_e32 v7, 0x3ff00000, v7, vcc_lo
	v_cndmask_b32_e32 v6, 0, v6, vcc_lo
	s_or_b32 s20, vcc_lo, s0
	s_delay_alu instid0(SALU_CYCLE_1) | instskip(NEXT) | instid1(SALU_CYCLE_1)
	s_xor_b32 s21, s20, -1
	s_and_saveexec_b32 s20, s21
	s_cbranch_execz .LBB26_7
; %bb.52:                               ;   in Loop: Header=BB26_9 Depth=1
	v_mbcnt_lo_u32_b32 v6, exec_lo, 0
	s_mov_b32 s21, exec_lo
	s_delay_alu instid0(VALU_DEP_1)
	v_cmpx_eq_u32_e32 0, v6
	s_cbranch_execz .LBB26_6
; %bb.53:                               ;   in Loop: Header=BB26_9 Depth=1
	v_mov_b32_e32 v6, s3
	global_atomic_min_i32 v0, v6, s[10:11]
	s_branch .LBB26_6
.LBB26_54:
	v_mov_b32_e32 v0, v12
	s_cmp_lg_u32 s1, 0
	s_cselect_b32 s2, -1, 0
	s_cmp_eq_u32 s1, 0
	s_cbranch_scc1 .LBB26_56
; %bb.55:
	v_mad_u32_u24 v0, v10, 6, v11
.LBB26_56:
	s_mul_i32 s26, s26, 36
	s_mov_b32 s1, exec_lo
	s_delay_alu instid0(VALU_DEP_1) | instskip(NEXT) | instid1(VALU_DEP_1)
	v_add_nc_u32_e32 v0, s26, v0
	v_ashrrev_i32_e32 v1, 31, v0
	s_delay_alu instid0(VALU_DEP_1) | instskip(NEXT) | instid1(VALU_DEP_1)
	v_lshlrev_b64 v[0:1], 3, v[0:1]
	v_add_co_u32 v0, vcc_lo, s18, v0
	s_delay_alu instid0(VALU_DEP_2)
	v_add_co_ci_u32_e32 v1, vcc_lo, s19, v1, vcc_lo
	v_cmp_ne_u32_e32 vcc_lo, 0, v11
	global_load_b64 v[0:1], v[0:1], off
	s_waitcnt vmcnt(0)
	ds_store_b64 v15, v[0:1] offset:672
	s_waitcnt lgkmcnt(0)
	buffer_gl0_inv
	v_cmpx_eq_u32_e32 0, v11
	s_cbranch_execz .LBB26_58
; %bb.57:
	v_mov_b32_e32 v8, 0
	ds_load_2addr_b64 v[0:3], v8 offset0:84 offset1:126
	s_waitcnt lgkmcnt(0)
	v_add_f64 v[0:1], v[0:1], -v[2:3]
	s_delay_alu instid0(VALU_DEP_1) | instskip(SKIP_1) | instid1(VALU_DEP_1)
	v_cmp_gt_f64_e64 s0, 0, v[0:1]
	v_xor_b32_e32 v2, 0x80000000, v1
	v_cndmask_b32_e64 v1, v1, v2, s0
	v_cndmask_b32_e64 v0, v0, v0, s0
	s_delay_alu instid0(VALU_DEP_1) | instskip(NEXT) | instid1(VALU_DEP_1)
	v_cmp_gt_f64_e64 s0, 0x10000000, v[0:1]
	v_cndmask_b32_e64 v2, 0, 1, s0
	s_and_b32 s0, s0, exec_lo
	s_cselect_b32 s0, 0xffffff80, 0
	s_delay_alu instid0(VALU_DEP_1) | instskip(NEXT) | instid1(VALU_DEP_1)
	v_lshlrev_b32_e32 v2, 8, v2
	v_ldexp_f64 v[0:1], v[0:1], v2
	s_delay_alu instid0(VALU_DEP_1) | instskip(SKIP_3) | instid1(VALU_DEP_1)
	v_rsq_f64_e32 v[2:3], v[0:1]
	s_waitcnt_depctr 0xfff
	v_mul_f64 v[4:5], v[0:1], v[2:3]
	v_mul_f64 v[2:3], v[2:3], 0.5
	v_fma_f64 v[6:7], -v[2:3], v[4:5], 0.5
	s_delay_alu instid0(VALU_DEP_1) | instskip(SKIP_1) | instid1(VALU_DEP_2)
	v_fma_f64 v[4:5], v[4:5], v[6:7], v[4:5]
	v_fma_f64 v[2:3], v[2:3], v[6:7], v[2:3]
	v_fma_f64 v[6:7], -v[4:5], v[4:5], v[0:1]
	s_delay_alu instid0(VALU_DEP_1) | instskip(NEXT) | instid1(VALU_DEP_1)
	v_fma_f64 v[4:5], v[6:7], v[2:3], v[4:5]
	v_fma_f64 v[6:7], -v[4:5], v[4:5], v[0:1]
	s_delay_alu instid0(VALU_DEP_1) | instskip(NEXT) | instid1(VALU_DEP_1)
	v_fma_f64 v[2:3], v[6:7], v[2:3], v[4:5]
	v_ldexp_f64 v[2:3], v[2:3], s0
	v_cmp_class_f64_e64 s0, v[0:1], 0x260
	s_delay_alu instid0(VALU_DEP_1) | instskip(NEXT) | instid1(VALU_DEP_3)
	v_cndmask_b32_e64 v1, v3, v1, s0
	v_cndmask_b32_e64 v0, v2, v0, s0
	ds_store_b64 v8, v[0:1] offset:672
.LBB26_58:
	s_or_b32 exec_lo, exec_lo, s1
	v_mov_b32_e32 v0, 0
	s_waitcnt lgkmcnt(0)
	buffer_gl0_inv
	v_or_b32_e32 v2, v10, v11
	s_add_i32 s3, s16, s17
	ds_load_b64 v[0:1], v0 offset:672
	v_cmp_ne_u32_e64 s0, 0, v2
	s_waitcnt lgkmcnt(0)
	v_cmp_neq_f64_e64 s1, 0, v[0:1]
	s_delay_alu instid0(VALU_DEP_1) | instskip(SKIP_2) | instid1(SALU_CYCLE_1)
	v_cndmask_b32_e64 v1, 0x3ff00000, v1, s1
	v_cndmask_b32_e64 v0, 0, v0, s1
	s_or_b32 s1, s1, s0
	s_xor_b32 s1, s1, -1
	s_delay_alu instid0(SALU_CYCLE_1)
	s_and_saveexec_b32 s4, s1
	s_cbranch_execz .LBB26_62
; %bb.59:
	v_mbcnt_lo_u32_b32 v0, exec_lo, 0
	s_mov_b32 s5, exec_lo
	s_delay_alu instid0(VALU_DEP_1)
	v_cmpx_eq_u32_e32 0, v0
	s_cbranch_execz .LBB26_61
; %bb.60:
	v_dual_mov_b32 v0, 0 :: v_dual_mov_b32 v1, s3
	global_atomic_min_i32 v0, v1, s[10:11]
.LBB26_61:
	s_or_b32 exec_lo, exec_lo, s5
	v_mov_b32_e32 v0, 0
	v_mov_b32_e32 v1, 0x3ff00000
.LBB26_62:
	s_or_b32 exec_lo, exec_lo, s4
	s_and_saveexec_b32 s1, vcc_lo
	s_cbranch_execz .LBB26_64
; %bb.63:
	v_mul_u32_u24_e32 v9, 56, v11
	ds_load_2addr_b64 v[3:6], v9 offset0:84 offset1:126
	s_waitcnt lgkmcnt(0)
	v_add_f64 v[3:4], v[3:4], -v[5:6]
	s_delay_alu instid0(VALU_DEP_1) | instskip(SKIP_1) | instid1(VALU_DEP_2)
	v_div_scale_f64 v[5:6], null, v[0:1], v[0:1], v[3:4]
	v_div_scale_f64 v[18:19], vcc_lo, v[3:4], v[0:1], v[3:4]
	v_rcp_f64_e32 v[7:8], v[5:6]
	s_waitcnt_depctr 0xfff
	v_fma_f64 v[16:17], -v[5:6], v[7:8], 1.0
	s_delay_alu instid0(VALU_DEP_1) | instskip(NEXT) | instid1(VALU_DEP_1)
	v_fma_f64 v[7:8], v[7:8], v[16:17], v[7:8]
	v_fma_f64 v[16:17], -v[5:6], v[7:8], 1.0
	s_delay_alu instid0(VALU_DEP_1) | instskip(NEXT) | instid1(VALU_DEP_1)
	v_fma_f64 v[7:8], v[7:8], v[16:17], v[7:8]
	v_mul_f64 v[16:17], v[18:19], v[7:8]
	s_delay_alu instid0(VALU_DEP_1) | instskip(NEXT) | instid1(VALU_DEP_1)
	v_fma_f64 v[5:6], -v[5:6], v[16:17], v[18:19]
	v_div_fmas_f64 v[5:6], v[5:6], v[7:8], v[16:17]
	s_delay_alu instid0(VALU_DEP_1)
	v_div_fixup_f64 v[0:1], v[5:6], v[0:1], v[3:4]
	v_mul_u32_u24_e32 v3, 56, v10
	ds_store_b64 v9, v[0:1] offset:672
	s_waitcnt lgkmcnt(0)
	s_waitcnt_vscnt null, 0x0
	buffer_gl0_inv
	ds_load_b64 v[3:4], v3 offset:672
	ds_load_b64 v[5:6], v14
	s_waitcnt lgkmcnt(0)
	v_fma_f64 v[0:1], v[0:1], v[3:4], v[5:6]
	ds_store_b64 v14, v[0:1]
.LBB26_64:
	s_or_b32 exec_lo, exec_lo, s1
	s_delay_alu instid0(SALU_CYCLE_1)
	s_mov_b32 s1, exec_lo
	s_waitcnt lgkmcnt(0)
	s_waitcnt_vscnt null, 0x0
	buffer_gl0_inv
	v_cmpx_eq_u32_e32 1, v11
	s_cbranch_execz .LBB26_66
; %bb.65:
	v_mov_b32_e32 v9, 0
	ds_load_2addr_b64 v[3:6], v9 offset0:92 offset1:134
	s_waitcnt lgkmcnt(0)
	v_add_f64 v[0:1], v[3:4], -v[5:6]
	s_delay_alu instid0(VALU_DEP_1) | instskip(SKIP_1) | instid1(VALU_DEP_1)
	v_cmp_gt_f64_e32 vcc_lo, 0, v[0:1]
	v_xor_b32_e32 v3, 0x80000000, v1
	v_dual_cndmask_b32 v0, v0, v0 :: v_dual_cndmask_b32 v1, v1, v3
	s_delay_alu instid0(VALU_DEP_1) | instskip(SKIP_3) | instid1(VALU_DEP_1)
	v_cmp_gt_f64_e32 vcc_lo, 0x10000000, v[0:1]
	v_cndmask_b32_e64 v3, 0, 1, vcc_lo
	s_and_b32 s4, vcc_lo, exec_lo
	s_cselect_b32 s4, 0xffffff80, 0
	v_lshlrev_b32_e32 v3, 8, v3
	s_delay_alu instid0(VALU_DEP_1) | instskip(NEXT) | instid1(VALU_DEP_1)
	v_ldexp_f64 v[0:1], v[0:1], v3
	v_rsq_f64_e32 v[3:4], v[0:1]
	v_cmp_class_f64_e64 vcc_lo, v[0:1], 0x260
	s_waitcnt_depctr 0xfff
	v_mul_f64 v[5:6], v[0:1], v[3:4]
	v_mul_f64 v[3:4], v[3:4], 0.5
	s_delay_alu instid0(VALU_DEP_1) | instskip(NEXT) | instid1(VALU_DEP_1)
	v_fma_f64 v[7:8], -v[3:4], v[5:6], 0.5
	v_fma_f64 v[5:6], v[5:6], v[7:8], v[5:6]
	v_fma_f64 v[3:4], v[3:4], v[7:8], v[3:4]
	s_delay_alu instid0(VALU_DEP_2) | instskip(NEXT) | instid1(VALU_DEP_1)
	v_fma_f64 v[7:8], -v[5:6], v[5:6], v[0:1]
	v_fma_f64 v[5:6], v[7:8], v[3:4], v[5:6]
	s_delay_alu instid0(VALU_DEP_1) | instskip(NEXT) | instid1(VALU_DEP_1)
	v_fma_f64 v[7:8], -v[5:6], v[5:6], v[0:1]
	v_fma_f64 v[3:4], v[7:8], v[3:4], v[5:6]
	s_delay_alu instid0(VALU_DEP_1) | instskip(NEXT) | instid1(VALU_DEP_1)
	v_ldexp_f64 v[3:4], v[3:4], s4
	v_dual_cndmask_b32 v0, v3, v0 :: v_dual_cndmask_b32 v1, v4, v1
	ds_store_b64 v9, v[0:1] offset:736
.LBB26_66:
	s_or_b32 exec_lo, exec_lo, s1
	v_mov_b32_e32 v0, 0
	s_waitcnt lgkmcnt(0)
	buffer_gl0_inv
	ds_load_b64 v[0:1], v0 offset:736
	s_waitcnt lgkmcnt(0)
	v_cmp_neq_f64_e32 vcc_lo, 0, v[0:1]
	v_cndmask_b32_e32 v1, 0x3ff00000, v1, vcc_lo
	v_cndmask_b32_e32 v0, 0, v0, vcc_lo
	s_or_b32 s1, vcc_lo, s0
	s_delay_alu instid0(SALU_CYCLE_1) | instskip(NEXT) | instid1(SALU_CYCLE_1)
	s_xor_b32 s4, s1, -1
	s_and_saveexec_b32 s1, s4
	s_cbranch_execz .LBB26_70
; %bb.67:
	v_mbcnt_lo_u32_b32 v0, exec_lo, 0
	s_mov_b32 s4, exec_lo
	s_delay_alu instid0(VALU_DEP_1)
	v_cmpx_eq_u32_e32 0, v0
	s_cbranch_execz .LBB26_69
; %bb.68:
	v_dual_mov_b32 v0, 0 :: v_dual_mov_b32 v1, s3
	global_atomic_min_i32 v0, v1, s[10:11]
.LBB26_69:
	s_or_b32 exec_lo, exec_lo, s4
	v_mov_b32_e32 v0, 0
	v_mov_b32_e32 v1, 0x3ff00000
.LBB26_70:
	s_or_b32 exec_lo, exec_lo, s1
	s_delay_alu instid0(SALU_CYCLE_1)
	s_mov_b32 s1, exec_lo
	v_cmpx_lt_u32_e32 1, v11
	s_cbranch_execz .LBB26_72
; %bb.71:
	v_mul_u32_u24_e32 v9, 56, v11
	ds_load_2addr_b64 v[3:6], v9 offset0:85 offset1:127
	s_waitcnt lgkmcnt(0)
	v_add_f64 v[3:4], v[3:4], -v[5:6]
	s_delay_alu instid0(VALU_DEP_1) | instskip(SKIP_1) | instid1(VALU_DEP_2)
	v_div_scale_f64 v[5:6], null, v[0:1], v[0:1], v[3:4]
	v_div_scale_f64 v[18:19], vcc_lo, v[3:4], v[0:1], v[3:4]
	v_rcp_f64_e32 v[7:8], v[5:6]
	s_waitcnt_depctr 0xfff
	v_fma_f64 v[16:17], -v[5:6], v[7:8], 1.0
	s_delay_alu instid0(VALU_DEP_1) | instskip(NEXT) | instid1(VALU_DEP_1)
	v_fma_f64 v[7:8], v[7:8], v[16:17], v[7:8]
	v_fma_f64 v[16:17], -v[5:6], v[7:8], 1.0
	s_delay_alu instid0(VALU_DEP_1) | instskip(NEXT) | instid1(VALU_DEP_1)
	v_fma_f64 v[7:8], v[7:8], v[16:17], v[7:8]
	v_mul_f64 v[16:17], v[18:19], v[7:8]
	s_delay_alu instid0(VALU_DEP_1) | instskip(NEXT) | instid1(VALU_DEP_1)
	v_fma_f64 v[5:6], -v[5:6], v[16:17], v[18:19]
	v_div_fmas_f64 v[5:6], v[5:6], v[7:8], v[16:17]
	s_delay_alu instid0(VALU_DEP_1)
	v_div_fixup_f64 v[0:1], v[5:6], v[0:1], v[3:4]
	v_mul_u32_u24_e32 v3, 56, v10
	ds_store_b64 v9, v[0:1] offset:680
	s_waitcnt lgkmcnt(0)
	s_waitcnt_vscnt null, 0x0
	buffer_gl0_inv
	ds_load_b64 v[3:4], v3 offset:680
	ds_load_b64 v[5:6], v14
	s_waitcnt lgkmcnt(0)
	v_fma_f64 v[0:1], v[0:1], v[3:4], v[5:6]
	ds_store_b64 v14, v[0:1]
.LBB26_72:
	s_or_b32 exec_lo, exec_lo, s1
	s_delay_alu instid0(SALU_CYCLE_1)
	s_mov_b32 s1, exec_lo
	s_waitcnt lgkmcnt(0)
	s_waitcnt_vscnt null, 0x0
	buffer_gl0_inv
	v_cmpx_eq_u32_e32 2, v11
	s_cbranch_execz .LBB26_74
; %bb.73:
	v_mov_b32_e32 v9, 0
	ds_load_2addr_b64 v[3:6], v9 offset0:100 offset1:142
	s_waitcnt lgkmcnt(0)
	v_add_f64 v[0:1], v[3:4], -v[5:6]
	s_delay_alu instid0(VALU_DEP_1) | instskip(SKIP_1) | instid1(VALU_DEP_1)
	v_cmp_gt_f64_e32 vcc_lo, 0, v[0:1]
	v_xor_b32_e32 v3, 0x80000000, v1
	v_dual_cndmask_b32 v0, v0, v0 :: v_dual_cndmask_b32 v1, v1, v3
	s_delay_alu instid0(VALU_DEP_1) | instskip(SKIP_3) | instid1(VALU_DEP_1)
	v_cmp_gt_f64_e32 vcc_lo, 0x10000000, v[0:1]
	v_cndmask_b32_e64 v3, 0, 1, vcc_lo
	s_and_b32 s4, vcc_lo, exec_lo
	s_cselect_b32 s4, 0xffffff80, 0
	v_lshlrev_b32_e32 v3, 8, v3
	s_delay_alu instid0(VALU_DEP_1) | instskip(NEXT) | instid1(VALU_DEP_1)
	v_ldexp_f64 v[0:1], v[0:1], v3
	v_rsq_f64_e32 v[3:4], v[0:1]
	v_cmp_class_f64_e64 vcc_lo, v[0:1], 0x260
	s_waitcnt_depctr 0xfff
	v_mul_f64 v[5:6], v[0:1], v[3:4]
	v_mul_f64 v[3:4], v[3:4], 0.5
	s_delay_alu instid0(VALU_DEP_1) | instskip(NEXT) | instid1(VALU_DEP_1)
	v_fma_f64 v[7:8], -v[3:4], v[5:6], 0.5
	v_fma_f64 v[5:6], v[5:6], v[7:8], v[5:6]
	v_fma_f64 v[3:4], v[3:4], v[7:8], v[3:4]
	s_delay_alu instid0(VALU_DEP_2) | instskip(NEXT) | instid1(VALU_DEP_1)
	v_fma_f64 v[7:8], -v[5:6], v[5:6], v[0:1]
	v_fma_f64 v[5:6], v[7:8], v[3:4], v[5:6]
	s_delay_alu instid0(VALU_DEP_1) | instskip(NEXT) | instid1(VALU_DEP_1)
	v_fma_f64 v[7:8], -v[5:6], v[5:6], v[0:1]
	v_fma_f64 v[3:4], v[7:8], v[3:4], v[5:6]
	s_delay_alu instid0(VALU_DEP_1) | instskip(NEXT) | instid1(VALU_DEP_1)
	v_ldexp_f64 v[3:4], v[3:4], s4
	v_dual_cndmask_b32 v0, v3, v0 :: v_dual_cndmask_b32 v1, v4, v1
	ds_store_b64 v9, v[0:1] offset:800
.LBB26_74:
	s_or_b32 exec_lo, exec_lo, s1
	v_mov_b32_e32 v0, 0
	s_waitcnt lgkmcnt(0)
	buffer_gl0_inv
	ds_load_b64 v[0:1], v0 offset:800
	s_waitcnt lgkmcnt(0)
	v_cmp_neq_f64_e32 vcc_lo, 0, v[0:1]
	v_cndmask_b32_e32 v1, 0x3ff00000, v1, vcc_lo
	v_cndmask_b32_e32 v0, 0, v0, vcc_lo
	s_or_b32 s1, vcc_lo, s0
	s_delay_alu instid0(SALU_CYCLE_1) | instskip(NEXT) | instid1(SALU_CYCLE_1)
	s_xor_b32 s4, s1, -1
	s_and_saveexec_b32 s1, s4
	s_cbranch_execz .LBB26_78
; %bb.75:
	v_mbcnt_lo_u32_b32 v0, exec_lo, 0
	s_mov_b32 s4, exec_lo
	s_delay_alu instid0(VALU_DEP_1)
	v_cmpx_eq_u32_e32 0, v0
	s_cbranch_execz .LBB26_77
; %bb.76:
	v_dual_mov_b32 v0, 0 :: v_dual_mov_b32 v1, s3
	global_atomic_min_i32 v0, v1, s[10:11]
.LBB26_77:
	s_or_b32 exec_lo, exec_lo, s4
	v_mov_b32_e32 v0, 0
	v_mov_b32_e32 v1, 0x3ff00000
.LBB26_78:
	s_or_b32 exec_lo, exec_lo, s1
	s_delay_alu instid0(SALU_CYCLE_1)
	s_mov_b32 s1, exec_lo
	v_cmpx_lt_u32_e32 2, v11
	s_cbranch_execz .LBB26_80
; %bb.79:
	v_mul_u32_u24_e32 v9, 56, v11
	ds_load_2addr_b64 v[3:6], v9 offset0:86 offset1:128
	s_waitcnt lgkmcnt(0)
	v_add_f64 v[3:4], v[3:4], -v[5:6]
	s_delay_alu instid0(VALU_DEP_1) | instskip(SKIP_1) | instid1(VALU_DEP_2)
	v_div_scale_f64 v[5:6], null, v[0:1], v[0:1], v[3:4]
	v_div_scale_f64 v[18:19], vcc_lo, v[3:4], v[0:1], v[3:4]
	v_rcp_f64_e32 v[7:8], v[5:6]
	s_waitcnt_depctr 0xfff
	v_fma_f64 v[16:17], -v[5:6], v[7:8], 1.0
	s_delay_alu instid0(VALU_DEP_1) | instskip(NEXT) | instid1(VALU_DEP_1)
	v_fma_f64 v[7:8], v[7:8], v[16:17], v[7:8]
	v_fma_f64 v[16:17], -v[5:6], v[7:8], 1.0
	s_delay_alu instid0(VALU_DEP_1) | instskip(NEXT) | instid1(VALU_DEP_1)
	v_fma_f64 v[7:8], v[7:8], v[16:17], v[7:8]
	v_mul_f64 v[16:17], v[18:19], v[7:8]
	s_delay_alu instid0(VALU_DEP_1) | instskip(NEXT) | instid1(VALU_DEP_1)
	v_fma_f64 v[5:6], -v[5:6], v[16:17], v[18:19]
	v_div_fmas_f64 v[5:6], v[5:6], v[7:8], v[16:17]
	s_delay_alu instid0(VALU_DEP_1)
	v_div_fixup_f64 v[0:1], v[5:6], v[0:1], v[3:4]
	v_mul_u32_u24_e32 v3, 56, v10
	ds_store_b64 v9, v[0:1] offset:688
	s_waitcnt lgkmcnt(0)
	s_waitcnt_vscnt null, 0x0
	buffer_gl0_inv
	ds_load_b64 v[3:4], v3 offset:688
	ds_load_b64 v[5:6], v14
	s_waitcnt lgkmcnt(0)
	v_fma_f64 v[0:1], v[0:1], v[3:4], v[5:6]
	ds_store_b64 v14, v[0:1]
.LBB26_80:
	s_or_b32 exec_lo, exec_lo, s1
	s_delay_alu instid0(SALU_CYCLE_1)
	s_mov_b32 s1, exec_lo
	s_waitcnt lgkmcnt(0)
	s_waitcnt_vscnt null, 0x0
	buffer_gl0_inv
	v_cmpx_eq_u32_e32 3, v11
	s_cbranch_execz .LBB26_82
; %bb.81:
	v_mov_b32_e32 v9, 0
	ds_load_2addr_b64 v[3:6], v9 offset0:108 offset1:150
	s_waitcnt lgkmcnt(0)
	v_add_f64 v[0:1], v[3:4], -v[5:6]
	s_delay_alu instid0(VALU_DEP_1) | instskip(SKIP_1) | instid1(VALU_DEP_1)
	v_cmp_gt_f64_e32 vcc_lo, 0, v[0:1]
	v_xor_b32_e32 v3, 0x80000000, v1
	v_dual_cndmask_b32 v0, v0, v0 :: v_dual_cndmask_b32 v1, v1, v3
	s_delay_alu instid0(VALU_DEP_1) | instskip(SKIP_3) | instid1(VALU_DEP_1)
	v_cmp_gt_f64_e32 vcc_lo, 0x10000000, v[0:1]
	v_cndmask_b32_e64 v3, 0, 1, vcc_lo
	s_and_b32 s4, vcc_lo, exec_lo
	s_cselect_b32 s4, 0xffffff80, 0
	v_lshlrev_b32_e32 v3, 8, v3
	s_delay_alu instid0(VALU_DEP_1) | instskip(NEXT) | instid1(VALU_DEP_1)
	v_ldexp_f64 v[0:1], v[0:1], v3
	v_rsq_f64_e32 v[3:4], v[0:1]
	v_cmp_class_f64_e64 vcc_lo, v[0:1], 0x260
	s_waitcnt_depctr 0xfff
	v_mul_f64 v[5:6], v[0:1], v[3:4]
	v_mul_f64 v[3:4], v[3:4], 0.5
	s_delay_alu instid0(VALU_DEP_1) | instskip(NEXT) | instid1(VALU_DEP_1)
	v_fma_f64 v[7:8], -v[3:4], v[5:6], 0.5
	v_fma_f64 v[5:6], v[5:6], v[7:8], v[5:6]
	v_fma_f64 v[3:4], v[3:4], v[7:8], v[3:4]
	s_delay_alu instid0(VALU_DEP_2) | instskip(NEXT) | instid1(VALU_DEP_1)
	v_fma_f64 v[7:8], -v[5:6], v[5:6], v[0:1]
	v_fma_f64 v[5:6], v[7:8], v[3:4], v[5:6]
	s_delay_alu instid0(VALU_DEP_1) | instskip(NEXT) | instid1(VALU_DEP_1)
	v_fma_f64 v[7:8], -v[5:6], v[5:6], v[0:1]
	v_fma_f64 v[3:4], v[7:8], v[3:4], v[5:6]
	s_delay_alu instid0(VALU_DEP_1) | instskip(NEXT) | instid1(VALU_DEP_1)
	v_ldexp_f64 v[3:4], v[3:4], s4
	v_dual_cndmask_b32 v0, v3, v0 :: v_dual_cndmask_b32 v1, v4, v1
	ds_store_b64 v9, v[0:1] offset:864
.LBB26_82:
	s_or_b32 exec_lo, exec_lo, s1
	v_mov_b32_e32 v0, 0
	s_waitcnt lgkmcnt(0)
	buffer_gl0_inv
	ds_load_b64 v[0:1], v0 offset:864
	s_waitcnt lgkmcnt(0)
	v_cmp_neq_f64_e32 vcc_lo, 0, v[0:1]
	v_cndmask_b32_e32 v1, 0x3ff00000, v1, vcc_lo
	v_cndmask_b32_e32 v0, 0, v0, vcc_lo
	s_or_b32 s1, vcc_lo, s0
	s_delay_alu instid0(SALU_CYCLE_1) | instskip(NEXT) | instid1(SALU_CYCLE_1)
	s_xor_b32 s4, s1, -1
	s_and_saveexec_b32 s1, s4
	s_cbranch_execz .LBB26_86
; %bb.83:
	v_mbcnt_lo_u32_b32 v0, exec_lo, 0
	s_mov_b32 s4, exec_lo
	s_delay_alu instid0(VALU_DEP_1)
	v_cmpx_eq_u32_e32 0, v0
	s_cbranch_execz .LBB26_85
; %bb.84:
	v_dual_mov_b32 v0, 0 :: v_dual_mov_b32 v1, s3
	global_atomic_min_i32 v0, v1, s[10:11]
.LBB26_85:
	s_or_b32 exec_lo, exec_lo, s4
	v_mov_b32_e32 v0, 0
	v_mov_b32_e32 v1, 0x3ff00000
.LBB26_86:
	s_or_b32 exec_lo, exec_lo, s1
	s_delay_alu instid0(SALU_CYCLE_1)
	s_mov_b32 s1, exec_lo
	v_cmpx_lt_u32_e32 3, v11
	s_cbranch_execz .LBB26_88
; %bb.87:
	v_mul_u32_u24_e32 v9, 56, v11
	ds_load_2addr_b64 v[3:6], v9 offset0:87 offset1:129
	s_waitcnt lgkmcnt(0)
	v_add_f64 v[3:4], v[3:4], -v[5:6]
	s_delay_alu instid0(VALU_DEP_1) | instskip(SKIP_1) | instid1(VALU_DEP_2)
	v_div_scale_f64 v[5:6], null, v[0:1], v[0:1], v[3:4]
	v_div_scale_f64 v[18:19], vcc_lo, v[3:4], v[0:1], v[3:4]
	v_rcp_f64_e32 v[7:8], v[5:6]
	s_waitcnt_depctr 0xfff
	v_fma_f64 v[16:17], -v[5:6], v[7:8], 1.0
	s_delay_alu instid0(VALU_DEP_1) | instskip(NEXT) | instid1(VALU_DEP_1)
	v_fma_f64 v[7:8], v[7:8], v[16:17], v[7:8]
	v_fma_f64 v[16:17], -v[5:6], v[7:8], 1.0
	s_delay_alu instid0(VALU_DEP_1) | instskip(NEXT) | instid1(VALU_DEP_1)
	v_fma_f64 v[7:8], v[7:8], v[16:17], v[7:8]
	v_mul_f64 v[16:17], v[18:19], v[7:8]
	s_delay_alu instid0(VALU_DEP_1) | instskip(NEXT) | instid1(VALU_DEP_1)
	v_fma_f64 v[5:6], -v[5:6], v[16:17], v[18:19]
	v_div_fmas_f64 v[5:6], v[5:6], v[7:8], v[16:17]
	s_delay_alu instid0(VALU_DEP_1)
	v_div_fixup_f64 v[0:1], v[5:6], v[0:1], v[3:4]
	v_mul_u32_u24_e32 v3, 56, v10
	ds_store_b64 v9, v[0:1] offset:696
	s_waitcnt lgkmcnt(0)
	s_waitcnt_vscnt null, 0x0
	buffer_gl0_inv
	ds_load_b64 v[3:4], v3 offset:696
	ds_load_b64 v[5:6], v14
	s_waitcnt lgkmcnt(0)
	v_fma_f64 v[0:1], v[0:1], v[3:4], v[5:6]
	ds_store_b64 v14, v[0:1]
.LBB26_88:
	s_or_b32 exec_lo, exec_lo, s1
	s_delay_alu instid0(SALU_CYCLE_1)
	s_mov_b32 s1, exec_lo
	s_waitcnt lgkmcnt(0)
	s_waitcnt_vscnt null, 0x0
	buffer_gl0_inv
	v_cmpx_eq_u32_e32 4, v11
	s_cbranch_execz .LBB26_90
; %bb.89:
	v_mov_b32_e32 v9, 0
	ds_load_2addr_b64 v[3:6], v9 offset0:116 offset1:158
	s_waitcnt lgkmcnt(0)
	v_add_f64 v[0:1], v[3:4], -v[5:6]
	s_delay_alu instid0(VALU_DEP_1) | instskip(SKIP_1) | instid1(VALU_DEP_1)
	v_cmp_gt_f64_e32 vcc_lo, 0, v[0:1]
	v_xor_b32_e32 v3, 0x80000000, v1
	v_dual_cndmask_b32 v0, v0, v0 :: v_dual_cndmask_b32 v1, v1, v3
	s_delay_alu instid0(VALU_DEP_1) | instskip(SKIP_3) | instid1(VALU_DEP_1)
	v_cmp_gt_f64_e32 vcc_lo, 0x10000000, v[0:1]
	v_cndmask_b32_e64 v3, 0, 1, vcc_lo
	s_and_b32 s4, vcc_lo, exec_lo
	s_cselect_b32 s4, 0xffffff80, 0
	v_lshlrev_b32_e32 v3, 8, v3
	s_delay_alu instid0(VALU_DEP_1) | instskip(NEXT) | instid1(VALU_DEP_1)
	v_ldexp_f64 v[0:1], v[0:1], v3
	v_rsq_f64_e32 v[3:4], v[0:1]
	v_cmp_class_f64_e64 vcc_lo, v[0:1], 0x260
	s_waitcnt_depctr 0xfff
	v_mul_f64 v[5:6], v[0:1], v[3:4]
	v_mul_f64 v[3:4], v[3:4], 0.5
	s_delay_alu instid0(VALU_DEP_1) | instskip(NEXT) | instid1(VALU_DEP_1)
	v_fma_f64 v[7:8], -v[3:4], v[5:6], 0.5
	v_fma_f64 v[5:6], v[5:6], v[7:8], v[5:6]
	v_fma_f64 v[3:4], v[3:4], v[7:8], v[3:4]
	s_delay_alu instid0(VALU_DEP_2) | instskip(NEXT) | instid1(VALU_DEP_1)
	v_fma_f64 v[7:8], -v[5:6], v[5:6], v[0:1]
	v_fma_f64 v[5:6], v[7:8], v[3:4], v[5:6]
	s_delay_alu instid0(VALU_DEP_1) | instskip(NEXT) | instid1(VALU_DEP_1)
	v_fma_f64 v[7:8], -v[5:6], v[5:6], v[0:1]
	v_fma_f64 v[3:4], v[7:8], v[3:4], v[5:6]
	s_delay_alu instid0(VALU_DEP_1) | instskip(NEXT) | instid1(VALU_DEP_1)
	v_ldexp_f64 v[3:4], v[3:4], s4
	v_dual_cndmask_b32 v0, v3, v0 :: v_dual_cndmask_b32 v1, v4, v1
	ds_store_b64 v9, v[0:1] offset:928
.LBB26_90:
	s_or_b32 exec_lo, exec_lo, s1
	v_mov_b32_e32 v0, 0
	s_waitcnt lgkmcnt(0)
	buffer_gl0_inv
	ds_load_b64 v[0:1], v0 offset:928
	s_waitcnt lgkmcnt(0)
	v_cmp_neq_f64_e32 vcc_lo, 0, v[0:1]
	v_cndmask_b32_e32 v1, 0x3ff00000, v1, vcc_lo
	v_cndmask_b32_e32 v0, 0, v0, vcc_lo
	s_or_b32 s1, vcc_lo, s0
	s_delay_alu instid0(SALU_CYCLE_1) | instskip(NEXT) | instid1(SALU_CYCLE_1)
	s_xor_b32 s4, s1, -1
	s_and_saveexec_b32 s1, s4
	s_cbranch_execz .LBB26_94
; %bb.91:
	v_mbcnt_lo_u32_b32 v0, exec_lo, 0
	s_mov_b32 s4, exec_lo
	s_delay_alu instid0(VALU_DEP_1)
	v_cmpx_eq_u32_e32 0, v0
	s_cbranch_execz .LBB26_93
; %bb.92:
	v_dual_mov_b32 v0, 0 :: v_dual_mov_b32 v1, s3
	global_atomic_min_i32 v0, v1, s[10:11]
.LBB26_93:
	s_or_b32 exec_lo, exec_lo, s4
	v_mov_b32_e32 v0, 0
	v_mov_b32_e32 v1, 0x3ff00000
.LBB26_94:
	s_or_b32 exec_lo, exec_lo, s1
	s_delay_alu instid0(SALU_CYCLE_1)
	s_mov_b32 s1, exec_lo
	v_cmpx_lt_u32_e32 4, v11
	s_cbranch_execz .LBB26_96
; %bb.95:
	v_mul_u32_u24_e32 v9, 56, v11
	ds_load_2addr_b64 v[3:6], v9 offset0:88 offset1:130
	s_waitcnt lgkmcnt(0)
	v_add_f64 v[3:4], v[3:4], -v[5:6]
	s_delay_alu instid0(VALU_DEP_1) | instskip(SKIP_1) | instid1(VALU_DEP_2)
	v_div_scale_f64 v[5:6], null, v[0:1], v[0:1], v[3:4]
	v_div_scale_f64 v[18:19], vcc_lo, v[3:4], v[0:1], v[3:4]
	v_rcp_f64_e32 v[7:8], v[5:6]
	s_waitcnt_depctr 0xfff
	v_fma_f64 v[16:17], -v[5:6], v[7:8], 1.0
	s_delay_alu instid0(VALU_DEP_1) | instskip(NEXT) | instid1(VALU_DEP_1)
	v_fma_f64 v[7:8], v[7:8], v[16:17], v[7:8]
	v_fma_f64 v[16:17], -v[5:6], v[7:8], 1.0
	s_delay_alu instid0(VALU_DEP_1) | instskip(NEXT) | instid1(VALU_DEP_1)
	v_fma_f64 v[7:8], v[7:8], v[16:17], v[7:8]
	v_mul_f64 v[16:17], v[18:19], v[7:8]
	s_delay_alu instid0(VALU_DEP_1) | instskip(NEXT) | instid1(VALU_DEP_1)
	v_fma_f64 v[5:6], -v[5:6], v[16:17], v[18:19]
	v_div_fmas_f64 v[5:6], v[5:6], v[7:8], v[16:17]
	s_delay_alu instid0(VALU_DEP_1)
	v_div_fixup_f64 v[0:1], v[5:6], v[0:1], v[3:4]
	v_mul_u32_u24_e32 v3, 56, v10
	ds_store_b64 v9, v[0:1] offset:704
	s_waitcnt lgkmcnt(0)
	s_waitcnt_vscnt null, 0x0
	buffer_gl0_inv
	ds_load_b64 v[3:4], v3 offset:704
	ds_load_b64 v[5:6], v14
	s_waitcnt lgkmcnt(0)
	v_fma_f64 v[0:1], v[0:1], v[3:4], v[5:6]
	ds_store_b64 v14, v[0:1]
.LBB26_96:
	s_or_b32 exec_lo, exec_lo, s1
	s_delay_alu instid0(SALU_CYCLE_1)
	s_mov_b32 s1, exec_lo
	s_waitcnt lgkmcnt(0)
	s_waitcnt_vscnt null, 0x0
	buffer_gl0_inv
	v_cmpx_eq_u32_e32 5, v11
	s_cbranch_execz .LBB26_98
; %bb.97:
	v_mov_b32_e32 v9, 0
	ds_load_2addr_b64 v[3:6], v9 offset0:124 offset1:166
	s_waitcnt lgkmcnt(0)
	v_add_f64 v[0:1], v[3:4], -v[5:6]
	s_delay_alu instid0(VALU_DEP_1) | instskip(SKIP_1) | instid1(VALU_DEP_1)
	v_cmp_gt_f64_e32 vcc_lo, 0, v[0:1]
	v_xor_b32_e32 v3, 0x80000000, v1
	v_dual_cndmask_b32 v0, v0, v0 :: v_dual_cndmask_b32 v1, v1, v3
	s_delay_alu instid0(VALU_DEP_1) | instskip(SKIP_3) | instid1(VALU_DEP_1)
	v_cmp_gt_f64_e32 vcc_lo, 0x10000000, v[0:1]
	v_cndmask_b32_e64 v3, 0, 1, vcc_lo
	s_and_b32 s4, vcc_lo, exec_lo
	s_cselect_b32 s4, 0xffffff80, 0
	v_lshlrev_b32_e32 v3, 8, v3
	s_delay_alu instid0(VALU_DEP_1) | instskip(NEXT) | instid1(VALU_DEP_1)
	v_ldexp_f64 v[0:1], v[0:1], v3
	v_rsq_f64_e32 v[3:4], v[0:1]
	v_cmp_class_f64_e64 vcc_lo, v[0:1], 0x260
	s_waitcnt_depctr 0xfff
	v_mul_f64 v[5:6], v[0:1], v[3:4]
	v_mul_f64 v[3:4], v[3:4], 0.5
	s_delay_alu instid0(VALU_DEP_1) | instskip(NEXT) | instid1(VALU_DEP_1)
	v_fma_f64 v[7:8], -v[3:4], v[5:6], 0.5
	v_fma_f64 v[5:6], v[5:6], v[7:8], v[5:6]
	v_fma_f64 v[3:4], v[3:4], v[7:8], v[3:4]
	s_delay_alu instid0(VALU_DEP_2) | instskip(NEXT) | instid1(VALU_DEP_1)
	v_fma_f64 v[7:8], -v[5:6], v[5:6], v[0:1]
	v_fma_f64 v[5:6], v[7:8], v[3:4], v[5:6]
	s_delay_alu instid0(VALU_DEP_1) | instskip(NEXT) | instid1(VALU_DEP_1)
	v_fma_f64 v[7:8], -v[5:6], v[5:6], v[0:1]
	v_fma_f64 v[3:4], v[7:8], v[3:4], v[5:6]
	s_delay_alu instid0(VALU_DEP_1) | instskip(NEXT) | instid1(VALU_DEP_1)
	v_ldexp_f64 v[3:4], v[3:4], s4
	v_dual_cndmask_b32 v0, v3, v0 :: v_dual_cndmask_b32 v1, v4, v1
	ds_store_b64 v9, v[0:1] offset:992
.LBB26_98:
	s_or_b32 exec_lo, exec_lo, s1
	v_mov_b32_e32 v0, 0
	s_waitcnt lgkmcnt(0)
	buffer_gl0_inv
	ds_load_b64 v[0:1], v0 offset:992
	s_waitcnt lgkmcnt(0)
	v_cmp_neq_f64_e32 vcc_lo, 0, v[0:1]
	v_cndmask_b32_e32 v1, 0x3ff00000, v1, vcc_lo
	v_cndmask_b32_e32 v0, 0, v0, vcc_lo
	s_or_b32 s0, vcc_lo, s0
	s_delay_alu instid0(SALU_CYCLE_1) | instskip(NEXT) | instid1(SALU_CYCLE_1)
	s_xor_b32 s1, s0, -1
	s_and_saveexec_b32 s0, s1
	s_cbranch_execz .LBB26_102
; %bb.99:
	v_mbcnt_lo_u32_b32 v0, exec_lo, 0
	s_mov_b32 s1, exec_lo
	s_delay_alu instid0(VALU_DEP_1)
	v_cmpx_eq_u32_e32 0, v0
	s_cbranch_execz .LBB26_101
; %bb.100:
	v_dual_mov_b32 v0, 0 :: v_dual_mov_b32 v1, s3
	global_atomic_min_i32 v0, v1, s[10:11]
.LBB26_101:
	s_or_b32 exec_lo, exec_lo, s1
	v_mov_b32_e32 v0, 0
	v_mov_b32_e32 v1, 0x3ff00000
.LBB26_102:
	s_or_b32 exec_lo, exec_lo, s0
	v_add_nc_u32_e32 v3, 0x2a0, v15
	s_mov_b32 s0, exec_lo
	v_cmpx_lt_u32_e32 5, v11
	s_cbranch_execz .LBB26_104
; %bb.103:
	v_mul_u32_u24_e32 v19, 56, v11
	ds_load_2addr_b64 v[4:7], v19 offset0:89 offset1:131
	s_waitcnt lgkmcnt(0)
	v_add_f64 v[4:5], v[4:5], -v[6:7]
	s_delay_alu instid0(VALU_DEP_1) | instskip(SKIP_1) | instid1(VALU_DEP_2)
	v_div_scale_f64 v[6:7], null, v[0:1], v[0:1], v[4:5]
	v_div_scale_f64 v[17:18], vcc_lo, v[4:5], v[0:1], v[4:5]
	v_rcp_f64_e32 v[8:9], v[6:7]
	s_waitcnt_depctr 0xfff
	v_fma_f64 v[15:16], -v[6:7], v[8:9], 1.0
	s_delay_alu instid0(VALU_DEP_1) | instskip(NEXT) | instid1(VALU_DEP_1)
	v_fma_f64 v[8:9], v[8:9], v[15:16], v[8:9]
	v_fma_f64 v[15:16], -v[6:7], v[8:9], 1.0
	s_delay_alu instid0(VALU_DEP_1) | instskip(NEXT) | instid1(VALU_DEP_1)
	v_fma_f64 v[8:9], v[8:9], v[15:16], v[8:9]
	v_mul_f64 v[15:16], v[17:18], v[8:9]
	s_delay_alu instid0(VALU_DEP_1) | instskip(NEXT) | instid1(VALU_DEP_1)
	v_fma_f64 v[6:7], -v[6:7], v[15:16], v[17:18]
	v_div_fmas_f64 v[6:7], v[6:7], v[8:9], v[15:16]
	s_delay_alu instid0(VALU_DEP_1)
	v_div_fixup_f64 v[0:1], v[6:7], v[0:1], v[4:5]
	v_mul_u32_u24_e32 v4, 56, v10
	ds_store_b64 v19, v[0:1] offset:712
	s_waitcnt lgkmcnt(0)
	s_waitcnt_vscnt null, 0x0
	buffer_gl0_inv
	ds_load_b64 v[4:5], v4 offset:712
	ds_load_b64 v[6:7], v14
	s_waitcnt lgkmcnt(0)
	v_fma_f64 v[0:1], v[0:1], v[4:5], v[6:7]
	ds_store_b64 v14, v[0:1]
.LBB26_104:
	s_or_b32 exec_lo, exec_lo, s0
	s_waitcnt lgkmcnt(0)
	s_waitcnt_vscnt null, 0x0
	buffer_gl0_inv
	ds_load_b64 v[0:1], v3
	s_and_not1_b32 vcc_lo, exec_lo, s2
	s_cbranch_vccnz .LBB26_106
; %bb.105:
	v_mov_b32_e32 v12, v13
.LBB26_106:
	s_delay_alu instid0(VALU_DEP_1) | instskip(SKIP_1) | instid1(VALU_DEP_2)
	v_add_nc_u32_e32 v3, s26, v12
	v_cmp_eq_u32_e64 s3, 0, v2
	v_ashrrev_i32_e32 v4, 31, v3
	s_delay_alu instid0(VALU_DEP_1) | instskip(NEXT) | instid1(VALU_DEP_1)
	v_lshlrev_b64 v[3:4], 3, v[3:4]
	v_add_co_u32 v3, vcc_lo, s18, v3
	s_delay_alu instid0(VALU_DEP_2)
	v_add_co_ci_u32_e32 v4, vcc_lo, s19, v4, vcc_lo
	s_waitcnt lgkmcnt(0)
	global_store_b64 v[3:4], v[0:1], off
.LBB26_107:
	s_and_saveexec_b32 s0, s3
	s_cbranch_execnz .LBB26_115
.LBB26_108:
	s_nop 0
	s_sendmsg sendmsg(MSG_DEALLOC_VGPRS)
	s_endpgm
.LBB26_109:
	s_cbranch_execz .LBB26_107
; %bb.110:
	v_or_b32_e32 v0, v10, v11
	s_mov_b32 s0, exec_lo
	s_delay_alu instid0(VALU_DEP_1)
	v_cmpx_eq_u32_e32 0, v0
	s_cbranch_execz .LBB26_114
; %bb.111:
	v_mbcnt_lo_u32_b32 v0, exec_lo, 0
	s_mov_b32 s1, exec_lo
	s_delay_alu instid0(VALU_DEP_1)
	v_cmpx_eq_u32_e32 0, v0
	s_cbranch_execz .LBB26_113
; %bb.112:
	s_add_i32 s2, s16, s17
	s_delay_alu instid0(SALU_CYCLE_1)
	v_dual_mov_b32 v0, 0 :: v_dual_mov_b32 v1, s2
	global_atomic_min_i32 v0, v1, s[10:11]
.LBB26_113:
	s_or_b32 exec_lo, exec_lo, s1
	s_delay_alu instid0(SALU_CYCLE_1)
	s_or_b32 s3, s3, exec_lo
.LBB26_114:
	s_or_b32 exec_lo, exec_lo, s0
	s_and_saveexec_b32 s0, s3
	s_cbranch_execz .LBB26_108
.LBB26_115:
	v_dual_mov_b32 v0, 0 :: v_dual_mov_b32 v1, 1
	s_add_u32 s0, s6, s8
	s_addc_u32 s1, s7, s9
	s_waitcnt_vscnt null, 0x0
	global_store_b32 v0, v1, s[0:1]
	s_nop 0
	s_sendmsg sendmsg(MSG_DEALLOC_VGPRS)
	s_endpgm
	.section	.rodata,"a",@progbits
	.p2align	6, 0x0
	.amdhsa_kernel _ZN9rocsparseL26bsric0_2_8_unrolled_kernelILi36ELi32ELi6EdEEv20rocsparse_direction_iiPKiS3_PT2_S3_PiS3_S6_21rocsparse_index_base_
		.amdhsa_group_segment_fixed_size 1728
		.amdhsa_private_segment_fixed_size 0
		.amdhsa_kernarg_size 76
		.amdhsa_user_sgpr_count 15
		.amdhsa_user_sgpr_dispatch_ptr 0
		.amdhsa_user_sgpr_queue_ptr 0
		.amdhsa_user_sgpr_kernarg_segment_ptr 1
		.amdhsa_user_sgpr_dispatch_id 0
		.amdhsa_user_sgpr_private_segment_size 0
		.amdhsa_wavefront_size32 1
		.amdhsa_uses_dynamic_stack 0
		.amdhsa_enable_private_segment 0
		.amdhsa_system_sgpr_workgroup_id_x 1
		.amdhsa_system_sgpr_workgroup_id_y 0
		.amdhsa_system_sgpr_workgroup_id_z 0
		.amdhsa_system_sgpr_workgroup_info 0
		.amdhsa_system_vgpr_workitem_id 1
		.amdhsa_next_free_vgpr 46
		.amdhsa_next_free_sgpr 37
		.amdhsa_reserve_vcc 1
		.amdhsa_float_round_mode_32 0
		.amdhsa_float_round_mode_16_64 0
		.amdhsa_float_denorm_mode_32 3
		.amdhsa_float_denorm_mode_16_64 3
		.amdhsa_dx10_clamp 1
		.amdhsa_ieee_mode 1
		.amdhsa_fp16_overflow 0
		.amdhsa_workgroup_processor_mode 1
		.amdhsa_memory_ordered 1
		.amdhsa_forward_progress 0
		.amdhsa_shared_vgpr_count 0
		.amdhsa_exception_fp_ieee_invalid_op 0
		.amdhsa_exception_fp_denorm_src 0
		.amdhsa_exception_fp_ieee_div_zero 0
		.amdhsa_exception_fp_ieee_overflow 0
		.amdhsa_exception_fp_ieee_underflow 0
		.amdhsa_exception_fp_ieee_inexact 0
		.amdhsa_exception_int_div_zero 0
	.end_amdhsa_kernel
	.section	.text._ZN9rocsparseL26bsric0_2_8_unrolled_kernelILi36ELi32ELi6EdEEv20rocsparse_direction_iiPKiS3_PT2_S3_PiS3_S6_21rocsparse_index_base_,"axG",@progbits,_ZN9rocsparseL26bsric0_2_8_unrolled_kernelILi36ELi32ELi6EdEEv20rocsparse_direction_iiPKiS3_PT2_S3_PiS3_S6_21rocsparse_index_base_,comdat
.Lfunc_end26:
	.size	_ZN9rocsparseL26bsric0_2_8_unrolled_kernelILi36ELi32ELi6EdEEv20rocsparse_direction_iiPKiS3_PT2_S3_PiS3_S6_21rocsparse_index_base_, .Lfunc_end26-_ZN9rocsparseL26bsric0_2_8_unrolled_kernelILi36ELi32ELi6EdEEv20rocsparse_direction_iiPKiS3_PT2_S3_PiS3_S6_21rocsparse_index_base_
                                        ; -- End function
	.section	.AMDGPU.csdata,"",@progbits
; Kernel info:
; codeLenInByte = 8248
; NumSgprs: 39
; NumVgprs: 46
; ScratchSize: 0
; MemoryBound: 1
; FloatMode: 240
; IeeeMode: 1
; LDSByteSize: 1728 bytes/workgroup (compile time only)
; SGPRBlocks: 4
; VGPRBlocks: 5
; NumSGPRsForWavesPerEU: 39
; NumVGPRsForWavesPerEU: 46
; Occupancy: 16
; WaveLimiterHint : 1
; COMPUTE_PGM_RSRC2:SCRATCH_EN: 0
; COMPUTE_PGM_RSRC2:USER_SGPR: 15
; COMPUTE_PGM_RSRC2:TRAP_HANDLER: 0
; COMPUTE_PGM_RSRC2:TGID_X_EN: 1
; COMPUTE_PGM_RSRC2:TGID_Y_EN: 0
; COMPUTE_PGM_RSRC2:TGID_Z_EN: 0
; COMPUTE_PGM_RSRC2:TIDIG_COMP_CNT: 1
	.section	.text._ZN9rocsparseL26bsric0_2_8_unrolled_kernelILi49ELi32ELi7EdEEv20rocsparse_direction_iiPKiS3_PT2_S3_PiS3_S6_21rocsparse_index_base_,"axG",@progbits,_ZN9rocsparseL26bsric0_2_8_unrolled_kernelILi49ELi32ELi7EdEEv20rocsparse_direction_iiPKiS3_PT2_S3_PiS3_S6_21rocsparse_index_base_,comdat
	.globl	_ZN9rocsparseL26bsric0_2_8_unrolled_kernelILi49ELi32ELi7EdEEv20rocsparse_direction_iiPKiS3_PT2_S3_PiS3_S6_21rocsparse_index_base_ ; -- Begin function _ZN9rocsparseL26bsric0_2_8_unrolled_kernelILi49ELi32ELi7EdEEv20rocsparse_direction_iiPKiS3_PT2_S3_PiS3_S6_21rocsparse_index_base_
	.p2align	8
	.type	_ZN9rocsparseL26bsric0_2_8_unrolled_kernelILi49ELi32ELi7EdEEv20rocsparse_direction_iiPKiS3_PT2_S3_PiS3_S6_21rocsparse_index_base_,@function
_ZN9rocsparseL26bsric0_2_8_unrolled_kernelILi49ELi32ELi7EdEEv20rocsparse_direction_iiPKiS3_PT2_S3_PiS3_S6_21rocsparse_index_base_: ; @_ZN9rocsparseL26bsric0_2_8_unrolled_kernelILi49ELi32ELi7EdEEv20rocsparse_direction_iiPKiS3_PT2_S3_PiS3_S6_21rocsparse_index_base_
; %bb.0:
	s_load_b256 s[4:11], s[0:1], 0x28
	s_mov_b32 s2, s15
	s_mov_b32 s3, 0
	v_and_b32_e32 v10, 0x3ff, v0
	s_lshl_b64 s[12:13], s[2:3], 2
	v_bfe_u32 v11, v0, 10, 10
	s_waitcnt lgkmcnt(0)
	s_add_u32 s8, s8, s12
	s_addc_u32 s9, s9, s13
	s_load_b32 s16, s[8:9], 0x0
	s_waitcnt lgkmcnt(0)
	s_ashr_i32 s17, s16, 31
	s_delay_alu instid0(SALU_CYCLE_1) | instskip(NEXT) | instid1(SALU_CYCLE_1)
	s_lshl_b64 s[8:9], s[16:17], 2
	s_add_u32 s12, s4, s8
	s_addc_u32 s13, s5, s9
	s_load_b32 s26, s[12:13], 0x0
	s_load_b32 s17, s[0:1], 0x48
	s_waitcnt lgkmcnt(0)
	s_cmp_lg_u32 s26, -1
	s_cbranch_scc0 .LBB27_121
; %bb.1:
	s_clause 0x1
	s_load_b128 s[12:15], s[0:1], 0x10
	s_load_b64 s[18:19], s[0:1], 0x20
	v_mad_u32_u24 v12, v11, 7, v10
	s_waitcnt lgkmcnt(0)
	s_add_u32 s2, s12, s8
	s_addc_u32 s3, s13, s9
	s_load_b32 s2, s[2:3], 0x0
	s_mov_b32 s3, exec_lo
	s_waitcnt lgkmcnt(0)
	s_sub_i32 s27, s2, s17
	s_delay_alu instid0(SALU_CYCLE_1) | instskip(NEXT) | instid1(VALU_DEP_1)
	v_add_nc_u32_e32 v0, s27, v12
	v_cmpx_ge_i32_e64 s26, v0
	s_cbranch_execz .LBB27_4
; %bb.2:
	v_ashrrev_i32_e32 v1, 31, v0
	v_lshl_add_u32 v3, v12, 2, 0x800
	s_mov_b32 s20, 0
	s_delay_alu instid0(VALU_DEP_2) | instskip(NEXT) | instid1(VALU_DEP_1)
	v_lshlrev_b64 v[1:2], 2, v[0:1]
	v_add_co_u32 v1, vcc_lo, s14, v1
	s_delay_alu instid0(VALU_DEP_2)
	v_add_co_ci_u32_e32 v2, vcc_lo, s15, v2, vcc_lo
	.p2align	6
.LBB27_3:                               ; =>This Inner Loop Header: Depth=1
	global_load_b32 v4, v[1:2], off
	v_add_nc_u32_e32 v0, 49, v0
	v_add_co_u32 v1, vcc_lo, 0xc4, v1
	v_add_co_ci_u32_e32 v2, vcc_lo, 0, v2, vcc_lo
	s_delay_alu instid0(VALU_DEP_3) | instskip(NEXT) | instid1(VALU_DEP_1)
	v_cmp_lt_i32_e64 s2, s26, v0
	s_or_b32 s20, s2, s20
	s_waitcnt vmcnt(0)
	v_subrev_nc_u32_e32 v4, s17, v4
	ds_store_b32 v3, v4
	v_add_nc_u32_e32 v3, 0xc4, v3
	s_and_not1_b32 exec_lo, exec_lo, s20
	s_cbranch_execnz .LBB27_3
.LBB27_4:
	s_or_b32 exec_lo, exec_lo, s3
	s_load_b32 s1, s[0:1], 0x0
	v_mov_b32_e32 v0, 0
	v_lshlrev_b32_e32 v2, 3, v10
	v_mul_u32_u24_e32 v16, 7, v11
	v_mad_u32_u24 v13, v10, 7, v11
	s_cmp_ge_i32 s27, s26
	v_mov_b32_e32 v1, v0
	v_lshl_add_u32 v15, v11, 6, v2
	s_delay_alu instid0(VALU_DEP_1)
	v_add_nc_u32_e32 v14, 0x540, v15
	ds_store_b64 v15, v[0:1] offset:1344
	s_waitcnt lgkmcnt(0)
	buffer_gl0_inv
	s_cbranch_scc1 .LBB27_58
; %bb.5:
	v_lshlrev_b32_e32 v1, 6, v11
	s_cmp_eq_u32 s1, 0
	v_mad_u32_u24 v3, v10, 7, v11
	v_or_b32_e32 v4, v10, v11
	s_cselect_b32 vcc_lo, -1, 0
	v_add_nc_u32_e32 v18, 0x380, v1
	v_add_nc_u32_e32 v19, 0x1c0, v1
	v_mul_u32_u24_e32 v17, 7, v10
	v_dual_cndmask_b32 v1, v3, v12 :: v_dual_add_nc_u32 v20, v1, v2
	s_delay_alu instid0(VALU_DEP_4) | instskip(NEXT) | instid1(VALU_DEP_4)
	v_add_nc_u32_e32 v21, v18, v2
	v_add_nc_u32_e32 v22, v19, v2
	v_cmp_ne_u32_e64 s0, 0, v4
	v_lshl_add_u32 v23, v10, 6, 0x380
	s_cmp_lg_u32 s1, 0
	s_mov_b32 s2, s27
	s_cselect_b32 s28, -1, 0
	s_branch .LBB27_9
.LBB27_6:                               ;   in Loop: Header=BB27_9 Depth=1
	s_or_b32 exec_lo, exec_lo, s21
	v_mov_b32_e32 v6, 0
	v_mov_b32_e32 v7, 0x3ff00000
.LBB27_7:                               ;   in Loop: Header=BB27_9 Depth=1
	s_or_b32 exec_lo, exec_lo, s20
	ds_load_b128 v[24:27], v18
	ds_load_b64 v[8:9], v19 offset:48
	ds_load_b128 v[28:31], v0 offset:384
	ds_load_b128 v[32:35], v0 offset:400
	;; [unrolled: 1-line block ×3, first 2 shown]
	s_add_i32 s2, s2, 1
	s_delay_alu instid0(SALU_CYCLE_1) | instskip(SKIP_3) | instid1(VALU_DEP_1)
	s_cmp_ge_i32 s2, s26
	s_cselect_b32 s24, -1, 0
	s_waitcnt lgkmcnt(2)
	v_fma_f64 v[8:9], v[28:29], v[24:25], v[8:9]
	v_fma_f64 v[8:9], v[30:31], v[26:27], v[8:9]
	ds_load_b128 v[24:27], v18 offset:32
	ds_load_b128 v[28:31], v0 offset:416
	s_waitcnt lgkmcnt(2)
	v_fma_f64 v[8:9], v[32:33], v[36:37], v[8:9]
	s_delay_alu instid0(VALU_DEP_1) | instskip(SKIP_1) | instid1(VALU_DEP_1)
	v_fma_f64 v[8:9], v[34:35], v[38:39], v[8:9]
	s_waitcnt lgkmcnt(0)
	v_fma_f64 v[8:9], v[28:29], v[24:25], v[8:9]
	s_delay_alu instid0(VALU_DEP_1) | instskip(NEXT) | instid1(VALU_DEP_1)
	v_fma_f64 v[8:9], v[30:31], v[26:27], v[8:9]
	v_add_f64 v[4:5], v[4:5], -v[8:9]
	s_delay_alu instid0(VALU_DEP_1) | instskip(SKIP_1) | instid1(VALU_DEP_2)
	v_div_scale_f64 v[8:9], null, v[6:7], v[6:7], v[4:5]
	v_div_scale_f64 v[28:29], vcc_lo, v[4:5], v[6:7], v[4:5]
	v_rcp_f64_e32 v[24:25], v[8:9]
	s_waitcnt_depctr 0xfff
	v_fma_f64 v[26:27], -v[8:9], v[24:25], 1.0
	s_delay_alu instid0(VALU_DEP_1) | instskip(NEXT) | instid1(VALU_DEP_1)
	v_fma_f64 v[24:25], v[24:25], v[26:27], v[24:25]
	v_fma_f64 v[26:27], -v[8:9], v[24:25], 1.0
	s_delay_alu instid0(VALU_DEP_1) | instskip(NEXT) | instid1(VALU_DEP_1)
	v_fma_f64 v[24:25], v[24:25], v[26:27], v[24:25]
	v_mul_f64 v[26:27], v[28:29], v[24:25]
	s_delay_alu instid0(VALU_DEP_1) | instskip(NEXT) | instid1(VALU_DEP_1)
	v_fma_f64 v[8:9], -v[8:9], v[26:27], v[28:29]
	v_div_fmas_f64 v[8:9], v[8:9], v[24:25], v[26:27]
	s_delay_alu instid0(VALU_DEP_1)
	v_div_fixup_f64 v[4:5], v[8:9], v[6:7], v[4:5]
	ds_store_b64 v18, v[4:5] offset:48
	s_waitcnt lgkmcnt(0)
	s_waitcnt_vscnt null, 0x0
	buffer_gl0_inv
	ds_load_b64 v[6:7], v23 offset:48
	ds_load_b64 v[8:9], v14
	s_waitcnt lgkmcnt(0)
	v_fma_f64 v[4:5], v[4:5], v[6:7], v[8:9]
	ds_store_b64 v14, v[4:5]
	s_waitcnt lgkmcnt(0)
	buffer_gl0_inv
	ds_load_b64 v[4:5], v21
	s_waitcnt lgkmcnt(0)
	global_store_b64 v[2:3], v[4:5], off
	s_waitcnt_vscnt null, 0x0
	buffer_gl1_inv
	buffer_gl0_inv
.LBB27_8:                               ;   in Loop: Header=BB27_9 Depth=1
	s_and_b32 vcc_lo, exec_lo, s24
	s_cbranch_vccnz .LBB27_58
.LBB27_9:                               ; =>This Loop Header: Depth=1
                                        ;     Child Loop BB27_12 Depth 2
                                        ;     Child Loop BB27_23 Depth 2
	s_ashr_i32 s3, s2, 31
	s_delay_alu instid0(SALU_CYCLE_1) | instskip(NEXT) | instid1(SALU_CYCLE_1)
	s_lshl_b64 s[20:21], s[2:3], 2
	s_add_u32 s20, s14, s20
	s_addc_u32 s21, s15, s21
	s_load_b32 s3, s[20:21], 0x0
	s_waitcnt lgkmcnt(0)
	s_sub_i32 s22, s3, s17
	s_delay_alu instid0(SALU_CYCLE_1) | instskip(NEXT) | instid1(SALU_CYCLE_1)
	s_ashr_i32 s23, s22, 31
	s_lshl_b64 s[20:21], s[22:23], 2
	s_delay_alu instid0(SALU_CYCLE_1)
	s_add_u32 s24, s4, s20
	s_addc_u32 s25, s5, s21
	s_load_b32 s23, s[24:25], 0x0
	s_mov_b32 s24, -1
	s_waitcnt lgkmcnt(0)
	s_cmp_eq_u32 s23, -1
	s_cbranch_scc1 .LBB27_8
; %bb.10:                               ;   in Loop: Header=BB27_9 Depth=1
	v_mad_u64_u32 v[2:3], null, s2, 49, v[1:2]
	s_add_u32 s24, s12, s20
	s_addc_u32 s25, s13, s21
	ds_load_b32 v6, v0 offset:2048
	s_load_b32 s24, s[24:25], 0x0
	v_ashrrev_i32_e32 v3, 31, v2
	s_delay_alu instid0(VALU_DEP_1) | instskip(NEXT) | instid1(VALU_DEP_1)
	v_lshlrev_b64 v[2:3], 3, v[2:3]
	v_add_co_u32 v2, vcc_lo, s18, v2
	s_delay_alu instid0(VALU_DEP_2)
	v_add_co_ci_u32_e32 v3, vcc_lo, s19, v3, vcc_lo
	s_waitcnt lgkmcnt(0)
	v_cmp_ge_i32_e32 vcc_lo, s22, v6
	s_sub_i32 s24, s24, s17
	global_load_b64 v[4:5], v[2:3], off
	s_cmp_le_i32 s24, s23
	s_cselect_b32 s25, -1, 0
	s_delay_alu instid0(SALU_CYCLE_1) | instskip(NEXT) | instid1(SALU_CYCLE_1)
	s_and_b32 s25, s25, vcc_lo
	s_and_not1_b32 vcc_lo, exec_lo, s25
	s_mov_b32 s25, 0
	s_waitcnt vmcnt(0)
	ds_store_b64 v21, v[4:5]
	s_cbranch_vccnz .LBB27_22
; %bb.11:                               ;   in Loop: Header=BB27_9 Depth=1
	s_mov_b32 s29, 0
	s_mov_b32 s30, 0
.LBB27_12:                              ;   Parent Loop BB27_9 Depth=1
                                        ; =>  This Inner Loop Header: Depth=2
	s_ashr_i32 s25, s24, 31
                                        ; implicit-def: $sgpr33
	s_delay_alu instid0(SALU_CYCLE_1) | instskip(NEXT) | instid1(SALU_CYCLE_1)
	s_lshl_b64 s[34:35], s[24:25], 2
	s_add_u32 s34, s14, s34
	s_addc_u32 s35, s15, s35
	s_lshl_b32 s25, s30, 2
	s_delay_alu instid0(SALU_CYCLE_1)
	v_mov_b32_e32 v4, s25
	s_load_b32 s25, s[34:35], 0x0
	s_mov_b32 s35, -1
                                        ; implicit-def: $sgpr34
	ds_load_b32 v4, v4 offset:2048
	s_waitcnt lgkmcnt(0)
	s_sub_i32 s36, s25, s17
                                        ; implicit-def: $sgpr25
	s_delay_alu instid0(SALU_CYCLE_1)
	v_cmp_ge_i32_e32 vcc_lo, s36, v4
	v_readfirstlane_b32 s31, v4
	s_cbranch_vccz .LBB27_18
; %bb.13:                               ;   in Loop: Header=BB27_12 Depth=2
	s_delay_alu instid0(VALU_DEP_1)
	s_cmp_le_i32 s36, s31
                                        ; implicit-def: $sgpr25
                                        ; implicit-def: $sgpr34
                                        ; implicit-def: $sgpr33
	s_cbranch_scc0 .LBB27_15
; %bb.14:                               ;   in Loop: Header=BB27_12 Depth=2
	s_add_i32 s25, s30, s27
	s_lshl_b32 s33, s29, 2
	s_mul_i32 s25, s25, 49
	s_mul_i32 s34, s24, 49
	s_delay_alu instid0(SALU_CYCLE_1)
	v_dual_mov_b32 v4, s25 :: v_dual_mov_b32 v5, s34
	v_add_nc_u32_e64 v6, 0x400, s33
	s_add_i32 s33, s30, 1
	s_add_i32 s34, s24, 1
	;; [unrolled: 1-line block ×3, first 2 shown]
	s_mov_b32 s35, 0
	ds_store_2addr_b32 v6, v5, v4 offset0:192 offset1:224
.LBB27_15:                              ;   in Loop: Header=BB27_12 Depth=2
	s_and_not1_b32 vcc_lo, exec_lo, s35
	s_cbranch_vccnz .LBB27_17
; %bb.16:                               ;   in Loop: Header=BB27_12 Depth=2
	s_add_i32 s33, s30, 1
	s_mov_b32 s25, s29
	s_mov_b32 s34, s24
.LBB27_17:                              ;   in Loop: Header=BB27_12 Depth=2
	s_mov_b32 s35, 0
.LBB27_18:                              ;   in Loop: Header=BB27_12 Depth=2
	s_delay_alu instid0(SALU_CYCLE_1)
	s_and_not1_b32 vcc_lo, exec_lo, s35
	s_cbranch_vccnz .LBB27_20
; %bb.19:                               ;   in Loop: Header=BB27_12 Depth=2
	s_add_i32 s34, s24, 1
	s_mov_b32 s33, s30
	s_mov_b32 s25, s29
.LBB27_20:                              ;   in Loop: Header=BB27_12 Depth=2
	s_cmp_le_i32 s34, s23
	s_cselect_b32 s24, -1, 0
	s_cmp_le_i32 s31, s22
	s_cselect_b32 s29, -1, 0
	s_delay_alu instid0(SALU_CYCLE_1) | instskip(NEXT) | instid1(SALU_CYCLE_1)
	s_and_b32 s24, s24, s29
	s_and_b32 vcc_lo, exec_lo, s24
	s_cbranch_vccz .LBB27_22
; %bb.21:                               ;   in Loop: Header=BB27_12 Depth=2
	s_mov_b32 s29, s25
	s_mov_b32 s24, s34
	;; [unrolled: 1-line block ×3, first 2 shown]
	s_branch .LBB27_12
.LBB27_22:                              ;   in Loop: Header=BB27_9 Depth=1
	s_add_u32 s20, s6, s20
	s_addc_u32 s21, s7, s21
	s_waitcnt lgkmcnt(0)
	buffer_gl0_inv
.LBB27_23:                              ;   Parent Loop BB27_9 Depth=1
                                        ; =>  This Inner Loop Header: Depth=2
	global_load_b32 v4, v0, s[20:21] glc
	s_waitcnt vmcnt(0)
	v_cmp_eq_u32_e32 vcc_lo, 0, v4
	s_cbranch_vccnz .LBB27_23
; %bb.24:                               ;   in Loop: Header=BB27_9 Depth=1
	v_mad_u64_u32 v[4:5], null, s23, 49, v[1:2]
	buffer_gl1_inv
	buffer_gl0_inv
	v_mov_b32_e32 v8, 0
	v_mov_b32_e32 v9, 0
	s_cmp_lt_i32 s25, 2
	v_ashrrev_i32_e32 v5, 31, v4
	s_delay_alu instid0(VALU_DEP_1) | instskip(NEXT) | instid1(VALU_DEP_1)
	v_lshlrev_b64 v[4:5], 3, v[4:5]
	v_add_co_u32 v4, vcc_lo, s18, v4
	s_delay_alu instid0(VALU_DEP_2)
	v_add_co_ci_u32_e32 v5, vcc_lo, s19, v5, vcc_lo
	global_load_b64 v[4:5], v[4:5], off
	s_waitcnt vmcnt(0)
	ds_store_b64 v20, v[4:5]
	s_waitcnt lgkmcnt(0)
	buffer_gl0_inv
	s_cbranch_scc1 .LBB27_31
; %bb.25:                               ;   in Loop: Header=BB27_9 Depth=1
	v_mov_b32_e32 v4, 0
	v_mov_b32_e32 v5, 0
	s_add_i32 s20, s25, -1
	s_movk_i32 s21, 0x700
	s_delay_alu instid0(SALU_CYCLE_1)
	v_mov_b32_e32 v6, s21
	s_and_b32 vcc_lo, exec_lo, s28
	ds_load_2addr_b32 v[6:7], v6 offset1:32
	s_cbranch_vccz .LBB27_27
.LBB27_26:                              ;   in Loop: Header=BB27_9 Depth=1
	s_waitcnt lgkmcnt(0)
	v_add_nc_u32_e32 v8, v6, v10
	v_add_nc_u32_e32 v24, v7, v11
	s_delay_alu instid0(VALU_DEP_2) | instskip(NEXT) | instid1(VALU_DEP_2)
	v_ashrrev_i32_e32 v9, 31, v8
	v_ashrrev_i32_e32 v25, 31, v24
	v_add_nc_u32_e32 v31, 7, v24
	v_add_nc_u32_e32 v33, 14, v8
	v_add_nc_u32_e32 v35, 14, v24
	v_lshlrev_b64 v[26:27], 3, v[8:9]
	v_lshlrev_b64 v[28:29], 3, v[24:25]
	v_ashrrev_i32_e32 v32, 31, v31
	v_ashrrev_i32_e32 v34, 31, v33
	;; [unrolled: 1-line block ×3, first 2 shown]
	v_add_nc_u32_e32 v37, 21, v8
	v_add_co_u32 v25, vcc_lo, s18, v26
	v_add_co_ci_u32_e32 v26, vcc_lo, s19, v27, vcc_lo
	v_add_co_u32 v27, vcc_lo, s18, v28
	v_add_co_ci_u32_e32 v28, vcc_lo, s19, v29, vcc_lo
	v_add_nc_u32_e32 v29, 7, v8
	s_clause 0x1
	global_load_b64 v[25:26], v[25:26], off
	global_load_b64 v[27:28], v[27:28], off
	v_lshlrev_b64 v[31:32], 3, v[31:32]
	v_lshlrev_b64 v[33:34], 3, v[33:34]
	v_ashrrev_i32_e32 v30, 31, v29
	v_lshlrev_b64 v[35:36], 3, v[35:36]
	v_add_nc_u32_e32 v39, 21, v24
	v_ashrrev_i32_e32 v38, 31, v37
	v_add_nc_u32_e32 v41, 28, v8
	v_lshlrev_b64 v[29:30], 3, v[29:30]
	v_add_nc_u32_e32 v43, 28, v24
	v_ashrrev_i32_e32 v40, 31, v39
	v_lshlrev_b64 v[37:38], 3, v[37:38]
	v_ashrrev_i32_e32 v42, 31, v41
	v_add_nc_u32_e32 v45, 35, v8
	v_add_co_u32 v29, vcc_lo, s18, v29
	v_add_co_ci_u32_e32 v30, vcc_lo, s19, v30, vcc_lo
	v_add_co_u32 v31, vcc_lo, s18, v31
	v_add_co_ci_u32_e32 v32, vcc_lo, s19, v32, vcc_lo
	s_clause 0x1
	global_load_b64 v[29:30], v[29:30], off
	global_load_b64 v[31:32], v[31:32], off
	v_add_co_u32 v33, vcc_lo, s18, v33
	v_add_co_ci_u32_e32 v34, vcc_lo, s19, v34, vcc_lo
	v_add_co_u32 v35, vcc_lo, s18, v35
	v_add_co_ci_u32_e32 v36, vcc_lo, s19, v36, vcc_lo
	s_clause 0x1
	global_load_b64 v[33:34], v[33:34], off
	global_load_b64 v[35:36], v[35:36], off
	v_lshlrev_b64 v[39:40], 3, v[39:40]
	v_add_co_u32 v37, vcc_lo, s18, v37
	v_add_co_ci_u32_e32 v38, vcc_lo, s19, v38, vcc_lo
	v_ashrrev_i32_e32 v44, 31, v43
	s_delay_alu instid0(VALU_DEP_4)
	v_add_co_u32 v39, vcc_lo, s18, v39
	v_add_co_ci_u32_e32 v40, vcc_lo, s19, v40, vcc_lo
	s_clause 0x1
	global_load_b64 v[37:38], v[37:38], off
	global_load_b64 v[39:40], v[39:40], off
	v_lshlrev_b64 v[41:42], 3, v[41:42]
	v_lshlrev_b64 v[43:44], 3, v[43:44]
	v_add_nc_u32_e32 v47, 35, v24
	v_ashrrev_i32_e32 v46, 31, v45
	v_add_nc_u32_e32 v8, 42, v8
	v_add_nc_u32_e32 v49, 42, v24
	v_add_co_u32 v41, vcc_lo, s18, v41
	v_add_co_ci_u32_e32 v42, vcc_lo, s19, v42, vcc_lo
	v_add_co_u32 v43, vcc_lo, s18, v43
	v_add_co_ci_u32_e32 v44, vcc_lo, s19, v44, vcc_lo
	s_clause 0x1
	global_load_b64 v[41:42], v[41:42], off
	global_load_b64 v[43:44], v[43:44], off
	v_ashrrev_i32_e32 v48, 31, v47
	v_lshlrev_b64 v[45:46], 3, v[45:46]
	v_ashrrev_i32_e32 v9, 31, v8
	v_ashrrev_i32_e32 v50, 31, v49
	s_delay_alu instid0(VALU_DEP_4) | instskip(NEXT) | instid1(VALU_DEP_4)
	v_lshlrev_b64 v[47:48], 3, v[47:48]
	v_add_co_u32 v45, vcc_lo, s18, v45
	v_add_co_ci_u32_e32 v46, vcc_lo, s19, v46, vcc_lo
	s_delay_alu instid0(VALU_DEP_3) | instskip(NEXT) | instid1(VALU_DEP_4)
	v_add_co_u32 v47, vcc_lo, s18, v47
	v_add_co_ci_u32_e32 v48, vcc_lo, s19, v48, vcc_lo
	s_clause 0x1
	global_load_b64 v[45:46], v[45:46], off
	global_load_b64 v[47:48], v[47:48], off
	v_lshlrev_b64 v[8:9], 3, v[8:9]
	v_lshlrev_b64 v[49:50], 3, v[49:50]
	s_delay_alu instid0(VALU_DEP_2) | instskip(NEXT) | instid1(VALU_DEP_3)
	v_add_co_u32 v8, vcc_lo, s18, v8
	v_add_co_ci_u32_e32 v9, vcc_lo, s19, v9, vcc_lo
	s_delay_alu instid0(VALU_DEP_3) | instskip(NEXT) | instid1(VALU_DEP_4)
	v_add_co_u32 v49, vcc_lo, s18, v49
	v_add_co_ci_u32_e32 v50, vcc_lo, s19, v50, vcc_lo
	s_clause 0x1
	global_load_b64 v[8:9], v[8:9], off
	global_load_b64 v[49:50], v[49:50], off
	s_waitcnt vmcnt(12)
	v_fma_f64 v[24:25], v[25:26], v[27:28], v[4:5]
	s_waitcnt vmcnt(10)
	s_delay_alu instid0(VALU_DEP_1) | instskip(SKIP_1) | instid1(VALU_DEP_1)
	v_fma_f64 v[24:25], v[29:30], v[31:32], v[24:25]
	s_waitcnt vmcnt(8)
	v_fma_f64 v[24:25], v[33:34], v[35:36], v[24:25]
	s_waitcnt vmcnt(6)
	s_delay_alu instid0(VALU_DEP_1) | instskip(SKIP_1) | instid1(VALU_DEP_1)
	v_fma_f64 v[24:25], v[37:38], v[39:40], v[24:25]
	;; [unrolled: 5-line block ×3, first 2 shown]
	s_waitcnt vmcnt(0)
	v_fma_f64 v[8:9], v[8:9], v[49:50], v[24:25]
	s_cbranch_execz .LBB27_28
	s_branch .LBB27_29
.LBB27_27:                              ;   in Loop: Header=BB27_9 Depth=1
                                        ; implicit-def: $vgpr8_vgpr9
.LBB27_28:                              ;   in Loop: Header=BB27_9 Depth=1
	s_waitcnt lgkmcnt(0)
	v_add_nc_u32_e32 v6, v6, v17
	v_add_nc_u32_e32 v8, v7, v16
	s_delay_alu instid0(VALU_DEP_2) | instskip(NEXT) | instid1(VALU_DEP_2)
	v_ashrrev_i32_e32 v7, 31, v6
	v_ashrrev_i32_e32 v9, 31, v8
	s_delay_alu instid0(VALU_DEP_2) | instskip(NEXT) | instid1(VALU_DEP_2)
	v_lshlrev_b64 v[6:7], 3, v[6:7]
	v_lshlrev_b64 v[8:9], 3, v[8:9]
	s_delay_alu instid0(VALU_DEP_2) | instskip(NEXT) | instid1(VALU_DEP_3)
	v_add_co_u32 v44, vcc_lo, s18, v6
	v_add_co_ci_u32_e32 v45, vcc_lo, s19, v7, vcc_lo
	s_delay_alu instid0(VALU_DEP_3) | instskip(NEXT) | instid1(VALU_DEP_4)
	v_add_co_u32 v46, vcc_lo, s18, v8
	v_add_co_ci_u32_e32 v47, vcc_lo, s19, v9, vcc_lo
	s_clause 0x7
	global_load_b128 v[6:9], v[44:45], off
	global_load_b128 v[24:27], v[46:47], off
	global_load_b128 v[28:31], v[44:45], off offset:16
	global_load_b128 v[32:35], v[46:47], off offset:16
	;; [unrolled: 1-line block ×4, first 2 shown]
	global_load_b64 v[44:45], v[44:45], off offset:48
	global_load_b64 v[46:47], v[46:47], off offset:48
	s_waitcnt vmcnt(6)
	v_fma_f64 v[4:5], v[6:7], v[24:25], v[4:5]
	s_delay_alu instid0(VALU_DEP_1) | instskip(SKIP_1) | instid1(VALU_DEP_1)
	v_fma_f64 v[4:5], v[8:9], v[26:27], v[4:5]
	s_waitcnt vmcnt(4)
	v_fma_f64 v[4:5], v[28:29], v[32:33], v[4:5]
	s_delay_alu instid0(VALU_DEP_1) | instskip(SKIP_1) | instid1(VALU_DEP_1)
	v_fma_f64 v[4:5], v[30:31], v[34:35], v[4:5]
	;; [unrolled: 4-line block ×3, first 2 shown]
	s_waitcnt vmcnt(0)
	v_fma_f64 v[8:9], v[44:45], v[46:47], v[4:5]
.LBB27_29:                              ;   in Loop: Header=BB27_9 Depth=1
	s_add_i32 s20, s20, -1
	s_add_i32 s21, s21, 4
	s_cmp_eq_u32 s20, 0
	s_cbranch_scc1 .LBB27_31
; %bb.30:                               ;   in Loop: Header=BB27_9 Depth=1
	s_delay_alu instid0(VALU_DEP_1)
	v_dual_mov_b32 v4, v8 :: v_dual_mov_b32 v5, v9
	s_waitcnt lgkmcnt(0)
	v_mov_b32_e32 v6, s21
	s_and_b32 vcc_lo, exec_lo, s28
	ds_load_2addr_b32 v[6:7], v6 offset1:32
	s_cbranch_vccz .LBB27_27
	s_branch .LBB27_26
.LBB27_31:                              ;   in Loop: Header=BB27_9 Depth=1
	ds_store_b64 v22, v[8:9]
	s_waitcnt lgkmcnt(0)
	buffer_gl0_inv
	ds_load_b64 v[6:7], v0
	ds_load_b64 v[4:5], v18
	s_waitcnt lgkmcnt(1)
	v_cmp_neq_f64_e32 vcc_lo, 0, v[6:7]
	v_cndmask_b32_e32 v7, 0x3ff00000, v7, vcc_lo
	v_cndmask_b32_e32 v6, 0, v6, vcc_lo
	s_or_b32 s20, vcc_lo, s0
	s_delay_alu instid0(SALU_CYCLE_1) | instskip(NEXT) | instid1(SALU_CYCLE_1)
	s_xor_b32 s21, s20, -1
	s_and_saveexec_b32 s20, s21
	s_cbranch_execz .LBB27_35
; %bb.32:                               ;   in Loop: Header=BB27_9 Depth=1
	v_mbcnt_lo_u32_b32 v6, exec_lo, 0
	s_mov_b32 s21, exec_lo
	s_delay_alu instid0(VALU_DEP_1)
	v_cmpx_eq_u32_e32 0, v6
	s_cbranch_execz .LBB27_34
; %bb.33:                               ;   in Loop: Header=BB27_9 Depth=1
	v_mov_b32_e32 v6, s3
	global_atomic_min_i32 v0, v6, s[10:11]
.LBB27_34:                              ;   in Loop: Header=BB27_9 Depth=1
	s_or_b32 exec_lo, exec_lo, s21
	v_mov_b32_e32 v6, 0
	v_mov_b32_e32 v7, 0x3ff00000
.LBB27_35:                              ;   in Loop: Header=BB27_9 Depth=1
	s_or_b32 exec_lo, exec_lo, s20
	ds_load_b64 v[8:9], v19
	s_waitcnt lgkmcnt(0)
	v_add_f64 v[4:5], v[4:5], -v[8:9]
	s_delay_alu instid0(VALU_DEP_1) | instskip(SKIP_1) | instid1(VALU_DEP_2)
	v_div_scale_f64 v[8:9], null, v[6:7], v[6:7], v[4:5]
	v_div_scale_f64 v[28:29], vcc_lo, v[4:5], v[6:7], v[4:5]
	v_rcp_f64_e32 v[24:25], v[8:9]
	s_waitcnt_depctr 0xfff
	v_fma_f64 v[26:27], -v[8:9], v[24:25], 1.0
	s_delay_alu instid0(VALU_DEP_1) | instskip(NEXT) | instid1(VALU_DEP_1)
	v_fma_f64 v[24:25], v[24:25], v[26:27], v[24:25]
	v_fma_f64 v[26:27], -v[8:9], v[24:25], 1.0
	s_delay_alu instid0(VALU_DEP_1) | instskip(NEXT) | instid1(VALU_DEP_1)
	v_fma_f64 v[24:25], v[24:25], v[26:27], v[24:25]
	v_mul_f64 v[26:27], v[28:29], v[24:25]
	s_delay_alu instid0(VALU_DEP_1) | instskip(NEXT) | instid1(VALU_DEP_1)
	v_fma_f64 v[8:9], -v[8:9], v[26:27], v[28:29]
	v_div_fmas_f64 v[8:9], v[8:9], v[24:25], v[26:27]
	s_delay_alu instid0(VALU_DEP_1)
	v_div_fixup_f64 v[4:5], v[8:9], v[6:7], v[4:5]
	ds_store_b64 v18, v[4:5]
	s_waitcnt lgkmcnt(0)
	s_waitcnt_vscnt null, 0x0
	buffer_gl0_inv
	ds_load_b64 v[6:7], v23
	ds_load_b64 v[8:9], v14
	s_waitcnt lgkmcnt(0)
	v_fma_f64 v[4:5], v[4:5], v[6:7], v[8:9]
	ds_store_b64 v14, v[4:5]
	s_waitcnt lgkmcnt(0)
	buffer_gl0_inv
	ds_load_b64 v[6:7], v0 offset:72
	ds_load_b64 v[4:5], v18 offset:8
	s_waitcnt lgkmcnt(1)
	v_cmp_neq_f64_e32 vcc_lo, 0, v[6:7]
	v_cndmask_b32_e32 v7, 0x3ff00000, v7, vcc_lo
	v_cndmask_b32_e32 v6, 0, v6, vcc_lo
	s_or_b32 s20, vcc_lo, s0
	s_delay_alu instid0(SALU_CYCLE_1) | instskip(NEXT) | instid1(SALU_CYCLE_1)
	s_xor_b32 s21, s20, -1
	s_and_saveexec_b32 s20, s21
	s_cbranch_execz .LBB27_39
; %bb.36:                               ;   in Loop: Header=BB27_9 Depth=1
	v_mbcnt_lo_u32_b32 v6, exec_lo, 0
	s_mov_b32 s21, exec_lo
	s_delay_alu instid0(VALU_DEP_1)
	v_cmpx_eq_u32_e32 0, v6
	s_cbranch_execz .LBB27_38
; %bb.37:                               ;   in Loop: Header=BB27_9 Depth=1
	v_mov_b32_e32 v6, s3
	global_atomic_min_i32 v0, v6, s[10:11]
.LBB27_38:                              ;   in Loop: Header=BB27_9 Depth=1
	s_or_b32 exec_lo, exec_lo, s21
	v_mov_b32_e32 v6, 0
	v_mov_b32_e32 v7, 0x3ff00000
.LBB27_39:                              ;   in Loop: Header=BB27_9 Depth=1
	s_or_b32 exec_lo, exec_lo, s20
	ds_load_b64 v[8:9], v18
	ds_load_b64 v[24:25], v0 offset:64
	ds_load_b64 v[26:27], v19 offset:8
	s_waitcnt lgkmcnt(0)
	v_fma_f64 v[8:9], v[24:25], v[8:9], v[26:27]
	s_delay_alu instid0(VALU_DEP_1) | instskip(NEXT) | instid1(VALU_DEP_1)
	v_add_f64 v[4:5], v[4:5], -v[8:9]
	v_div_scale_f64 v[8:9], null, v[6:7], v[6:7], v[4:5]
	v_div_scale_f64 v[28:29], vcc_lo, v[4:5], v[6:7], v[4:5]
	s_delay_alu instid0(VALU_DEP_2) | instskip(SKIP_2) | instid1(VALU_DEP_1)
	v_rcp_f64_e32 v[24:25], v[8:9]
	s_waitcnt_depctr 0xfff
	v_fma_f64 v[26:27], -v[8:9], v[24:25], 1.0
	v_fma_f64 v[24:25], v[24:25], v[26:27], v[24:25]
	s_delay_alu instid0(VALU_DEP_1) | instskip(NEXT) | instid1(VALU_DEP_1)
	v_fma_f64 v[26:27], -v[8:9], v[24:25], 1.0
	v_fma_f64 v[24:25], v[24:25], v[26:27], v[24:25]
	s_delay_alu instid0(VALU_DEP_1) | instskip(NEXT) | instid1(VALU_DEP_1)
	v_mul_f64 v[26:27], v[28:29], v[24:25]
	v_fma_f64 v[8:9], -v[8:9], v[26:27], v[28:29]
	s_delay_alu instid0(VALU_DEP_1) | instskip(NEXT) | instid1(VALU_DEP_1)
	v_div_fmas_f64 v[8:9], v[8:9], v[24:25], v[26:27]
	v_div_fixup_f64 v[4:5], v[8:9], v[6:7], v[4:5]
	ds_store_b64 v18, v[4:5] offset:8
	s_waitcnt lgkmcnt(0)
	s_waitcnt_vscnt null, 0x0
	buffer_gl0_inv
	ds_load_b64 v[6:7], v23 offset:8
	ds_load_b64 v[8:9], v14
	s_waitcnt lgkmcnt(0)
	v_fma_f64 v[4:5], v[4:5], v[6:7], v[8:9]
	ds_store_b64 v14, v[4:5]
	s_waitcnt lgkmcnt(0)
	buffer_gl0_inv
	ds_load_b64 v[6:7], v0 offset:144
	ds_load_b64 v[4:5], v18 offset:16
	s_waitcnt lgkmcnt(1)
	v_cmp_neq_f64_e32 vcc_lo, 0, v[6:7]
	v_cndmask_b32_e32 v7, 0x3ff00000, v7, vcc_lo
	v_cndmask_b32_e32 v6, 0, v6, vcc_lo
	s_or_b32 s20, vcc_lo, s0
	s_delay_alu instid0(SALU_CYCLE_1) | instskip(NEXT) | instid1(SALU_CYCLE_1)
	s_xor_b32 s21, s20, -1
	s_and_saveexec_b32 s20, s21
	s_cbranch_execz .LBB27_43
; %bb.40:                               ;   in Loop: Header=BB27_9 Depth=1
	v_mbcnt_lo_u32_b32 v6, exec_lo, 0
	s_mov_b32 s21, exec_lo
	s_delay_alu instid0(VALU_DEP_1)
	v_cmpx_eq_u32_e32 0, v6
	s_cbranch_execz .LBB27_42
; %bb.41:                               ;   in Loop: Header=BB27_9 Depth=1
	v_mov_b32_e32 v6, s3
	global_atomic_min_i32 v0, v6, s[10:11]
.LBB27_42:                              ;   in Loop: Header=BB27_9 Depth=1
	s_or_b32 exec_lo, exec_lo, s21
	v_mov_b32_e32 v6, 0
	v_mov_b32_e32 v7, 0x3ff00000
.LBB27_43:                              ;   in Loop: Header=BB27_9 Depth=1
	s_or_b32 exec_lo, exec_lo, s20
	ds_load_b128 v[24:27], v0 offset:128
	ds_load_b128 v[28:31], v18
	ds_load_b64 v[8:9], v19 offset:16
	s_waitcnt lgkmcnt(0)
	v_fma_f64 v[8:9], v[24:25], v[28:29], v[8:9]
	s_delay_alu instid0(VALU_DEP_1) | instskip(NEXT) | instid1(VALU_DEP_1)
	v_fma_f64 v[8:9], v[26:27], v[30:31], v[8:9]
	v_add_f64 v[4:5], v[4:5], -v[8:9]
	s_delay_alu instid0(VALU_DEP_1) | instskip(SKIP_1) | instid1(VALU_DEP_2)
	v_div_scale_f64 v[8:9], null, v[6:7], v[6:7], v[4:5]
	v_div_scale_f64 v[28:29], vcc_lo, v[4:5], v[6:7], v[4:5]
	v_rcp_f64_e32 v[24:25], v[8:9]
	s_waitcnt_depctr 0xfff
	v_fma_f64 v[26:27], -v[8:9], v[24:25], 1.0
	s_delay_alu instid0(VALU_DEP_1) | instskip(NEXT) | instid1(VALU_DEP_1)
	v_fma_f64 v[24:25], v[24:25], v[26:27], v[24:25]
	v_fma_f64 v[26:27], -v[8:9], v[24:25], 1.0
	s_delay_alu instid0(VALU_DEP_1) | instskip(NEXT) | instid1(VALU_DEP_1)
	v_fma_f64 v[24:25], v[24:25], v[26:27], v[24:25]
	v_mul_f64 v[26:27], v[28:29], v[24:25]
	s_delay_alu instid0(VALU_DEP_1) | instskip(NEXT) | instid1(VALU_DEP_1)
	v_fma_f64 v[8:9], -v[8:9], v[26:27], v[28:29]
	v_div_fmas_f64 v[8:9], v[8:9], v[24:25], v[26:27]
	s_delay_alu instid0(VALU_DEP_1)
	v_div_fixup_f64 v[4:5], v[8:9], v[6:7], v[4:5]
	ds_store_b64 v18, v[4:5] offset:16
	s_waitcnt lgkmcnt(0)
	s_waitcnt_vscnt null, 0x0
	buffer_gl0_inv
	ds_load_b64 v[6:7], v23 offset:16
	ds_load_b64 v[8:9], v14
	s_waitcnt lgkmcnt(0)
	v_fma_f64 v[4:5], v[4:5], v[6:7], v[8:9]
	ds_store_b64 v14, v[4:5]
	s_waitcnt lgkmcnt(0)
	buffer_gl0_inv
	ds_load_b64 v[6:7], v0 offset:216
	ds_load_b64 v[4:5], v18 offset:24
	s_waitcnt lgkmcnt(1)
	v_cmp_neq_f64_e32 vcc_lo, 0, v[6:7]
	v_cndmask_b32_e32 v7, 0x3ff00000, v7, vcc_lo
	v_cndmask_b32_e32 v6, 0, v6, vcc_lo
	s_or_b32 s20, vcc_lo, s0
	s_delay_alu instid0(SALU_CYCLE_1) | instskip(NEXT) | instid1(SALU_CYCLE_1)
	s_xor_b32 s21, s20, -1
	s_and_saveexec_b32 s20, s21
	s_cbranch_execz .LBB27_47
; %bb.44:                               ;   in Loop: Header=BB27_9 Depth=1
	v_mbcnt_lo_u32_b32 v6, exec_lo, 0
	s_mov_b32 s21, exec_lo
	s_delay_alu instid0(VALU_DEP_1)
	v_cmpx_eq_u32_e32 0, v6
	s_cbranch_execz .LBB27_46
; %bb.45:                               ;   in Loop: Header=BB27_9 Depth=1
	v_mov_b32_e32 v6, s3
	global_atomic_min_i32 v0, v6, s[10:11]
.LBB27_46:                              ;   in Loop: Header=BB27_9 Depth=1
	s_or_b32 exec_lo, exec_lo, s21
	v_mov_b32_e32 v6, 0
	v_mov_b32_e32 v7, 0x3ff00000
.LBB27_47:                              ;   in Loop: Header=BB27_9 Depth=1
	s_or_b32 exec_lo, exec_lo, s20
	ds_load_b128 v[24:27], v0 offset:192
	ds_load_b64 v[8:9], v19 offset:24
	ds_load_b128 v[28:31], v18
	ds_load_b64 v[32:33], v18 offset:16
	s_waitcnt lgkmcnt(1)
	v_fma_f64 v[8:9], v[24:25], v[28:29], v[8:9]
	ds_load_b64 v[24:25], v0 offset:208
	v_fma_f64 v[8:9], v[26:27], v[30:31], v[8:9]
	s_waitcnt lgkmcnt(0)
	s_delay_alu instid0(VALU_DEP_1) | instskip(NEXT) | instid1(VALU_DEP_1)
	v_fma_f64 v[8:9], v[24:25], v[32:33], v[8:9]
	v_add_f64 v[4:5], v[4:5], -v[8:9]
	s_delay_alu instid0(VALU_DEP_1) | instskip(SKIP_1) | instid1(VALU_DEP_2)
	v_div_scale_f64 v[8:9], null, v[6:7], v[6:7], v[4:5]
	v_div_scale_f64 v[28:29], vcc_lo, v[4:5], v[6:7], v[4:5]
	v_rcp_f64_e32 v[24:25], v[8:9]
	s_waitcnt_depctr 0xfff
	v_fma_f64 v[26:27], -v[8:9], v[24:25], 1.0
	s_delay_alu instid0(VALU_DEP_1) | instskip(NEXT) | instid1(VALU_DEP_1)
	v_fma_f64 v[24:25], v[24:25], v[26:27], v[24:25]
	v_fma_f64 v[26:27], -v[8:9], v[24:25], 1.0
	s_delay_alu instid0(VALU_DEP_1) | instskip(NEXT) | instid1(VALU_DEP_1)
	v_fma_f64 v[24:25], v[24:25], v[26:27], v[24:25]
	v_mul_f64 v[26:27], v[28:29], v[24:25]
	s_delay_alu instid0(VALU_DEP_1) | instskip(NEXT) | instid1(VALU_DEP_1)
	v_fma_f64 v[8:9], -v[8:9], v[26:27], v[28:29]
	v_div_fmas_f64 v[8:9], v[8:9], v[24:25], v[26:27]
	s_delay_alu instid0(VALU_DEP_1)
	v_div_fixup_f64 v[4:5], v[8:9], v[6:7], v[4:5]
	ds_store_b64 v18, v[4:5] offset:24
	s_waitcnt lgkmcnt(0)
	s_waitcnt_vscnt null, 0x0
	buffer_gl0_inv
	ds_load_b64 v[6:7], v23 offset:24
	ds_load_b64 v[8:9], v14
	s_waitcnt lgkmcnt(0)
	v_fma_f64 v[4:5], v[4:5], v[6:7], v[8:9]
	ds_store_b64 v14, v[4:5]
	s_waitcnt lgkmcnt(0)
	buffer_gl0_inv
	ds_load_b64 v[6:7], v0 offset:288
	ds_load_b64 v[4:5], v18 offset:32
	s_waitcnt lgkmcnt(1)
	v_cmp_neq_f64_e32 vcc_lo, 0, v[6:7]
	v_cndmask_b32_e32 v7, 0x3ff00000, v7, vcc_lo
	v_cndmask_b32_e32 v6, 0, v6, vcc_lo
	s_or_b32 s20, vcc_lo, s0
	s_delay_alu instid0(SALU_CYCLE_1) | instskip(NEXT) | instid1(SALU_CYCLE_1)
	s_xor_b32 s21, s20, -1
	s_and_saveexec_b32 s20, s21
	s_cbranch_execz .LBB27_51
; %bb.48:                               ;   in Loop: Header=BB27_9 Depth=1
	v_mbcnt_lo_u32_b32 v6, exec_lo, 0
	s_mov_b32 s21, exec_lo
	s_delay_alu instid0(VALU_DEP_1)
	v_cmpx_eq_u32_e32 0, v6
	s_cbranch_execz .LBB27_50
; %bb.49:                               ;   in Loop: Header=BB27_9 Depth=1
	v_mov_b32_e32 v6, s3
	global_atomic_min_i32 v0, v6, s[10:11]
.LBB27_50:                              ;   in Loop: Header=BB27_9 Depth=1
	s_or_b32 exec_lo, exec_lo, s21
	v_mov_b32_e32 v6, 0
	v_mov_b32_e32 v7, 0x3ff00000
.LBB27_51:                              ;   in Loop: Header=BB27_9 Depth=1
	s_or_b32 exec_lo, exec_lo, s20
	ds_load_b128 v[24:27], v0 offset:256
	ds_load_b64 v[8:9], v19 offset:32
	ds_load_b128 v[28:31], v18
	ds_load_b128 v[32:35], v18 offset:16
	s_waitcnt lgkmcnt(1)
	v_fma_f64 v[8:9], v[24:25], v[28:29], v[8:9]
	s_delay_alu instid0(VALU_DEP_1) | instskip(SKIP_3) | instid1(VALU_DEP_1)
	v_fma_f64 v[8:9], v[26:27], v[30:31], v[8:9]
	ds_load_b128 v[24:27], v0 offset:272
	s_waitcnt lgkmcnt(0)
	v_fma_f64 v[8:9], v[24:25], v[32:33], v[8:9]
	v_fma_f64 v[8:9], v[26:27], v[34:35], v[8:9]
	s_delay_alu instid0(VALU_DEP_1) | instskip(NEXT) | instid1(VALU_DEP_1)
	v_add_f64 v[4:5], v[4:5], -v[8:9]
	v_div_scale_f64 v[8:9], null, v[6:7], v[6:7], v[4:5]
	v_div_scale_f64 v[28:29], vcc_lo, v[4:5], v[6:7], v[4:5]
	s_delay_alu instid0(VALU_DEP_2) | instskip(SKIP_2) | instid1(VALU_DEP_1)
	v_rcp_f64_e32 v[24:25], v[8:9]
	s_waitcnt_depctr 0xfff
	v_fma_f64 v[26:27], -v[8:9], v[24:25], 1.0
	v_fma_f64 v[24:25], v[24:25], v[26:27], v[24:25]
	s_delay_alu instid0(VALU_DEP_1) | instskip(NEXT) | instid1(VALU_DEP_1)
	v_fma_f64 v[26:27], -v[8:9], v[24:25], 1.0
	v_fma_f64 v[24:25], v[24:25], v[26:27], v[24:25]
	s_delay_alu instid0(VALU_DEP_1) | instskip(NEXT) | instid1(VALU_DEP_1)
	v_mul_f64 v[26:27], v[28:29], v[24:25]
	v_fma_f64 v[8:9], -v[8:9], v[26:27], v[28:29]
	s_delay_alu instid0(VALU_DEP_1) | instskip(NEXT) | instid1(VALU_DEP_1)
	v_div_fmas_f64 v[8:9], v[8:9], v[24:25], v[26:27]
	v_div_fixup_f64 v[4:5], v[8:9], v[6:7], v[4:5]
	ds_store_b64 v18, v[4:5] offset:32
	s_waitcnt lgkmcnt(0)
	s_waitcnt_vscnt null, 0x0
	buffer_gl0_inv
	ds_load_b64 v[6:7], v23 offset:32
	ds_load_b64 v[8:9], v14
	s_waitcnt lgkmcnt(0)
	v_fma_f64 v[4:5], v[4:5], v[6:7], v[8:9]
	ds_store_b64 v14, v[4:5]
	s_waitcnt lgkmcnt(0)
	buffer_gl0_inv
	ds_load_b64 v[6:7], v0 offset:360
	ds_load_b64 v[4:5], v18 offset:40
	s_waitcnt lgkmcnt(1)
	v_cmp_neq_f64_e32 vcc_lo, 0, v[6:7]
	v_cndmask_b32_e32 v7, 0x3ff00000, v7, vcc_lo
	v_cndmask_b32_e32 v6, 0, v6, vcc_lo
	s_or_b32 s20, vcc_lo, s0
	s_delay_alu instid0(SALU_CYCLE_1) | instskip(NEXT) | instid1(SALU_CYCLE_1)
	s_xor_b32 s21, s20, -1
	s_and_saveexec_b32 s20, s21
	s_cbranch_execz .LBB27_55
; %bb.52:                               ;   in Loop: Header=BB27_9 Depth=1
	v_mbcnt_lo_u32_b32 v6, exec_lo, 0
	s_mov_b32 s21, exec_lo
	s_delay_alu instid0(VALU_DEP_1)
	v_cmpx_eq_u32_e32 0, v6
	s_cbranch_execz .LBB27_54
; %bb.53:                               ;   in Loop: Header=BB27_9 Depth=1
	v_mov_b32_e32 v6, s3
	global_atomic_min_i32 v0, v6, s[10:11]
.LBB27_54:                              ;   in Loop: Header=BB27_9 Depth=1
	s_or_b32 exec_lo, exec_lo, s21
	v_mov_b32_e32 v6, 0
	v_mov_b32_e32 v7, 0x3ff00000
.LBB27_55:                              ;   in Loop: Header=BB27_9 Depth=1
	s_or_b32 exec_lo, exec_lo, s20
	ds_load_b128 v[24:27], v18
	ds_load_b64 v[8:9], v19 offset:40
	ds_load_b128 v[28:31], v0 offset:320
	ds_load_b128 v[32:35], v0 offset:336
	;; [unrolled: 1-line block ×3, first 2 shown]
	s_waitcnt lgkmcnt(2)
	v_fma_f64 v[8:9], v[28:29], v[24:25], v[8:9]
	s_delay_alu instid0(VALU_DEP_1) | instskip(SKIP_4) | instid1(VALU_DEP_1)
	v_fma_f64 v[8:9], v[30:31], v[26:27], v[8:9]
	ds_load_b64 v[24:25], v18 offset:32
	ds_load_b64 v[26:27], v0 offset:352
	s_waitcnt lgkmcnt(2)
	v_fma_f64 v[8:9], v[32:33], v[36:37], v[8:9]
	v_fma_f64 v[8:9], v[34:35], v[38:39], v[8:9]
	s_waitcnt lgkmcnt(0)
	s_delay_alu instid0(VALU_DEP_1) | instskip(NEXT) | instid1(VALU_DEP_1)
	v_fma_f64 v[8:9], v[26:27], v[24:25], v[8:9]
	v_add_f64 v[4:5], v[4:5], -v[8:9]
	s_delay_alu instid0(VALU_DEP_1) | instskip(SKIP_1) | instid1(VALU_DEP_2)
	v_div_scale_f64 v[8:9], null, v[6:7], v[6:7], v[4:5]
	v_div_scale_f64 v[28:29], vcc_lo, v[4:5], v[6:7], v[4:5]
	v_rcp_f64_e32 v[24:25], v[8:9]
	s_waitcnt_depctr 0xfff
	v_fma_f64 v[26:27], -v[8:9], v[24:25], 1.0
	s_delay_alu instid0(VALU_DEP_1) | instskip(NEXT) | instid1(VALU_DEP_1)
	v_fma_f64 v[24:25], v[24:25], v[26:27], v[24:25]
	v_fma_f64 v[26:27], -v[8:9], v[24:25], 1.0
	s_delay_alu instid0(VALU_DEP_1) | instskip(NEXT) | instid1(VALU_DEP_1)
	v_fma_f64 v[24:25], v[24:25], v[26:27], v[24:25]
	v_mul_f64 v[26:27], v[28:29], v[24:25]
	s_delay_alu instid0(VALU_DEP_1) | instskip(NEXT) | instid1(VALU_DEP_1)
	v_fma_f64 v[8:9], -v[8:9], v[26:27], v[28:29]
	v_div_fmas_f64 v[8:9], v[8:9], v[24:25], v[26:27]
	s_delay_alu instid0(VALU_DEP_1)
	v_div_fixup_f64 v[4:5], v[8:9], v[6:7], v[4:5]
	ds_store_b64 v18, v[4:5] offset:40
	s_waitcnt lgkmcnt(0)
	s_waitcnt_vscnt null, 0x0
	buffer_gl0_inv
	ds_load_b64 v[6:7], v23 offset:40
	ds_load_b64 v[8:9], v14
	s_waitcnt lgkmcnt(0)
	v_fma_f64 v[4:5], v[4:5], v[6:7], v[8:9]
	ds_store_b64 v14, v[4:5]
	s_waitcnt lgkmcnt(0)
	buffer_gl0_inv
	ds_load_b64 v[6:7], v0 offset:432
	ds_load_b64 v[4:5], v18 offset:48
	s_waitcnt lgkmcnt(1)
	v_cmp_neq_f64_e32 vcc_lo, 0, v[6:7]
	v_cndmask_b32_e32 v7, 0x3ff00000, v7, vcc_lo
	v_cndmask_b32_e32 v6, 0, v6, vcc_lo
	s_or_b32 s20, vcc_lo, s0
	s_delay_alu instid0(SALU_CYCLE_1) | instskip(NEXT) | instid1(SALU_CYCLE_1)
	s_xor_b32 s21, s20, -1
	s_and_saveexec_b32 s20, s21
	s_cbranch_execz .LBB27_7
; %bb.56:                               ;   in Loop: Header=BB27_9 Depth=1
	v_mbcnt_lo_u32_b32 v6, exec_lo, 0
	s_mov_b32 s21, exec_lo
	s_delay_alu instid0(VALU_DEP_1)
	v_cmpx_eq_u32_e32 0, v6
	s_cbranch_execz .LBB27_6
; %bb.57:                               ;   in Loop: Header=BB27_9 Depth=1
	v_mov_b32_e32 v6, s3
	global_atomic_min_i32 v0, v6, s[10:11]
	s_branch .LBB27_6
.LBB27_58:
	v_mov_b32_e32 v0, v12
	s_cmp_lg_u32 s1, 0
	s_cselect_b32 s2, -1, 0
	s_cmp_eq_u32 s1, 0
	s_cbranch_scc1 .LBB27_60
; %bb.59:
	v_mad_u32_u24 v0, v10, 7, v11
.LBB27_60:
	s_mul_i32 s26, s26, 49
	s_mov_b32 s1, exec_lo
	s_delay_alu instid0(VALU_DEP_1) | instskip(NEXT) | instid1(VALU_DEP_1)
	v_add_nc_u32_e32 v0, s26, v0
	v_ashrrev_i32_e32 v1, 31, v0
	s_delay_alu instid0(VALU_DEP_1) | instskip(NEXT) | instid1(VALU_DEP_1)
	v_lshlrev_b64 v[0:1], 3, v[0:1]
	v_add_co_u32 v0, vcc_lo, s18, v0
	s_delay_alu instid0(VALU_DEP_2)
	v_add_co_ci_u32_e32 v1, vcc_lo, s19, v1, vcc_lo
	v_cmp_ne_u32_e32 vcc_lo, 0, v11
	global_load_b64 v[0:1], v[0:1], off
	s_waitcnt vmcnt(0)
	ds_store_b64 v15, v[0:1] offset:896
	s_waitcnt lgkmcnt(0)
	buffer_gl0_inv
	v_cmpx_eq_u32_e32 0, v11
	s_cbranch_execz .LBB27_62
; %bb.61:
	v_mov_b32_e32 v8, 0
	ds_load_2addr_b64 v[0:3], v8 offset0:112 offset1:168
	s_waitcnt lgkmcnt(0)
	v_add_f64 v[0:1], v[0:1], -v[2:3]
	s_delay_alu instid0(VALU_DEP_1) | instskip(SKIP_1) | instid1(VALU_DEP_1)
	v_cmp_gt_f64_e64 s0, 0, v[0:1]
	v_xor_b32_e32 v2, 0x80000000, v1
	v_cndmask_b32_e64 v1, v1, v2, s0
	v_cndmask_b32_e64 v0, v0, v0, s0
	s_delay_alu instid0(VALU_DEP_1) | instskip(NEXT) | instid1(VALU_DEP_1)
	v_cmp_gt_f64_e64 s0, 0x10000000, v[0:1]
	v_cndmask_b32_e64 v2, 0, 1, s0
	s_and_b32 s0, s0, exec_lo
	s_cselect_b32 s0, 0xffffff80, 0
	s_delay_alu instid0(VALU_DEP_1) | instskip(NEXT) | instid1(VALU_DEP_1)
	v_lshlrev_b32_e32 v2, 8, v2
	v_ldexp_f64 v[0:1], v[0:1], v2
	s_delay_alu instid0(VALU_DEP_1) | instskip(SKIP_3) | instid1(VALU_DEP_1)
	v_rsq_f64_e32 v[2:3], v[0:1]
	s_waitcnt_depctr 0xfff
	v_mul_f64 v[4:5], v[0:1], v[2:3]
	v_mul_f64 v[2:3], v[2:3], 0.5
	v_fma_f64 v[6:7], -v[2:3], v[4:5], 0.5
	s_delay_alu instid0(VALU_DEP_1) | instskip(SKIP_1) | instid1(VALU_DEP_2)
	v_fma_f64 v[4:5], v[4:5], v[6:7], v[4:5]
	v_fma_f64 v[2:3], v[2:3], v[6:7], v[2:3]
	v_fma_f64 v[6:7], -v[4:5], v[4:5], v[0:1]
	s_delay_alu instid0(VALU_DEP_1) | instskip(NEXT) | instid1(VALU_DEP_1)
	v_fma_f64 v[4:5], v[6:7], v[2:3], v[4:5]
	v_fma_f64 v[6:7], -v[4:5], v[4:5], v[0:1]
	s_delay_alu instid0(VALU_DEP_1) | instskip(NEXT) | instid1(VALU_DEP_1)
	v_fma_f64 v[2:3], v[6:7], v[2:3], v[4:5]
	v_ldexp_f64 v[2:3], v[2:3], s0
	v_cmp_class_f64_e64 s0, v[0:1], 0x260
	s_delay_alu instid0(VALU_DEP_1) | instskip(NEXT) | instid1(VALU_DEP_3)
	v_cndmask_b32_e64 v1, v3, v1, s0
	v_cndmask_b32_e64 v0, v2, v0, s0
	ds_store_b64 v8, v[0:1] offset:896
.LBB27_62:
	s_or_b32 exec_lo, exec_lo, s1
	v_mov_b32_e32 v0, 0
	s_waitcnt lgkmcnt(0)
	buffer_gl0_inv
	v_or_b32_e32 v2, v10, v11
	s_add_i32 s3, s16, s17
	ds_load_b64 v[0:1], v0 offset:896
	v_cmp_ne_u32_e64 s0, 0, v2
	s_waitcnt lgkmcnt(0)
	v_cmp_neq_f64_e64 s1, 0, v[0:1]
	s_delay_alu instid0(VALU_DEP_1) | instskip(SKIP_2) | instid1(SALU_CYCLE_1)
	v_cndmask_b32_e64 v1, 0x3ff00000, v1, s1
	v_cndmask_b32_e64 v0, 0, v0, s1
	s_or_b32 s1, s1, s0
	s_xor_b32 s1, s1, -1
	s_delay_alu instid0(SALU_CYCLE_1)
	s_and_saveexec_b32 s4, s1
	s_cbranch_execz .LBB27_66
; %bb.63:
	v_mbcnt_lo_u32_b32 v0, exec_lo, 0
	s_mov_b32 s5, exec_lo
	s_delay_alu instid0(VALU_DEP_1)
	v_cmpx_eq_u32_e32 0, v0
	s_cbranch_execz .LBB27_65
; %bb.64:
	v_dual_mov_b32 v0, 0 :: v_dual_mov_b32 v1, s3
	global_atomic_min_i32 v0, v1, s[10:11]
.LBB27_65:
	s_or_b32 exec_lo, exec_lo, s5
	v_mov_b32_e32 v0, 0
	v_mov_b32_e32 v1, 0x3ff00000
.LBB27_66:
	s_or_b32 exec_lo, exec_lo, s4
	s_and_saveexec_b32 s1, vcc_lo
	s_cbranch_execz .LBB27_68
; %bb.67:
	v_lshlrev_b32_e32 v9, 6, v11
	ds_load_2addr_b64 v[3:6], v9 offset0:112 offset1:168
	s_waitcnt lgkmcnt(0)
	v_add_f64 v[3:4], v[3:4], -v[5:6]
	s_delay_alu instid0(VALU_DEP_1) | instskip(SKIP_1) | instid1(VALU_DEP_2)
	v_div_scale_f64 v[5:6], null, v[0:1], v[0:1], v[3:4]
	v_div_scale_f64 v[18:19], vcc_lo, v[3:4], v[0:1], v[3:4]
	v_rcp_f64_e32 v[7:8], v[5:6]
	s_waitcnt_depctr 0xfff
	v_fma_f64 v[16:17], -v[5:6], v[7:8], 1.0
	s_delay_alu instid0(VALU_DEP_1) | instskip(NEXT) | instid1(VALU_DEP_1)
	v_fma_f64 v[7:8], v[7:8], v[16:17], v[7:8]
	v_fma_f64 v[16:17], -v[5:6], v[7:8], 1.0
	s_delay_alu instid0(VALU_DEP_1) | instskip(NEXT) | instid1(VALU_DEP_1)
	v_fma_f64 v[7:8], v[7:8], v[16:17], v[7:8]
	v_mul_f64 v[16:17], v[18:19], v[7:8]
	s_delay_alu instid0(VALU_DEP_1) | instskip(NEXT) | instid1(VALU_DEP_1)
	v_fma_f64 v[5:6], -v[5:6], v[16:17], v[18:19]
	v_div_fmas_f64 v[5:6], v[5:6], v[7:8], v[16:17]
	s_delay_alu instid0(VALU_DEP_1)
	v_div_fixup_f64 v[0:1], v[5:6], v[0:1], v[3:4]
	v_lshlrev_b32_e32 v3, 6, v10
	ds_store_b64 v9, v[0:1] offset:896
	s_waitcnt lgkmcnt(0)
	s_waitcnt_vscnt null, 0x0
	buffer_gl0_inv
	ds_load_b64 v[3:4], v3 offset:896
	ds_load_b64 v[5:6], v14
	s_waitcnt lgkmcnt(0)
	v_fma_f64 v[0:1], v[0:1], v[3:4], v[5:6]
	ds_store_b64 v14, v[0:1]
.LBB27_68:
	s_or_b32 exec_lo, exec_lo, s1
	s_delay_alu instid0(SALU_CYCLE_1)
	s_mov_b32 s1, exec_lo
	s_waitcnt lgkmcnt(0)
	s_waitcnt_vscnt null, 0x0
	buffer_gl0_inv
	v_cmpx_eq_u32_e32 1, v11
	s_cbranch_execz .LBB27_70
; %bb.69:
	v_mov_b32_e32 v9, 0
	ds_load_2addr_b64 v[3:6], v9 offset0:121 offset1:177
	s_waitcnt lgkmcnt(0)
	v_add_f64 v[0:1], v[3:4], -v[5:6]
	s_delay_alu instid0(VALU_DEP_1) | instskip(SKIP_1) | instid1(VALU_DEP_1)
	v_cmp_gt_f64_e32 vcc_lo, 0, v[0:1]
	v_xor_b32_e32 v3, 0x80000000, v1
	v_dual_cndmask_b32 v0, v0, v0 :: v_dual_cndmask_b32 v1, v1, v3
	s_delay_alu instid0(VALU_DEP_1) | instskip(SKIP_3) | instid1(VALU_DEP_1)
	v_cmp_gt_f64_e32 vcc_lo, 0x10000000, v[0:1]
	v_cndmask_b32_e64 v3, 0, 1, vcc_lo
	s_and_b32 s4, vcc_lo, exec_lo
	s_cselect_b32 s4, 0xffffff80, 0
	v_lshlrev_b32_e32 v3, 8, v3
	s_delay_alu instid0(VALU_DEP_1) | instskip(NEXT) | instid1(VALU_DEP_1)
	v_ldexp_f64 v[0:1], v[0:1], v3
	v_rsq_f64_e32 v[3:4], v[0:1]
	v_cmp_class_f64_e64 vcc_lo, v[0:1], 0x260
	s_waitcnt_depctr 0xfff
	v_mul_f64 v[5:6], v[0:1], v[3:4]
	v_mul_f64 v[3:4], v[3:4], 0.5
	s_delay_alu instid0(VALU_DEP_1) | instskip(NEXT) | instid1(VALU_DEP_1)
	v_fma_f64 v[7:8], -v[3:4], v[5:6], 0.5
	v_fma_f64 v[5:6], v[5:6], v[7:8], v[5:6]
	v_fma_f64 v[3:4], v[3:4], v[7:8], v[3:4]
	s_delay_alu instid0(VALU_DEP_2) | instskip(NEXT) | instid1(VALU_DEP_1)
	v_fma_f64 v[7:8], -v[5:6], v[5:6], v[0:1]
	v_fma_f64 v[5:6], v[7:8], v[3:4], v[5:6]
	s_delay_alu instid0(VALU_DEP_1) | instskip(NEXT) | instid1(VALU_DEP_1)
	v_fma_f64 v[7:8], -v[5:6], v[5:6], v[0:1]
	v_fma_f64 v[3:4], v[7:8], v[3:4], v[5:6]
	s_delay_alu instid0(VALU_DEP_1) | instskip(NEXT) | instid1(VALU_DEP_1)
	v_ldexp_f64 v[3:4], v[3:4], s4
	v_dual_cndmask_b32 v0, v3, v0 :: v_dual_cndmask_b32 v1, v4, v1
	ds_store_b64 v9, v[0:1] offset:968
.LBB27_70:
	s_or_b32 exec_lo, exec_lo, s1
	v_mov_b32_e32 v0, 0
	s_waitcnt lgkmcnt(0)
	buffer_gl0_inv
	ds_load_b64 v[0:1], v0 offset:968
	s_waitcnt lgkmcnt(0)
	v_cmp_neq_f64_e32 vcc_lo, 0, v[0:1]
	v_cndmask_b32_e32 v1, 0x3ff00000, v1, vcc_lo
	v_cndmask_b32_e32 v0, 0, v0, vcc_lo
	s_or_b32 s1, vcc_lo, s0
	s_delay_alu instid0(SALU_CYCLE_1) | instskip(NEXT) | instid1(SALU_CYCLE_1)
	s_xor_b32 s4, s1, -1
	s_and_saveexec_b32 s1, s4
	s_cbranch_execz .LBB27_74
; %bb.71:
	v_mbcnt_lo_u32_b32 v0, exec_lo, 0
	s_mov_b32 s4, exec_lo
	s_delay_alu instid0(VALU_DEP_1)
	v_cmpx_eq_u32_e32 0, v0
	s_cbranch_execz .LBB27_73
; %bb.72:
	v_dual_mov_b32 v0, 0 :: v_dual_mov_b32 v1, s3
	global_atomic_min_i32 v0, v1, s[10:11]
.LBB27_73:
	s_or_b32 exec_lo, exec_lo, s4
	v_mov_b32_e32 v0, 0
	v_mov_b32_e32 v1, 0x3ff00000
.LBB27_74:
	s_or_b32 exec_lo, exec_lo, s1
	s_delay_alu instid0(SALU_CYCLE_1)
	s_mov_b32 s1, exec_lo
	v_cmpx_lt_u32_e32 1, v11
	s_cbranch_execz .LBB27_76
; %bb.75:
	v_lshlrev_b32_e32 v9, 6, v11
	ds_load_2addr_b64 v[3:6], v9 offset0:113 offset1:169
	s_waitcnt lgkmcnt(0)
	v_add_f64 v[3:4], v[3:4], -v[5:6]
	s_delay_alu instid0(VALU_DEP_1) | instskip(SKIP_1) | instid1(VALU_DEP_2)
	v_div_scale_f64 v[5:6], null, v[0:1], v[0:1], v[3:4]
	v_div_scale_f64 v[18:19], vcc_lo, v[3:4], v[0:1], v[3:4]
	v_rcp_f64_e32 v[7:8], v[5:6]
	s_waitcnt_depctr 0xfff
	v_fma_f64 v[16:17], -v[5:6], v[7:8], 1.0
	s_delay_alu instid0(VALU_DEP_1) | instskip(NEXT) | instid1(VALU_DEP_1)
	v_fma_f64 v[7:8], v[7:8], v[16:17], v[7:8]
	v_fma_f64 v[16:17], -v[5:6], v[7:8], 1.0
	s_delay_alu instid0(VALU_DEP_1) | instskip(NEXT) | instid1(VALU_DEP_1)
	v_fma_f64 v[7:8], v[7:8], v[16:17], v[7:8]
	v_mul_f64 v[16:17], v[18:19], v[7:8]
	s_delay_alu instid0(VALU_DEP_1) | instskip(NEXT) | instid1(VALU_DEP_1)
	v_fma_f64 v[5:6], -v[5:6], v[16:17], v[18:19]
	v_div_fmas_f64 v[5:6], v[5:6], v[7:8], v[16:17]
	s_delay_alu instid0(VALU_DEP_1)
	v_div_fixup_f64 v[0:1], v[5:6], v[0:1], v[3:4]
	v_lshlrev_b32_e32 v3, 6, v10
	ds_store_b64 v9, v[0:1] offset:904
	s_waitcnt lgkmcnt(0)
	s_waitcnt_vscnt null, 0x0
	buffer_gl0_inv
	ds_load_b64 v[3:4], v3 offset:904
	ds_load_b64 v[5:6], v14
	s_waitcnt lgkmcnt(0)
	v_fma_f64 v[0:1], v[0:1], v[3:4], v[5:6]
	ds_store_b64 v14, v[0:1]
.LBB27_76:
	s_or_b32 exec_lo, exec_lo, s1
	s_delay_alu instid0(SALU_CYCLE_1)
	s_mov_b32 s1, exec_lo
	s_waitcnt lgkmcnt(0)
	s_waitcnt_vscnt null, 0x0
	buffer_gl0_inv
	v_cmpx_eq_u32_e32 2, v11
	s_cbranch_execz .LBB27_78
; %bb.77:
	v_mov_b32_e32 v9, 0
	ds_load_2addr_b64 v[3:6], v9 offset0:130 offset1:186
	s_waitcnt lgkmcnt(0)
	v_add_f64 v[0:1], v[3:4], -v[5:6]
	s_delay_alu instid0(VALU_DEP_1) | instskip(SKIP_1) | instid1(VALU_DEP_1)
	v_cmp_gt_f64_e32 vcc_lo, 0, v[0:1]
	v_xor_b32_e32 v3, 0x80000000, v1
	v_dual_cndmask_b32 v0, v0, v0 :: v_dual_cndmask_b32 v1, v1, v3
	s_delay_alu instid0(VALU_DEP_1) | instskip(SKIP_3) | instid1(VALU_DEP_1)
	v_cmp_gt_f64_e32 vcc_lo, 0x10000000, v[0:1]
	v_cndmask_b32_e64 v3, 0, 1, vcc_lo
	s_and_b32 s4, vcc_lo, exec_lo
	s_cselect_b32 s4, 0xffffff80, 0
	v_lshlrev_b32_e32 v3, 8, v3
	s_delay_alu instid0(VALU_DEP_1) | instskip(NEXT) | instid1(VALU_DEP_1)
	v_ldexp_f64 v[0:1], v[0:1], v3
	v_rsq_f64_e32 v[3:4], v[0:1]
	v_cmp_class_f64_e64 vcc_lo, v[0:1], 0x260
	s_waitcnt_depctr 0xfff
	v_mul_f64 v[5:6], v[0:1], v[3:4]
	v_mul_f64 v[3:4], v[3:4], 0.5
	s_delay_alu instid0(VALU_DEP_1) | instskip(NEXT) | instid1(VALU_DEP_1)
	v_fma_f64 v[7:8], -v[3:4], v[5:6], 0.5
	v_fma_f64 v[5:6], v[5:6], v[7:8], v[5:6]
	v_fma_f64 v[3:4], v[3:4], v[7:8], v[3:4]
	s_delay_alu instid0(VALU_DEP_2) | instskip(NEXT) | instid1(VALU_DEP_1)
	v_fma_f64 v[7:8], -v[5:6], v[5:6], v[0:1]
	v_fma_f64 v[5:6], v[7:8], v[3:4], v[5:6]
	s_delay_alu instid0(VALU_DEP_1) | instskip(NEXT) | instid1(VALU_DEP_1)
	v_fma_f64 v[7:8], -v[5:6], v[5:6], v[0:1]
	v_fma_f64 v[3:4], v[7:8], v[3:4], v[5:6]
	s_delay_alu instid0(VALU_DEP_1) | instskip(NEXT) | instid1(VALU_DEP_1)
	v_ldexp_f64 v[3:4], v[3:4], s4
	v_dual_cndmask_b32 v0, v3, v0 :: v_dual_cndmask_b32 v1, v4, v1
	ds_store_b64 v9, v[0:1] offset:1040
.LBB27_78:
	s_or_b32 exec_lo, exec_lo, s1
	v_mov_b32_e32 v0, 0
	s_waitcnt lgkmcnt(0)
	buffer_gl0_inv
	ds_load_b64 v[0:1], v0 offset:1040
	s_waitcnt lgkmcnt(0)
	v_cmp_neq_f64_e32 vcc_lo, 0, v[0:1]
	v_cndmask_b32_e32 v1, 0x3ff00000, v1, vcc_lo
	v_cndmask_b32_e32 v0, 0, v0, vcc_lo
	s_or_b32 s1, vcc_lo, s0
	s_delay_alu instid0(SALU_CYCLE_1) | instskip(NEXT) | instid1(SALU_CYCLE_1)
	s_xor_b32 s4, s1, -1
	s_and_saveexec_b32 s1, s4
	s_cbranch_execz .LBB27_82
; %bb.79:
	v_mbcnt_lo_u32_b32 v0, exec_lo, 0
	s_mov_b32 s4, exec_lo
	s_delay_alu instid0(VALU_DEP_1)
	v_cmpx_eq_u32_e32 0, v0
	s_cbranch_execz .LBB27_81
; %bb.80:
	v_dual_mov_b32 v0, 0 :: v_dual_mov_b32 v1, s3
	global_atomic_min_i32 v0, v1, s[10:11]
.LBB27_81:
	s_or_b32 exec_lo, exec_lo, s4
	v_mov_b32_e32 v0, 0
	v_mov_b32_e32 v1, 0x3ff00000
.LBB27_82:
	s_or_b32 exec_lo, exec_lo, s1
	s_delay_alu instid0(SALU_CYCLE_1)
	s_mov_b32 s1, exec_lo
	v_cmpx_lt_u32_e32 2, v11
	s_cbranch_execz .LBB27_84
; %bb.83:
	v_lshlrev_b32_e32 v9, 6, v11
	ds_load_2addr_b64 v[3:6], v9 offset0:114 offset1:170
	s_waitcnt lgkmcnt(0)
	v_add_f64 v[3:4], v[3:4], -v[5:6]
	s_delay_alu instid0(VALU_DEP_1) | instskip(SKIP_1) | instid1(VALU_DEP_2)
	v_div_scale_f64 v[5:6], null, v[0:1], v[0:1], v[3:4]
	v_div_scale_f64 v[18:19], vcc_lo, v[3:4], v[0:1], v[3:4]
	v_rcp_f64_e32 v[7:8], v[5:6]
	s_waitcnt_depctr 0xfff
	v_fma_f64 v[16:17], -v[5:6], v[7:8], 1.0
	s_delay_alu instid0(VALU_DEP_1) | instskip(NEXT) | instid1(VALU_DEP_1)
	v_fma_f64 v[7:8], v[7:8], v[16:17], v[7:8]
	v_fma_f64 v[16:17], -v[5:6], v[7:8], 1.0
	s_delay_alu instid0(VALU_DEP_1) | instskip(NEXT) | instid1(VALU_DEP_1)
	v_fma_f64 v[7:8], v[7:8], v[16:17], v[7:8]
	v_mul_f64 v[16:17], v[18:19], v[7:8]
	s_delay_alu instid0(VALU_DEP_1) | instskip(NEXT) | instid1(VALU_DEP_1)
	v_fma_f64 v[5:6], -v[5:6], v[16:17], v[18:19]
	v_div_fmas_f64 v[5:6], v[5:6], v[7:8], v[16:17]
	s_delay_alu instid0(VALU_DEP_1)
	v_div_fixup_f64 v[0:1], v[5:6], v[0:1], v[3:4]
	v_lshlrev_b32_e32 v3, 6, v10
	ds_store_b64 v9, v[0:1] offset:912
	s_waitcnt lgkmcnt(0)
	s_waitcnt_vscnt null, 0x0
	buffer_gl0_inv
	ds_load_b64 v[3:4], v3 offset:912
	ds_load_b64 v[5:6], v14
	s_waitcnt lgkmcnt(0)
	v_fma_f64 v[0:1], v[0:1], v[3:4], v[5:6]
	ds_store_b64 v14, v[0:1]
.LBB27_84:
	s_or_b32 exec_lo, exec_lo, s1
	s_delay_alu instid0(SALU_CYCLE_1)
	s_mov_b32 s1, exec_lo
	s_waitcnt lgkmcnt(0)
	s_waitcnt_vscnt null, 0x0
	buffer_gl0_inv
	v_cmpx_eq_u32_e32 3, v11
	s_cbranch_execz .LBB27_86
; %bb.85:
	v_mov_b32_e32 v9, 0
	ds_load_2addr_b64 v[3:6], v9 offset0:139 offset1:195
	s_waitcnt lgkmcnt(0)
	v_add_f64 v[0:1], v[3:4], -v[5:6]
	s_delay_alu instid0(VALU_DEP_1) | instskip(SKIP_1) | instid1(VALU_DEP_1)
	v_cmp_gt_f64_e32 vcc_lo, 0, v[0:1]
	v_xor_b32_e32 v3, 0x80000000, v1
	v_dual_cndmask_b32 v0, v0, v0 :: v_dual_cndmask_b32 v1, v1, v3
	s_delay_alu instid0(VALU_DEP_1) | instskip(SKIP_3) | instid1(VALU_DEP_1)
	v_cmp_gt_f64_e32 vcc_lo, 0x10000000, v[0:1]
	v_cndmask_b32_e64 v3, 0, 1, vcc_lo
	s_and_b32 s4, vcc_lo, exec_lo
	s_cselect_b32 s4, 0xffffff80, 0
	v_lshlrev_b32_e32 v3, 8, v3
	s_delay_alu instid0(VALU_DEP_1) | instskip(NEXT) | instid1(VALU_DEP_1)
	v_ldexp_f64 v[0:1], v[0:1], v3
	v_rsq_f64_e32 v[3:4], v[0:1]
	v_cmp_class_f64_e64 vcc_lo, v[0:1], 0x260
	s_waitcnt_depctr 0xfff
	v_mul_f64 v[5:6], v[0:1], v[3:4]
	v_mul_f64 v[3:4], v[3:4], 0.5
	s_delay_alu instid0(VALU_DEP_1) | instskip(NEXT) | instid1(VALU_DEP_1)
	v_fma_f64 v[7:8], -v[3:4], v[5:6], 0.5
	v_fma_f64 v[5:6], v[5:6], v[7:8], v[5:6]
	v_fma_f64 v[3:4], v[3:4], v[7:8], v[3:4]
	s_delay_alu instid0(VALU_DEP_2) | instskip(NEXT) | instid1(VALU_DEP_1)
	v_fma_f64 v[7:8], -v[5:6], v[5:6], v[0:1]
	v_fma_f64 v[5:6], v[7:8], v[3:4], v[5:6]
	s_delay_alu instid0(VALU_DEP_1) | instskip(NEXT) | instid1(VALU_DEP_1)
	v_fma_f64 v[7:8], -v[5:6], v[5:6], v[0:1]
	v_fma_f64 v[3:4], v[7:8], v[3:4], v[5:6]
	s_delay_alu instid0(VALU_DEP_1) | instskip(NEXT) | instid1(VALU_DEP_1)
	v_ldexp_f64 v[3:4], v[3:4], s4
	v_dual_cndmask_b32 v0, v3, v0 :: v_dual_cndmask_b32 v1, v4, v1
	ds_store_b64 v9, v[0:1] offset:1112
.LBB27_86:
	s_or_b32 exec_lo, exec_lo, s1
	v_mov_b32_e32 v0, 0
	s_waitcnt lgkmcnt(0)
	buffer_gl0_inv
	ds_load_b64 v[0:1], v0 offset:1112
	s_waitcnt lgkmcnt(0)
	v_cmp_neq_f64_e32 vcc_lo, 0, v[0:1]
	v_cndmask_b32_e32 v1, 0x3ff00000, v1, vcc_lo
	v_cndmask_b32_e32 v0, 0, v0, vcc_lo
	s_or_b32 s1, vcc_lo, s0
	s_delay_alu instid0(SALU_CYCLE_1) | instskip(NEXT) | instid1(SALU_CYCLE_1)
	s_xor_b32 s4, s1, -1
	s_and_saveexec_b32 s1, s4
	s_cbranch_execz .LBB27_90
; %bb.87:
	v_mbcnt_lo_u32_b32 v0, exec_lo, 0
	s_mov_b32 s4, exec_lo
	s_delay_alu instid0(VALU_DEP_1)
	v_cmpx_eq_u32_e32 0, v0
	s_cbranch_execz .LBB27_89
; %bb.88:
	v_dual_mov_b32 v0, 0 :: v_dual_mov_b32 v1, s3
	global_atomic_min_i32 v0, v1, s[10:11]
.LBB27_89:
	s_or_b32 exec_lo, exec_lo, s4
	v_mov_b32_e32 v0, 0
	v_mov_b32_e32 v1, 0x3ff00000
.LBB27_90:
	s_or_b32 exec_lo, exec_lo, s1
	s_delay_alu instid0(SALU_CYCLE_1)
	s_mov_b32 s1, exec_lo
	v_cmpx_lt_u32_e32 3, v11
	s_cbranch_execz .LBB27_92
; %bb.91:
	v_lshlrev_b32_e32 v9, 6, v11
	ds_load_2addr_b64 v[3:6], v9 offset0:115 offset1:171
	s_waitcnt lgkmcnt(0)
	v_add_f64 v[3:4], v[3:4], -v[5:6]
	s_delay_alu instid0(VALU_DEP_1) | instskip(SKIP_1) | instid1(VALU_DEP_2)
	v_div_scale_f64 v[5:6], null, v[0:1], v[0:1], v[3:4]
	v_div_scale_f64 v[18:19], vcc_lo, v[3:4], v[0:1], v[3:4]
	v_rcp_f64_e32 v[7:8], v[5:6]
	s_waitcnt_depctr 0xfff
	v_fma_f64 v[16:17], -v[5:6], v[7:8], 1.0
	s_delay_alu instid0(VALU_DEP_1) | instskip(NEXT) | instid1(VALU_DEP_1)
	v_fma_f64 v[7:8], v[7:8], v[16:17], v[7:8]
	v_fma_f64 v[16:17], -v[5:6], v[7:8], 1.0
	s_delay_alu instid0(VALU_DEP_1) | instskip(NEXT) | instid1(VALU_DEP_1)
	v_fma_f64 v[7:8], v[7:8], v[16:17], v[7:8]
	v_mul_f64 v[16:17], v[18:19], v[7:8]
	s_delay_alu instid0(VALU_DEP_1) | instskip(NEXT) | instid1(VALU_DEP_1)
	v_fma_f64 v[5:6], -v[5:6], v[16:17], v[18:19]
	v_div_fmas_f64 v[5:6], v[5:6], v[7:8], v[16:17]
	s_delay_alu instid0(VALU_DEP_1)
	v_div_fixup_f64 v[0:1], v[5:6], v[0:1], v[3:4]
	v_lshlrev_b32_e32 v3, 6, v10
	ds_store_b64 v9, v[0:1] offset:920
	s_waitcnt lgkmcnt(0)
	s_waitcnt_vscnt null, 0x0
	buffer_gl0_inv
	ds_load_b64 v[3:4], v3 offset:920
	ds_load_b64 v[5:6], v14
	s_waitcnt lgkmcnt(0)
	v_fma_f64 v[0:1], v[0:1], v[3:4], v[5:6]
	ds_store_b64 v14, v[0:1]
.LBB27_92:
	s_or_b32 exec_lo, exec_lo, s1
	s_delay_alu instid0(SALU_CYCLE_1)
	s_mov_b32 s1, exec_lo
	s_waitcnt lgkmcnt(0)
	s_waitcnt_vscnt null, 0x0
	buffer_gl0_inv
	v_cmpx_eq_u32_e32 4, v11
	s_cbranch_execz .LBB27_94
; %bb.93:
	v_mov_b32_e32 v9, 0
	ds_load_2addr_b64 v[3:6], v9 offset0:148 offset1:204
	s_waitcnt lgkmcnt(0)
	v_add_f64 v[0:1], v[3:4], -v[5:6]
	s_delay_alu instid0(VALU_DEP_1) | instskip(SKIP_1) | instid1(VALU_DEP_1)
	v_cmp_gt_f64_e32 vcc_lo, 0, v[0:1]
	v_xor_b32_e32 v3, 0x80000000, v1
	v_dual_cndmask_b32 v0, v0, v0 :: v_dual_cndmask_b32 v1, v1, v3
	s_delay_alu instid0(VALU_DEP_1) | instskip(SKIP_3) | instid1(VALU_DEP_1)
	v_cmp_gt_f64_e32 vcc_lo, 0x10000000, v[0:1]
	v_cndmask_b32_e64 v3, 0, 1, vcc_lo
	s_and_b32 s4, vcc_lo, exec_lo
	s_cselect_b32 s4, 0xffffff80, 0
	v_lshlrev_b32_e32 v3, 8, v3
	s_delay_alu instid0(VALU_DEP_1) | instskip(NEXT) | instid1(VALU_DEP_1)
	v_ldexp_f64 v[0:1], v[0:1], v3
	v_rsq_f64_e32 v[3:4], v[0:1]
	v_cmp_class_f64_e64 vcc_lo, v[0:1], 0x260
	s_waitcnt_depctr 0xfff
	v_mul_f64 v[5:6], v[0:1], v[3:4]
	v_mul_f64 v[3:4], v[3:4], 0.5
	s_delay_alu instid0(VALU_DEP_1) | instskip(NEXT) | instid1(VALU_DEP_1)
	v_fma_f64 v[7:8], -v[3:4], v[5:6], 0.5
	v_fma_f64 v[5:6], v[5:6], v[7:8], v[5:6]
	v_fma_f64 v[3:4], v[3:4], v[7:8], v[3:4]
	s_delay_alu instid0(VALU_DEP_2) | instskip(NEXT) | instid1(VALU_DEP_1)
	v_fma_f64 v[7:8], -v[5:6], v[5:6], v[0:1]
	v_fma_f64 v[5:6], v[7:8], v[3:4], v[5:6]
	s_delay_alu instid0(VALU_DEP_1) | instskip(NEXT) | instid1(VALU_DEP_1)
	v_fma_f64 v[7:8], -v[5:6], v[5:6], v[0:1]
	v_fma_f64 v[3:4], v[7:8], v[3:4], v[5:6]
	s_delay_alu instid0(VALU_DEP_1) | instskip(NEXT) | instid1(VALU_DEP_1)
	v_ldexp_f64 v[3:4], v[3:4], s4
	v_dual_cndmask_b32 v0, v3, v0 :: v_dual_cndmask_b32 v1, v4, v1
	ds_store_b64 v9, v[0:1] offset:1184
.LBB27_94:
	s_or_b32 exec_lo, exec_lo, s1
	v_mov_b32_e32 v0, 0
	s_waitcnt lgkmcnt(0)
	buffer_gl0_inv
	ds_load_b64 v[0:1], v0 offset:1184
	s_waitcnt lgkmcnt(0)
	v_cmp_neq_f64_e32 vcc_lo, 0, v[0:1]
	v_cndmask_b32_e32 v1, 0x3ff00000, v1, vcc_lo
	v_cndmask_b32_e32 v0, 0, v0, vcc_lo
	s_or_b32 s1, vcc_lo, s0
	s_delay_alu instid0(SALU_CYCLE_1) | instskip(NEXT) | instid1(SALU_CYCLE_1)
	s_xor_b32 s4, s1, -1
	s_and_saveexec_b32 s1, s4
	s_cbranch_execz .LBB27_98
; %bb.95:
	v_mbcnt_lo_u32_b32 v0, exec_lo, 0
	s_mov_b32 s4, exec_lo
	s_delay_alu instid0(VALU_DEP_1)
	v_cmpx_eq_u32_e32 0, v0
	s_cbranch_execz .LBB27_97
; %bb.96:
	v_dual_mov_b32 v0, 0 :: v_dual_mov_b32 v1, s3
	global_atomic_min_i32 v0, v1, s[10:11]
.LBB27_97:
	s_or_b32 exec_lo, exec_lo, s4
	v_mov_b32_e32 v0, 0
	v_mov_b32_e32 v1, 0x3ff00000
.LBB27_98:
	s_or_b32 exec_lo, exec_lo, s1
	s_delay_alu instid0(SALU_CYCLE_1)
	s_mov_b32 s1, exec_lo
	v_cmpx_lt_u32_e32 4, v11
	s_cbranch_execz .LBB27_100
; %bb.99:
	v_lshlrev_b32_e32 v9, 6, v11
	ds_load_2addr_b64 v[3:6], v9 offset0:116 offset1:172
	s_waitcnt lgkmcnt(0)
	v_add_f64 v[3:4], v[3:4], -v[5:6]
	s_delay_alu instid0(VALU_DEP_1) | instskip(SKIP_1) | instid1(VALU_DEP_2)
	v_div_scale_f64 v[5:6], null, v[0:1], v[0:1], v[3:4]
	v_div_scale_f64 v[18:19], vcc_lo, v[3:4], v[0:1], v[3:4]
	v_rcp_f64_e32 v[7:8], v[5:6]
	s_waitcnt_depctr 0xfff
	v_fma_f64 v[16:17], -v[5:6], v[7:8], 1.0
	s_delay_alu instid0(VALU_DEP_1) | instskip(NEXT) | instid1(VALU_DEP_1)
	v_fma_f64 v[7:8], v[7:8], v[16:17], v[7:8]
	v_fma_f64 v[16:17], -v[5:6], v[7:8], 1.0
	s_delay_alu instid0(VALU_DEP_1) | instskip(NEXT) | instid1(VALU_DEP_1)
	v_fma_f64 v[7:8], v[7:8], v[16:17], v[7:8]
	v_mul_f64 v[16:17], v[18:19], v[7:8]
	s_delay_alu instid0(VALU_DEP_1) | instskip(NEXT) | instid1(VALU_DEP_1)
	v_fma_f64 v[5:6], -v[5:6], v[16:17], v[18:19]
	v_div_fmas_f64 v[5:6], v[5:6], v[7:8], v[16:17]
	s_delay_alu instid0(VALU_DEP_1)
	v_div_fixup_f64 v[0:1], v[5:6], v[0:1], v[3:4]
	v_lshlrev_b32_e32 v3, 6, v10
	ds_store_b64 v9, v[0:1] offset:928
	s_waitcnt lgkmcnt(0)
	s_waitcnt_vscnt null, 0x0
	buffer_gl0_inv
	ds_load_b64 v[3:4], v3 offset:928
	ds_load_b64 v[5:6], v14
	s_waitcnt lgkmcnt(0)
	v_fma_f64 v[0:1], v[0:1], v[3:4], v[5:6]
	ds_store_b64 v14, v[0:1]
.LBB27_100:
	s_or_b32 exec_lo, exec_lo, s1
	s_delay_alu instid0(SALU_CYCLE_1)
	s_mov_b32 s1, exec_lo
	s_waitcnt lgkmcnt(0)
	s_waitcnt_vscnt null, 0x0
	buffer_gl0_inv
	v_cmpx_eq_u32_e32 5, v11
	s_cbranch_execz .LBB27_102
; %bb.101:
	v_mov_b32_e32 v9, 0
	ds_load_2addr_b64 v[3:6], v9 offset0:157 offset1:213
	s_waitcnt lgkmcnt(0)
	v_add_f64 v[0:1], v[3:4], -v[5:6]
	s_delay_alu instid0(VALU_DEP_1) | instskip(SKIP_1) | instid1(VALU_DEP_1)
	v_cmp_gt_f64_e32 vcc_lo, 0, v[0:1]
	v_xor_b32_e32 v3, 0x80000000, v1
	v_dual_cndmask_b32 v0, v0, v0 :: v_dual_cndmask_b32 v1, v1, v3
	s_delay_alu instid0(VALU_DEP_1) | instskip(SKIP_3) | instid1(VALU_DEP_1)
	v_cmp_gt_f64_e32 vcc_lo, 0x10000000, v[0:1]
	v_cndmask_b32_e64 v3, 0, 1, vcc_lo
	s_and_b32 s4, vcc_lo, exec_lo
	s_cselect_b32 s4, 0xffffff80, 0
	v_lshlrev_b32_e32 v3, 8, v3
	s_delay_alu instid0(VALU_DEP_1) | instskip(NEXT) | instid1(VALU_DEP_1)
	v_ldexp_f64 v[0:1], v[0:1], v3
	v_rsq_f64_e32 v[3:4], v[0:1]
	v_cmp_class_f64_e64 vcc_lo, v[0:1], 0x260
	s_waitcnt_depctr 0xfff
	v_mul_f64 v[5:6], v[0:1], v[3:4]
	v_mul_f64 v[3:4], v[3:4], 0.5
	s_delay_alu instid0(VALU_DEP_1) | instskip(NEXT) | instid1(VALU_DEP_1)
	v_fma_f64 v[7:8], -v[3:4], v[5:6], 0.5
	v_fma_f64 v[5:6], v[5:6], v[7:8], v[5:6]
	v_fma_f64 v[3:4], v[3:4], v[7:8], v[3:4]
	s_delay_alu instid0(VALU_DEP_2) | instskip(NEXT) | instid1(VALU_DEP_1)
	v_fma_f64 v[7:8], -v[5:6], v[5:6], v[0:1]
	v_fma_f64 v[5:6], v[7:8], v[3:4], v[5:6]
	s_delay_alu instid0(VALU_DEP_1) | instskip(NEXT) | instid1(VALU_DEP_1)
	v_fma_f64 v[7:8], -v[5:6], v[5:6], v[0:1]
	v_fma_f64 v[3:4], v[7:8], v[3:4], v[5:6]
	s_delay_alu instid0(VALU_DEP_1) | instskip(NEXT) | instid1(VALU_DEP_1)
	v_ldexp_f64 v[3:4], v[3:4], s4
	v_dual_cndmask_b32 v0, v3, v0 :: v_dual_cndmask_b32 v1, v4, v1
	ds_store_b64 v9, v[0:1] offset:1256
.LBB27_102:
	s_or_b32 exec_lo, exec_lo, s1
	v_mov_b32_e32 v0, 0
	s_waitcnt lgkmcnt(0)
	buffer_gl0_inv
	ds_load_b64 v[0:1], v0 offset:1256
	s_waitcnt lgkmcnt(0)
	v_cmp_neq_f64_e32 vcc_lo, 0, v[0:1]
	v_cndmask_b32_e32 v1, 0x3ff00000, v1, vcc_lo
	v_cndmask_b32_e32 v0, 0, v0, vcc_lo
	s_or_b32 s1, vcc_lo, s0
	s_delay_alu instid0(SALU_CYCLE_1) | instskip(NEXT) | instid1(SALU_CYCLE_1)
	s_xor_b32 s4, s1, -1
	s_and_saveexec_b32 s1, s4
	s_cbranch_execz .LBB27_106
; %bb.103:
	v_mbcnt_lo_u32_b32 v0, exec_lo, 0
	s_mov_b32 s4, exec_lo
	s_delay_alu instid0(VALU_DEP_1)
	v_cmpx_eq_u32_e32 0, v0
	s_cbranch_execz .LBB27_105
; %bb.104:
	v_dual_mov_b32 v0, 0 :: v_dual_mov_b32 v1, s3
	global_atomic_min_i32 v0, v1, s[10:11]
.LBB27_105:
	s_or_b32 exec_lo, exec_lo, s4
	v_mov_b32_e32 v0, 0
	v_mov_b32_e32 v1, 0x3ff00000
.LBB27_106:
	s_or_b32 exec_lo, exec_lo, s1
	s_delay_alu instid0(SALU_CYCLE_1)
	s_mov_b32 s1, exec_lo
	v_cmpx_lt_u32_e32 5, v11
	s_cbranch_execz .LBB27_108
; %bb.107:
	v_lshlrev_b32_e32 v9, 6, v11
	ds_load_2addr_b64 v[3:6], v9 offset0:117 offset1:173
	s_waitcnt lgkmcnt(0)
	v_add_f64 v[3:4], v[3:4], -v[5:6]
	s_delay_alu instid0(VALU_DEP_1) | instskip(SKIP_1) | instid1(VALU_DEP_2)
	v_div_scale_f64 v[5:6], null, v[0:1], v[0:1], v[3:4]
	v_div_scale_f64 v[18:19], vcc_lo, v[3:4], v[0:1], v[3:4]
	v_rcp_f64_e32 v[7:8], v[5:6]
	s_waitcnt_depctr 0xfff
	v_fma_f64 v[16:17], -v[5:6], v[7:8], 1.0
	s_delay_alu instid0(VALU_DEP_1) | instskip(NEXT) | instid1(VALU_DEP_1)
	v_fma_f64 v[7:8], v[7:8], v[16:17], v[7:8]
	v_fma_f64 v[16:17], -v[5:6], v[7:8], 1.0
	s_delay_alu instid0(VALU_DEP_1) | instskip(NEXT) | instid1(VALU_DEP_1)
	v_fma_f64 v[7:8], v[7:8], v[16:17], v[7:8]
	v_mul_f64 v[16:17], v[18:19], v[7:8]
	s_delay_alu instid0(VALU_DEP_1) | instskip(NEXT) | instid1(VALU_DEP_1)
	v_fma_f64 v[5:6], -v[5:6], v[16:17], v[18:19]
	v_div_fmas_f64 v[5:6], v[5:6], v[7:8], v[16:17]
	s_delay_alu instid0(VALU_DEP_1)
	v_div_fixup_f64 v[0:1], v[5:6], v[0:1], v[3:4]
	v_lshlrev_b32_e32 v3, 6, v10
	ds_store_b64 v9, v[0:1] offset:936
	s_waitcnt lgkmcnt(0)
	s_waitcnt_vscnt null, 0x0
	buffer_gl0_inv
	ds_load_b64 v[3:4], v3 offset:936
	ds_load_b64 v[5:6], v14
	s_waitcnt lgkmcnt(0)
	v_fma_f64 v[0:1], v[0:1], v[3:4], v[5:6]
	ds_store_b64 v14, v[0:1]
.LBB27_108:
	s_or_b32 exec_lo, exec_lo, s1
	s_delay_alu instid0(SALU_CYCLE_1)
	s_mov_b32 s1, exec_lo
	s_waitcnt lgkmcnt(0)
	s_waitcnt_vscnt null, 0x0
	buffer_gl0_inv
	v_cmpx_eq_u32_e32 6, v11
	s_cbranch_execz .LBB27_110
; %bb.109:
	v_mov_b32_e32 v9, 0
	ds_load_2addr_b64 v[3:6], v9 offset0:166 offset1:222
	s_waitcnt lgkmcnt(0)
	v_add_f64 v[0:1], v[3:4], -v[5:6]
	s_delay_alu instid0(VALU_DEP_1) | instskip(SKIP_1) | instid1(VALU_DEP_1)
	v_cmp_gt_f64_e32 vcc_lo, 0, v[0:1]
	v_xor_b32_e32 v3, 0x80000000, v1
	v_dual_cndmask_b32 v0, v0, v0 :: v_dual_cndmask_b32 v1, v1, v3
	s_delay_alu instid0(VALU_DEP_1) | instskip(SKIP_3) | instid1(VALU_DEP_1)
	v_cmp_gt_f64_e32 vcc_lo, 0x10000000, v[0:1]
	v_cndmask_b32_e64 v3, 0, 1, vcc_lo
	s_and_b32 s4, vcc_lo, exec_lo
	s_cselect_b32 s4, 0xffffff80, 0
	v_lshlrev_b32_e32 v3, 8, v3
	s_delay_alu instid0(VALU_DEP_1) | instskip(NEXT) | instid1(VALU_DEP_1)
	v_ldexp_f64 v[0:1], v[0:1], v3
	v_rsq_f64_e32 v[3:4], v[0:1]
	v_cmp_class_f64_e64 vcc_lo, v[0:1], 0x260
	s_waitcnt_depctr 0xfff
	v_mul_f64 v[5:6], v[0:1], v[3:4]
	v_mul_f64 v[3:4], v[3:4], 0.5
	s_delay_alu instid0(VALU_DEP_1) | instskip(NEXT) | instid1(VALU_DEP_1)
	v_fma_f64 v[7:8], -v[3:4], v[5:6], 0.5
	v_fma_f64 v[5:6], v[5:6], v[7:8], v[5:6]
	v_fma_f64 v[3:4], v[3:4], v[7:8], v[3:4]
	s_delay_alu instid0(VALU_DEP_2) | instskip(NEXT) | instid1(VALU_DEP_1)
	v_fma_f64 v[7:8], -v[5:6], v[5:6], v[0:1]
	v_fma_f64 v[5:6], v[7:8], v[3:4], v[5:6]
	s_delay_alu instid0(VALU_DEP_1) | instskip(NEXT) | instid1(VALU_DEP_1)
	v_fma_f64 v[7:8], -v[5:6], v[5:6], v[0:1]
	v_fma_f64 v[3:4], v[7:8], v[3:4], v[5:6]
	s_delay_alu instid0(VALU_DEP_1) | instskip(NEXT) | instid1(VALU_DEP_1)
	v_ldexp_f64 v[3:4], v[3:4], s4
	v_dual_cndmask_b32 v0, v3, v0 :: v_dual_cndmask_b32 v1, v4, v1
	ds_store_b64 v9, v[0:1] offset:1328
.LBB27_110:
	s_or_b32 exec_lo, exec_lo, s1
	v_mov_b32_e32 v0, 0
	s_waitcnt lgkmcnt(0)
	buffer_gl0_inv
	ds_load_b64 v[0:1], v0 offset:1328
	s_waitcnt lgkmcnt(0)
	v_cmp_neq_f64_e32 vcc_lo, 0, v[0:1]
	v_cndmask_b32_e32 v1, 0x3ff00000, v1, vcc_lo
	v_cndmask_b32_e32 v0, 0, v0, vcc_lo
	s_or_b32 s0, vcc_lo, s0
	s_delay_alu instid0(SALU_CYCLE_1) | instskip(NEXT) | instid1(SALU_CYCLE_1)
	s_xor_b32 s1, s0, -1
	s_and_saveexec_b32 s0, s1
	s_cbranch_execz .LBB27_114
; %bb.111:
	v_mbcnt_lo_u32_b32 v0, exec_lo, 0
	s_mov_b32 s1, exec_lo
	s_delay_alu instid0(VALU_DEP_1)
	v_cmpx_eq_u32_e32 0, v0
	s_cbranch_execz .LBB27_113
; %bb.112:
	v_dual_mov_b32 v0, 0 :: v_dual_mov_b32 v1, s3
	global_atomic_min_i32 v0, v1, s[10:11]
.LBB27_113:
	s_or_b32 exec_lo, exec_lo, s1
	v_mov_b32_e32 v0, 0
	v_mov_b32_e32 v1, 0x3ff00000
.LBB27_114:
	s_or_b32 exec_lo, exec_lo, s0
	v_add_nc_u32_e32 v3, 0x380, v15
	s_mov_b32 s0, exec_lo
	v_cmpx_lt_u32_e32 6, v11
	s_cbranch_execz .LBB27_116
; %bb.115:
	v_lshlrev_b32_e32 v19, 6, v11
	ds_load_2addr_b64 v[4:7], v19 offset0:118 offset1:174
	s_waitcnt lgkmcnt(0)
	v_add_f64 v[4:5], v[4:5], -v[6:7]
	s_delay_alu instid0(VALU_DEP_1) | instskip(SKIP_1) | instid1(VALU_DEP_2)
	v_div_scale_f64 v[6:7], null, v[0:1], v[0:1], v[4:5]
	v_div_scale_f64 v[17:18], vcc_lo, v[4:5], v[0:1], v[4:5]
	v_rcp_f64_e32 v[8:9], v[6:7]
	s_waitcnt_depctr 0xfff
	v_fma_f64 v[15:16], -v[6:7], v[8:9], 1.0
	s_delay_alu instid0(VALU_DEP_1) | instskip(NEXT) | instid1(VALU_DEP_1)
	v_fma_f64 v[8:9], v[8:9], v[15:16], v[8:9]
	v_fma_f64 v[15:16], -v[6:7], v[8:9], 1.0
	s_delay_alu instid0(VALU_DEP_1) | instskip(NEXT) | instid1(VALU_DEP_1)
	v_fma_f64 v[8:9], v[8:9], v[15:16], v[8:9]
	v_mul_f64 v[15:16], v[17:18], v[8:9]
	s_delay_alu instid0(VALU_DEP_1) | instskip(NEXT) | instid1(VALU_DEP_1)
	v_fma_f64 v[6:7], -v[6:7], v[15:16], v[17:18]
	v_div_fmas_f64 v[6:7], v[6:7], v[8:9], v[15:16]
	s_delay_alu instid0(VALU_DEP_1)
	v_div_fixup_f64 v[0:1], v[6:7], v[0:1], v[4:5]
	v_lshlrev_b32_e32 v4, 6, v10
	ds_store_b64 v19, v[0:1] offset:944
	s_waitcnt lgkmcnt(0)
	s_waitcnt_vscnt null, 0x0
	buffer_gl0_inv
	ds_load_b64 v[4:5], v4 offset:944
	ds_load_b64 v[6:7], v14
	s_waitcnt lgkmcnt(0)
	v_fma_f64 v[0:1], v[0:1], v[4:5], v[6:7]
	ds_store_b64 v14, v[0:1]
.LBB27_116:
	s_or_b32 exec_lo, exec_lo, s0
	s_waitcnt lgkmcnt(0)
	s_waitcnt_vscnt null, 0x0
	buffer_gl0_inv
	ds_load_b64 v[0:1], v3
	s_and_not1_b32 vcc_lo, exec_lo, s2
	s_cbranch_vccnz .LBB27_118
; %bb.117:
	v_mov_b32_e32 v12, v13
.LBB27_118:
	s_delay_alu instid0(VALU_DEP_1) | instskip(SKIP_1) | instid1(VALU_DEP_2)
	v_add_nc_u32_e32 v3, s26, v12
	v_cmp_eq_u32_e64 s3, 0, v2
	v_ashrrev_i32_e32 v4, 31, v3
	s_delay_alu instid0(VALU_DEP_1) | instskip(NEXT) | instid1(VALU_DEP_1)
	v_lshlrev_b64 v[3:4], 3, v[3:4]
	v_add_co_u32 v3, vcc_lo, s18, v3
	s_delay_alu instid0(VALU_DEP_2)
	v_add_co_ci_u32_e32 v4, vcc_lo, s19, v4, vcc_lo
	s_waitcnt lgkmcnt(0)
	global_store_b64 v[3:4], v[0:1], off
.LBB27_119:
	s_and_saveexec_b32 s0, s3
	s_cbranch_execnz .LBB27_127
.LBB27_120:
	s_nop 0
	s_sendmsg sendmsg(MSG_DEALLOC_VGPRS)
	s_endpgm
.LBB27_121:
	s_cbranch_execz .LBB27_119
; %bb.122:
	v_or_b32_e32 v0, v10, v11
	s_mov_b32 s0, exec_lo
	s_delay_alu instid0(VALU_DEP_1)
	v_cmpx_eq_u32_e32 0, v0
	s_cbranch_execz .LBB27_126
; %bb.123:
	v_mbcnt_lo_u32_b32 v0, exec_lo, 0
	s_mov_b32 s1, exec_lo
	s_delay_alu instid0(VALU_DEP_1)
	v_cmpx_eq_u32_e32 0, v0
	s_cbranch_execz .LBB27_125
; %bb.124:
	s_add_i32 s2, s16, s17
	s_delay_alu instid0(SALU_CYCLE_1)
	v_dual_mov_b32 v0, 0 :: v_dual_mov_b32 v1, s2
	global_atomic_min_i32 v0, v1, s[10:11]
.LBB27_125:
	s_or_b32 exec_lo, exec_lo, s1
	s_delay_alu instid0(SALU_CYCLE_1)
	s_or_b32 s3, s3, exec_lo
.LBB27_126:
	s_or_b32 exec_lo, exec_lo, s0
	s_and_saveexec_b32 s0, s3
	s_cbranch_execz .LBB27_120
.LBB27_127:
	v_dual_mov_b32 v0, 0 :: v_dual_mov_b32 v1, 1
	s_add_u32 s0, s6, s8
	s_addc_u32 s1, s7, s9
	s_waitcnt_vscnt null, 0x0
	global_store_b32 v0, v1, s[0:1]
	s_nop 0
	s_sendmsg sendmsg(MSG_DEALLOC_VGPRS)
	s_endpgm
	.section	.rodata,"a",@progbits
	.p2align	6, 0x0
	.amdhsa_kernel _ZN9rocsparseL26bsric0_2_8_unrolled_kernelILi49ELi32ELi7EdEEv20rocsparse_direction_iiPKiS3_PT2_S3_PiS3_S6_21rocsparse_index_base_
		.amdhsa_group_segment_fixed_size 2176
		.amdhsa_private_segment_fixed_size 0
		.amdhsa_kernarg_size 76
		.amdhsa_user_sgpr_count 15
		.amdhsa_user_sgpr_dispatch_ptr 0
		.amdhsa_user_sgpr_queue_ptr 0
		.amdhsa_user_sgpr_kernarg_segment_ptr 1
		.amdhsa_user_sgpr_dispatch_id 0
		.amdhsa_user_sgpr_private_segment_size 0
		.amdhsa_wavefront_size32 1
		.amdhsa_uses_dynamic_stack 0
		.amdhsa_enable_private_segment 0
		.amdhsa_system_sgpr_workgroup_id_x 1
		.amdhsa_system_sgpr_workgroup_id_y 0
		.amdhsa_system_sgpr_workgroup_id_z 0
		.amdhsa_system_sgpr_workgroup_info 0
		.amdhsa_system_vgpr_workitem_id 1
		.amdhsa_next_free_vgpr 51
		.amdhsa_next_free_sgpr 37
		.amdhsa_reserve_vcc 1
		.amdhsa_float_round_mode_32 0
		.amdhsa_float_round_mode_16_64 0
		.amdhsa_float_denorm_mode_32 3
		.amdhsa_float_denorm_mode_16_64 3
		.amdhsa_dx10_clamp 1
		.amdhsa_ieee_mode 1
		.amdhsa_fp16_overflow 0
		.amdhsa_workgroup_processor_mode 1
		.amdhsa_memory_ordered 1
		.amdhsa_forward_progress 0
		.amdhsa_shared_vgpr_count 0
		.amdhsa_exception_fp_ieee_invalid_op 0
		.amdhsa_exception_fp_denorm_src 0
		.amdhsa_exception_fp_ieee_div_zero 0
		.amdhsa_exception_fp_ieee_overflow 0
		.amdhsa_exception_fp_ieee_underflow 0
		.amdhsa_exception_fp_ieee_inexact 0
		.amdhsa_exception_int_div_zero 0
	.end_amdhsa_kernel
	.section	.text._ZN9rocsparseL26bsric0_2_8_unrolled_kernelILi49ELi32ELi7EdEEv20rocsparse_direction_iiPKiS3_PT2_S3_PiS3_S6_21rocsparse_index_base_,"axG",@progbits,_ZN9rocsparseL26bsric0_2_8_unrolled_kernelILi49ELi32ELi7EdEEv20rocsparse_direction_iiPKiS3_PT2_S3_PiS3_S6_21rocsparse_index_base_,comdat
.Lfunc_end27:
	.size	_ZN9rocsparseL26bsric0_2_8_unrolled_kernelILi49ELi32ELi7EdEEv20rocsparse_direction_iiPKiS3_PT2_S3_PiS3_S6_21rocsparse_index_base_, .Lfunc_end27-_ZN9rocsparseL26bsric0_2_8_unrolled_kernelILi49ELi32ELi7EdEEv20rocsparse_direction_iiPKiS3_PT2_S3_PiS3_S6_21rocsparse_index_base_
                                        ; -- End function
	.section	.AMDGPU.csdata,"",@progbits
; Kernel info:
; codeLenInByte = 9400
; NumSgprs: 39
; NumVgprs: 51
; ScratchSize: 0
; MemoryBound: 1
; FloatMode: 240
; IeeeMode: 1
; LDSByteSize: 2176 bytes/workgroup (compile time only)
; SGPRBlocks: 4
; VGPRBlocks: 6
; NumSGPRsForWavesPerEU: 39
; NumVGPRsForWavesPerEU: 51
; Occupancy: 16
; WaveLimiterHint : 1
; COMPUTE_PGM_RSRC2:SCRATCH_EN: 0
; COMPUTE_PGM_RSRC2:USER_SGPR: 15
; COMPUTE_PGM_RSRC2:TRAP_HANDLER: 0
; COMPUTE_PGM_RSRC2:TGID_X_EN: 1
; COMPUTE_PGM_RSRC2:TGID_Y_EN: 0
; COMPUTE_PGM_RSRC2:TGID_Z_EN: 0
; COMPUTE_PGM_RSRC2:TIDIG_COMP_CNT: 1
	.section	.text._ZN9rocsparseL26bsric0_2_8_unrolled_kernelILi64ELi32ELi8EdEEv20rocsparse_direction_iiPKiS3_PT2_S3_PiS3_S6_21rocsparse_index_base_,"axG",@progbits,_ZN9rocsparseL26bsric0_2_8_unrolled_kernelILi64ELi32ELi8EdEEv20rocsparse_direction_iiPKiS3_PT2_S3_PiS3_S6_21rocsparse_index_base_,comdat
	.globl	_ZN9rocsparseL26bsric0_2_8_unrolled_kernelILi64ELi32ELi8EdEEv20rocsparse_direction_iiPKiS3_PT2_S3_PiS3_S6_21rocsparse_index_base_ ; -- Begin function _ZN9rocsparseL26bsric0_2_8_unrolled_kernelILi64ELi32ELi8EdEEv20rocsparse_direction_iiPKiS3_PT2_S3_PiS3_S6_21rocsparse_index_base_
	.p2align	8
	.type	_ZN9rocsparseL26bsric0_2_8_unrolled_kernelILi64ELi32ELi8EdEEv20rocsparse_direction_iiPKiS3_PT2_S3_PiS3_S6_21rocsparse_index_base_,@function
_ZN9rocsparseL26bsric0_2_8_unrolled_kernelILi64ELi32ELi8EdEEv20rocsparse_direction_iiPKiS3_PT2_S3_PiS3_S6_21rocsparse_index_base_: ; @_ZN9rocsparseL26bsric0_2_8_unrolled_kernelILi64ELi32ELi8EdEEv20rocsparse_direction_iiPKiS3_PT2_S3_PiS3_S6_21rocsparse_index_base_
; %bb.0:
	s_load_b256 s[4:11], s[0:1], 0x28
	s_mov_b32 s2, s15
	s_mov_b32 s3, 0
	v_and_b32_e32 v8, 0x3ff, v0
	s_lshl_b64 s[12:13], s[2:3], 2
	v_bfe_u32 v9, v0, 10, 10
	s_waitcnt lgkmcnt(0)
	s_add_u32 s8, s8, s12
	s_addc_u32 s9, s9, s13
	s_load_b32 s16, s[8:9], 0x0
	s_waitcnt lgkmcnt(0)
	s_ashr_i32 s17, s16, 31
	s_delay_alu instid0(SALU_CYCLE_1) | instskip(NEXT) | instid1(SALU_CYCLE_1)
	s_lshl_b64 s[8:9], s[16:17], 2
	s_add_u32 s12, s4, s8
	s_addc_u32 s13, s5, s9
	s_load_b32 s26, s[12:13], 0x0
	s_load_b32 s17, s[0:1], 0x48
	s_waitcnt lgkmcnt(0)
	s_cmp_lg_u32 s26, -1
	s_cbranch_scc0 .LBB28_6
; %bb.1:
	s_clause 0x1
	s_load_b128 s[12:15], s[0:1], 0x10
	s_load_b64 s[18:19], s[0:1], 0x20
	v_lshlrev_b32_e32 v14, 3, v9
	s_delay_alu instid0(VALU_DEP_1)
	v_add_nc_u32_e32 v13, v14, v8
	s_waitcnt lgkmcnt(0)
	s_add_u32 s2, s12, s8
	s_addc_u32 s3, s13, s9
	s_load_b32 s2, s[2:3], 0x0
	s_mov_b32 s3, exec_lo
	s_waitcnt lgkmcnt(0)
	s_sub_i32 s27, s2, s17
	s_delay_alu instid0(SALU_CYCLE_1) | instskip(NEXT) | instid1(VALU_DEP_1)
	v_add_nc_u32_e32 v0, s27, v13
	v_cmpx_ge_i32_e64 s26, v0
	s_cbranch_execz .LBB28_4
; %bb.2:
	v_ashrrev_i32_e32 v1, 31, v0
	v_lshlrev_b32_e32 v3, 5, v9
	v_lshlrev_b32_e32 v4, 2, v8
	s_mov_b32 s20, 0
	s_delay_alu instid0(VALU_DEP_3) | instskip(NEXT) | instid1(VALU_DEP_2)
	v_lshlrev_b64 v[1:2], 2, v[0:1]
	v_add3_u32 v3, v3, v4, 0xa00
	s_delay_alu instid0(VALU_DEP_2) | instskip(NEXT) | instid1(VALU_DEP_3)
	v_add_co_u32 v1, vcc_lo, s14, v1
	v_add_co_ci_u32_e32 v2, vcc_lo, s15, v2, vcc_lo
	.p2align	6
.LBB28_3:                               ; =>This Inner Loop Header: Depth=1
	global_load_b32 v4, v[1:2], off
	v_add_nc_u32_e32 v0, 64, v0
	v_add_co_u32 v1, vcc_lo, 0x100, v1
	v_add_co_ci_u32_e32 v2, vcc_lo, 0, v2, vcc_lo
	s_delay_alu instid0(VALU_DEP_3) | instskip(NEXT) | instid1(VALU_DEP_1)
	v_cmp_lt_i32_e64 s2, s26, v0
	s_or_b32 s20, s2, s20
	s_waitcnt vmcnt(0)
	v_subrev_nc_u32_e32 v4, s17, v4
	ds_store_b32 v3, v4
	v_add_nc_u32_e32 v3, 0x100, v3
	s_and_not1_b32 exec_lo, exec_lo, s20
	s_cbranch_execnz .LBB28_3
.LBB28_4:
	s_or_b32 exec_lo, exec_lo, s3
	v_dual_mov_b32 v0, 0 :: v_dual_lshlrev_b32 v15, 3, v8
	s_mov_b32 s2, 0
	s_cmp_lt_i32 s27, s26
	s_delay_alu instid0(VALU_DEP_1) | instskip(NEXT) | instid1(VALU_DEP_2)
	v_mad_u32_u24 v12, 0x48, v9, v15
	v_mov_b32_e32 v1, v0
	ds_store_b64 v12, v[0:1] offset:1728
	s_waitcnt lgkmcnt(0)
	buffer_gl0_inv
	s_cbranch_scc1 .LBB28_7
; %bb.5:
	v_lshl_add_u32 v16, v8, 3, v9
	v_or_b32_e32 v10, v8, v9
	s_load_b32 s1, s[0:1], 0x0
	v_add_nc_u32_e32 v11, 0x6c0, v12
	s_and_not1_b32 vcc_lo, exec_lo, s2
	s_cbranch_vccz .LBB28_8
	s_branch .LBB28_65
.LBB28_6:
	s_cbranch_execnz .LBB28_130
	s_branch .LBB28_135
.LBB28_7:
                                        ; implicit-def: $vgpr16
                                        ; implicit-def: $vgpr10
	s_load_b32 s1, s[0:1], 0x0
	v_add_nc_u32_e32 v11, 0x6c0, v12
.LBB28_8:
	s_movk_i32 s2, 0x48
	s_movk_i32 s0, 0x240
	v_dual_mov_b32 v23, 0 :: v_dual_add_nc_u32 v16, v15, v9
	v_mad_u32_u24 v17, v9, s2, 0x480
	v_mad_u32_u24 v18, 0x48, v9, s0
	v_or_b32_e32 v10, v8, v9
	s_waitcnt lgkmcnt(0)
	s_cmp_eq_u32 s1, 0
	v_mad_u32_u24 v21, v8, s2, 0x480
	s_cselect_b32 vcc_lo, -1, 0
	v_dual_cndmask_b32 v22, v16, v13 :: v_dual_add_nc_u32 v19, v17, v15
	v_add_nc_u32_e32 v20, v18, v15
	v_cmp_ne_u32_e64 s0, 0, v10
	s_cmp_lg_u32 s1, 0
	s_mov_b32 s2, s27
	s_cselect_b32 s28, -1, 0
	s_branch .LBB28_12
.LBB28_9:                               ;   in Loop: Header=BB28_12 Depth=1
	s_or_b32 exec_lo, exec_lo, s21
	v_mov_b32_e32 v4, 0
	v_mov_b32_e32 v5, 0x3ff00000
.LBB28_10:                              ;   in Loop: Header=BB28_12 Depth=1
	s_or_b32 exec_lo, exec_lo, s20
	ds_load_2addr_b64 v[24:27], v17 offset1:1
	ds_load_2addr_b64 v[28:31], v23 offset0:63 offset1:64
	ds_load_b64 v[6:7], v18 offset:56
	s_add_i32 s2, s2, 1
	s_delay_alu instid0(SALU_CYCLE_1) | instskip(SKIP_3) | instid1(VALU_DEP_1)
	s_cmp_ge_i32 s2, s26
	s_cselect_b32 s24, -1, 0
	s_waitcnt lgkmcnt(0)
	v_fma_f64 v[6:7], v[28:29], v[24:25], v[6:7]
	v_fma_f64 v[6:7], v[30:31], v[26:27], v[6:7]
	ds_load_2addr_b64 v[24:27], v17 offset0:2 offset1:3
	ds_load_2addr_b64 v[28:31], v23 offset0:65 offset1:66
	s_waitcnt lgkmcnt(0)
	v_fma_f64 v[6:7], v[28:29], v[24:25], v[6:7]
	s_delay_alu instid0(VALU_DEP_1) | instskip(SKIP_4) | instid1(VALU_DEP_1)
	v_fma_f64 v[6:7], v[30:31], v[26:27], v[6:7]
	ds_load_2addr_b64 v[24:27], v23 offset0:67 offset1:68
	ds_load_2addr_b64 v[28:31], v17 offset0:4 offset1:5
	s_waitcnt lgkmcnt(0)
	v_fma_f64 v[6:7], v[24:25], v[28:29], v[6:7]
	v_fma_f64 v[6:7], v[26:27], v[30:31], v[6:7]
	ds_load_b64 v[24:25], v17 offset:48
	ds_load_b64 v[26:27], v23 offset:552
	s_waitcnt lgkmcnt(0)
	v_fma_f64 v[6:7], v[26:27], v[24:25], v[6:7]
	s_delay_alu instid0(VALU_DEP_1) | instskip(NEXT) | instid1(VALU_DEP_1)
	v_add_f64 v[2:3], v[2:3], -v[6:7]
	v_div_scale_f64 v[6:7], null, v[4:5], v[4:5], v[2:3]
	v_div_scale_f64 v[28:29], vcc_lo, v[2:3], v[4:5], v[2:3]
	s_delay_alu instid0(VALU_DEP_2) | instskip(SKIP_2) | instid1(VALU_DEP_1)
	v_rcp_f64_e32 v[24:25], v[6:7]
	s_waitcnt_depctr 0xfff
	v_fma_f64 v[26:27], -v[6:7], v[24:25], 1.0
	v_fma_f64 v[24:25], v[24:25], v[26:27], v[24:25]
	s_delay_alu instid0(VALU_DEP_1) | instskip(NEXT) | instid1(VALU_DEP_1)
	v_fma_f64 v[26:27], -v[6:7], v[24:25], 1.0
	v_fma_f64 v[24:25], v[24:25], v[26:27], v[24:25]
	s_delay_alu instid0(VALU_DEP_1) | instskip(NEXT) | instid1(VALU_DEP_1)
	v_mul_f64 v[26:27], v[28:29], v[24:25]
	v_fma_f64 v[6:7], -v[6:7], v[26:27], v[28:29]
	s_delay_alu instid0(VALU_DEP_1) | instskip(NEXT) | instid1(VALU_DEP_1)
	v_div_fmas_f64 v[6:7], v[6:7], v[24:25], v[26:27]
	v_div_fixup_f64 v[2:3], v[6:7], v[4:5], v[2:3]
	ds_store_b64 v17, v[2:3] offset:56
	s_waitcnt lgkmcnt(0)
	s_waitcnt_vscnt null, 0x0
	buffer_gl0_inv
	ds_load_b64 v[4:5], v21 offset:56
	ds_load_b64 v[6:7], v11
	s_waitcnt lgkmcnt(0)
	v_fma_f64 v[2:3], v[2:3], v[4:5], v[6:7]
	ds_store_b64 v11, v[2:3]
	s_waitcnt lgkmcnt(0)
	buffer_gl0_inv
	ds_load_b64 v[2:3], v19
	s_waitcnt lgkmcnt(0)
	global_store_b64 v[0:1], v[2:3], off
	s_waitcnt_vscnt null, 0x0
	buffer_gl1_inv
	buffer_gl0_inv
.LBB28_11:                              ;   in Loop: Header=BB28_12 Depth=1
	s_and_b32 vcc_lo, exec_lo, s24
	s_cbranch_vccnz .LBB28_65
.LBB28_12:                              ; =>This Loop Header: Depth=1
                                        ;     Child Loop BB28_15 Depth 2
                                        ;     Child Loop BB28_26 Depth 2
	s_ashr_i32 s3, s2, 31
	s_delay_alu instid0(SALU_CYCLE_1) | instskip(NEXT) | instid1(SALU_CYCLE_1)
	s_lshl_b64 s[20:21], s[2:3], 2
	s_add_u32 s20, s14, s20
	s_addc_u32 s21, s15, s21
	s_load_b32 s3, s[20:21], 0x0
	s_waitcnt lgkmcnt(0)
	s_sub_i32 s22, s3, s17
	s_delay_alu instid0(SALU_CYCLE_1) | instskip(NEXT) | instid1(SALU_CYCLE_1)
	s_ashr_i32 s23, s22, 31
	s_lshl_b64 s[20:21], s[22:23], 2
	s_delay_alu instid0(SALU_CYCLE_1)
	s_add_u32 s24, s4, s20
	s_addc_u32 s25, s5, s21
	s_load_b32 s23, s[24:25], 0x0
	s_mov_b32 s24, -1
	s_waitcnt lgkmcnt(0)
	s_cmp_eq_u32 s23, -1
	s_cbranch_scc1 .LBB28_11
; %bb.13:                               ;   in Loop: Header=BB28_12 Depth=1
	v_lshl_add_u32 v0, s2, 6, v22
	s_add_u32 s24, s12, s20
	s_addc_u32 s25, s13, s21
	ds_load_b32 v4, v23 offset:2560
	s_load_b32 s24, s[24:25], 0x0
	v_ashrrev_i32_e32 v1, 31, v0
	s_delay_alu instid0(VALU_DEP_1) | instskip(NEXT) | instid1(VALU_DEP_1)
	v_lshlrev_b64 v[0:1], 3, v[0:1]
	v_add_co_u32 v0, vcc_lo, s18, v0
	s_delay_alu instid0(VALU_DEP_2) | instskip(SKIP_4) | instid1(SALU_CYCLE_1)
	v_add_co_ci_u32_e32 v1, vcc_lo, s19, v1, vcc_lo
	s_waitcnt lgkmcnt(0)
	v_cmp_ge_i32_e32 vcc_lo, s22, v4
	global_load_b64 v[2:3], v[0:1], off
	s_sub_i32 s24, s24, s17
	s_cmp_le_i32 s24, s23
	s_cselect_b32 s25, -1, 0
	s_delay_alu instid0(SALU_CYCLE_1) | instskip(NEXT) | instid1(SALU_CYCLE_1)
	s_and_b32 s25, s25, vcc_lo
	s_and_not1_b32 vcc_lo, exec_lo, s25
	s_mov_b32 s25, 0
	s_waitcnt vmcnt(0)
	ds_store_b64 v19, v[2:3]
	s_cbranch_vccnz .LBB28_25
; %bb.14:                               ;   in Loop: Header=BB28_12 Depth=1
	s_mov_b32 s29, 0
	s_mov_b32 s30, 0
.LBB28_15:                              ;   Parent Loop BB28_12 Depth=1
                                        ; =>  This Inner Loop Header: Depth=2
	s_ashr_i32 s25, s24, 31
                                        ; implicit-def: $sgpr33
	s_delay_alu instid0(SALU_CYCLE_1) | instskip(NEXT) | instid1(SALU_CYCLE_1)
	s_lshl_b64 s[34:35], s[24:25], 2
	s_add_u32 s34, s14, s34
	s_addc_u32 s35, s15, s35
	s_lshl_b32 s25, s30, 2
	s_delay_alu instid0(SALU_CYCLE_1)
	v_mov_b32_e32 v2, s25
	s_load_b32 s25, s[34:35], 0x0
	s_mov_b32 s35, -1
                                        ; implicit-def: $sgpr34
	ds_load_b32 v2, v2 offset:2560
	s_waitcnt lgkmcnt(0)
	s_sub_i32 s36, s25, s17
                                        ; implicit-def: $sgpr25
	s_delay_alu instid0(SALU_CYCLE_1)
	v_cmp_ge_i32_e32 vcc_lo, s36, v2
	v_readfirstlane_b32 s31, v2
	s_cbranch_vccz .LBB28_21
; %bb.16:                               ;   in Loop: Header=BB28_15 Depth=2
	s_delay_alu instid0(VALU_DEP_1)
	s_cmp_le_i32 s36, s31
                                        ; implicit-def: $sgpr25
                                        ; implicit-def: $sgpr34
                                        ; implicit-def: $sgpr33
	s_cbranch_scc0 .LBB28_18
; %bb.17:                               ;   in Loop: Header=BB28_15 Depth=2
	s_add_i32 s25, s30, s27
	s_lshl_b32 s33, s29, 2
	s_lshl_b32 s25, s25, 6
	;; [unrolled: 1-line block ×3, first 2 shown]
	s_delay_alu instid0(SALU_CYCLE_1)
	v_dual_mov_b32 v2, s25 :: v_dual_mov_b32 v3, s34
	v_add_nc_u32_e64 v4, 0x800, s33
	s_add_i32 s33, s30, 1
	s_add_i32 s34, s24, 1
	;; [unrolled: 1-line block ×3, first 2 shown]
	s_mov_b32 s35, 0
	ds_store_2addr_b32 v4, v3, v2 offset0:64 offset1:96
.LBB28_18:                              ;   in Loop: Header=BB28_15 Depth=2
	s_and_not1_b32 vcc_lo, exec_lo, s35
	s_cbranch_vccnz .LBB28_20
; %bb.19:                               ;   in Loop: Header=BB28_15 Depth=2
	s_add_i32 s33, s30, 1
	s_mov_b32 s25, s29
	s_mov_b32 s34, s24
.LBB28_20:                              ;   in Loop: Header=BB28_15 Depth=2
	s_mov_b32 s35, 0
.LBB28_21:                              ;   in Loop: Header=BB28_15 Depth=2
	s_delay_alu instid0(SALU_CYCLE_1)
	s_and_not1_b32 vcc_lo, exec_lo, s35
	s_cbranch_vccnz .LBB28_23
; %bb.22:                               ;   in Loop: Header=BB28_15 Depth=2
	s_add_i32 s34, s24, 1
	s_mov_b32 s33, s30
	s_mov_b32 s25, s29
.LBB28_23:                              ;   in Loop: Header=BB28_15 Depth=2
	s_cmp_le_i32 s34, s23
	s_cselect_b32 s24, -1, 0
	s_cmp_le_i32 s31, s22
	s_cselect_b32 s29, -1, 0
	s_delay_alu instid0(SALU_CYCLE_1) | instskip(NEXT) | instid1(SALU_CYCLE_1)
	s_and_b32 s24, s24, s29
	s_and_b32 vcc_lo, exec_lo, s24
	s_cbranch_vccz .LBB28_25
; %bb.24:                               ;   in Loop: Header=BB28_15 Depth=2
	s_mov_b32 s29, s25
	s_mov_b32 s24, s34
	;; [unrolled: 1-line block ×3, first 2 shown]
	s_branch .LBB28_15
.LBB28_25:                              ;   in Loop: Header=BB28_12 Depth=1
	s_add_u32 s20, s6, s20
	s_addc_u32 s21, s7, s21
	s_waitcnt lgkmcnt(0)
	buffer_gl0_inv
.LBB28_26:                              ;   Parent Loop BB28_12 Depth=1
                                        ; =>  This Inner Loop Header: Depth=2
	global_load_b32 v2, v23, s[20:21] glc
	s_waitcnt vmcnt(0)
	v_cmp_eq_u32_e32 vcc_lo, 0, v2
	s_cbranch_vccnz .LBB28_26
; %bb.27:                               ;   in Loop: Header=BB28_12 Depth=1
	v_lshl_add_u32 v2, s23, 6, v22
	buffer_gl1_inv
	buffer_gl0_inv
	v_mov_b32_e32 v6, 0
	v_mov_b32_e32 v7, 0
	s_cmp_lt_i32 s25, 2
	v_ashrrev_i32_e32 v3, 31, v2
	s_delay_alu instid0(VALU_DEP_1) | instskip(NEXT) | instid1(VALU_DEP_1)
	v_lshlrev_b64 v[2:3], 3, v[2:3]
	v_add_co_u32 v2, vcc_lo, s18, v2
	s_delay_alu instid0(VALU_DEP_2)
	v_add_co_ci_u32_e32 v3, vcc_lo, s19, v3, vcc_lo
	global_load_b64 v[2:3], v[2:3], off
	s_waitcnt vmcnt(0)
	ds_store_b64 v12, v[2:3]
	s_waitcnt lgkmcnt(0)
	buffer_gl0_inv
	s_cbranch_scc1 .LBB28_34
; %bb.28:                               ;   in Loop: Header=BB28_12 Depth=1
	v_mov_b32_e32 v2, 0
	v_mov_b32_e32 v3, 0
	s_add_i32 s20, s25, -1
	s_movk_i32 s21, 0x900
	s_delay_alu instid0(SALU_CYCLE_1)
	v_mov_b32_e32 v4, s21
	s_and_b32 vcc_lo, exec_lo, s28
	ds_load_2addr_b32 v[4:5], v4 offset1:32
	s_cbranch_vccz .LBB28_30
.LBB28_29:                              ;   in Loop: Header=BB28_12 Depth=1
	s_waitcnt lgkmcnt(0)
	v_add_nc_u32_e32 v6, v4, v8
	v_add_nc_u32_e32 v24, v5, v9
	s_delay_alu instid0(VALU_DEP_2) | instskip(NEXT) | instid1(VALU_DEP_2)
	v_ashrrev_i32_e32 v7, 31, v6
	v_ashrrev_i32_e32 v25, 31, v24
	v_add_nc_u32_e32 v31, 8, v24
	v_add_nc_u32_e32 v33, 16, v6
	;; [unrolled: 1-line block ×3, first 2 shown]
	v_lshlrev_b64 v[26:27], 3, v[6:7]
	v_lshlrev_b64 v[28:29], 3, v[24:25]
	v_ashrrev_i32_e32 v32, 31, v31
	v_ashrrev_i32_e32 v34, 31, v33
	;; [unrolled: 1-line block ×3, first 2 shown]
	v_add_nc_u32_e32 v37, 24, v6
	v_add_co_u32 v25, vcc_lo, s18, v26
	v_add_co_ci_u32_e32 v26, vcc_lo, s19, v27, vcc_lo
	v_add_co_u32 v27, vcc_lo, s18, v28
	v_add_co_ci_u32_e32 v28, vcc_lo, s19, v29, vcc_lo
	v_add_nc_u32_e32 v29, 8, v6
	s_clause 0x1
	global_load_b64 v[25:26], v[25:26], off
	global_load_b64 v[27:28], v[27:28], off
	v_lshlrev_b64 v[31:32], 3, v[31:32]
	v_lshlrev_b64 v[33:34], 3, v[33:34]
	v_ashrrev_i32_e32 v30, 31, v29
	v_lshlrev_b64 v[35:36], 3, v[35:36]
	v_add_nc_u32_e32 v39, 24, v24
	v_ashrrev_i32_e32 v38, 31, v37
	v_add_nc_u32_e32 v41, 32, v6
	v_lshlrev_b64 v[29:30], 3, v[29:30]
	v_add_nc_u32_e32 v43, 32, v24
	v_ashrrev_i32_e32 v40, 31, v39
	v_lshlrev_b64 v[37:38], 3, v[37:38]
	v_ashrrev_i32_e32 v42, 31, v41
	v_add_nc_u32_e32 v45, 40, v6
	v_add_co_u32 v29, vcc_lo, s18, v29
	v_add_co_ci_u32_e32 v30, vcc_lo, s19, v30, vcc_lo
	v_add_co_u32 v31, vcc_lo, s18, v31
	v_add_co_ci_u32_e32 v32, vcc_lo, s19, v32, vcc_lo
	s_clause 0x1
	global_load_b64 v[29:30], v[29:30], off
	global_load_b64 v[31:32], v[31:32], off
	v_add_co_u32 v33, vcc_lo, s18, v33
	v_add_co_ci_u32_e32 v34, vcc_lo, s19, v34, vcc_lo
	v_add_co_u32 v35, vcc_lo, s18, v35
	v_add_co_ci_u32_e32 v36, vcc_lo, s19, v36, vcc_lo
	s_clause 0x1
	global_load_b64 v[33:34], v[33:34], off
	global_load_b64 v[35:36], v[35:36], off
	v_lshlrev_b64 v[39:40], 3, v[39:40]
	v_add_co_u32 v37, vcc_lo, s18, v37
	v_add_co_ci_u32_e32 v38, vcc_lo, s19, v38, vcc_lo
	v_ashrrev_i32_e32 v44, 31, v43
	s_delay_alu instid0(VALU_DEP_4)
	v_add_co_u32 v39, vcc_lo, s18, v39
	v_add_co_ci_u32_e32 v40, vcc_lo, s19, v40, vcc_lo
	s_clause 0x1
	global_load_b64 v[37:38], v[37:38], off
	global_load_b64 v[39:40], v[39:40], off
	v_lshlrev_b64 v[41:42], 3, v[41:42]
	v_lshlrev_b64 v[43:44], 3, v[43:44]
	v_add_nc_u32_e32 v47, 40, v24
	v_ashrrev_i32_e32 v46, 31, v45
	v_add_nc_u32_e32 v49, 48, v6
	v_add_nc_u32_e32 v51, 48, v24
	v_add_co_u32 v41, vcc_lo, s18, v41
	v_add_co_ci_u32_e32 v42, vcc_lo, s19, v42, vcc_lo
	v_add_co_u32 v43, vcc_lo, s18, v43
	v_add_co_ci_u32_e32 v44, vcc_lo, s19, v44, vcc_lo
	s_clause 0x1
	global_load_b64 v[41:42], v[41:42], off
	global_load_b64 v[43:44], v[43:44], off
	v_ashrrev_i32_e32 v48, 31, v47
	v_lshlrev_b64 v[45:46], 3, v[45:46]
	v_ashrrev_i32_e32 v50, 31, v49
	v_ashrrev_i32_e32 v52, 31, v51
	v_add_nc_u32_e32 v6, 56, v6
	v_lshlrev_b64 v[47:48], 3, v[47:48]
	v_add_nc_u32_e32 v53, 56, v24
	v_add_co_u32 v45, vcc_lo, s18, v45
	v_add_co_ci_u32_e32 v46, vcc_lo, s19, v46, vcc_lo
	s_delay_alu instid0(VALU_DEP_4)
	v_add_co_u32 v47, vcc_lo, s18, v47
	v_add_co_ci_u32_e32 v48, vcc_lo, s19, v48, vcc_lo
	s_clause 0x1
	global_load_b64 v[45:46], v[45:46], off
	global_load_b64 v[47:48], v[47:48], off
	v_lshlrev_b64 v[49:50], 3, v[49:50]
	v_lshlrev_b64 v[51:52], 3, v[51:52]
	v_ashrrev_i32_e32 v7, 31, v6
	v_ashrrev_i32_e32 v54, 31, v53
	s_delay_alu instid0(VALU_DEP_4)
	v_add_co_u32 v49, vcc_lo, s18, v49
	v_add_co_ci_u32_e32 v50, vcc_lo, s19, v50, vcc_lo
	v_add_co_u32 v51, vcc_lo, s18, v51
	v_add_co_ci_u32_e32 v52, vcc_lo, s19, v52, vcc_lo
	s_clause 0x1
	global_load_b64 v[49:50], v[49:50], off
	global_load_b64 v[51:52], v[51:52], off
	v_lshlrev_b64 v[6:7], 3, v[6:7]
	v_lshlrev_b64 v[53:54], 3, v[53:54]
	s_delay_alu instid0(VALU_DEP_2) | instskip(NEXT) | instid1(VALU_DEP_3)
	v_add_co_u32 v6, vcc_lo, s18, v6
	v_add_co_ci_u32_e32 v7, vcc_lo, s19, v7, vcc_lo
	s_delay_alu instid0(VALU_DEP_3) | instskip(NEXT) | instid1(VALU_DEP_4)
	v_add_co_u32 v53, vcc_lo, s18, v53
	v_add_co_ci_u32_e32 v54, vcc_lo, s19, v54, vcc_lo
	s_clause 0x1
	global_load_b64 v[6:7], v[6:7], off
	global_load_b64 v[53:54], v[53:54], off
	s_waitcnt vmcnt(14)
	v_fma_f64 v[24:25], v[25:26], v[27:28], v[2:3]
	s_waitcnt vmcnt(12)
	s_delay_alu instid0(VALU_DEP_1) | instskip(SKIP_1) | instid1(VALU_DEP_1)
	v_fma_f64 v[24:25], v[29:30], v[31:32], v[24:25]
	s_waitcnt vmcnt(10)
	v_fma_f64 v[24:25], v[33:34], v[35:36], v[24:25]
	s_waitcnt vmcnt(8)
	s_delay_alu instid0(VALU_DEP_1) | instskip(SKIP_1) | instid1(VALU_DEP_1)
	v_fma_f64 v[24:25], v[37:38], v[39:40], v[24:25]
	;; [unrolled: 5-line block ×3, first 2 shown]
	s_waitcnt vmcnt(2)
	v_fma_f64 v[24:25], v[49:50], v[51:52], v[24:25]
	s_waitcnt vmcnt(0)
	s_delay_alu instid0(VALU_DEP_1)
	v_fma_f64 v[6:7], v[6:7], v[53:54], v[24:25]
	s_cbranch_execz .LBB28_31
	s_branch .LBB28_32
.LBB28_30:                              ;   in Loop: Header=BB28_12 Depth=1
                                        ; implicit-def: $vgpr6_vgpr7
.LBB28_31:                              ;   in Loop: Header=BB28_12 Depth=1
	s_waitcnt lgkmcnt(0)
	v_add_nc_u32_e32 v4, v4, v15
	v_add_nc_u32_e32 v6, v5, v14
	s_delay_alu instid0(VALU_DEP_2) | instskip(NEXT) | instid1(VALU_DEP_2)
	v_ashrrev_i32_e32 v5, 31, v4
	v_ashrrev_i32_e32 v7, 31, v6
	s_delay_alu instid0(VALU_DEP_2) | instskip(NEXT) | instid1(VALU_DEP_2)
	v_lshlrev_b64 v[4:5], 3, v[4:5]
	v_lshlrev_b64 v[6:7], 3, v[6:7]
	s_delay_alu instid0(VALU_DEP_2) | instskip(NEXT) | instid1(VALU_DEP_3)
	v_add_co_u32 v44, vcc_lo, s18, v4
	v_add_co_ci_u32_e32 v45, vcc_lo, s19, v5, vcc_lo
	s_delay_alu instid0(VALU_DEP_3) | instskip(NEXT) | instid1(VALU_DEP_4)
	v_add_co_u32 v48, vcc_lo, s18, v6
	v_add_co_ci_u32_e32 v49, vcc_lo, s19, v7, vcc_lo
	s_clause 0x7
	global_load_b128 v[4:7], v[44:45], off
	global_load_b128 v[24:27], v[48:49], off
	global_load_b128 v[28:31], v[44:45], off offset:16
	global_load_b128 v[32:35], v[48:49], off offset:16
	;; [unrolled: 1-line block ×6, first 2 shown]
	s_waitcnt vmcnt(6)
	v_fma_f64 v[2:3], v[4:5], v[24:25], v[2:3]
	s_delay_alu instid0(VALU_DEP_1) | instskip(SKIP_1) | instid1(VALU_DEP_1)
	v_fma_f64 v[2:3], v[6:7], v[26:27], v[2:3]
	s_waitcnt vmcnt(4)
	v_fma_f64 v[2:3], v[28:29], v[32:33], v[2:3]
	s_delay_alu instid0(VALU_DEP_1) | instskip(SKIP_1) | instid1(VALU_DEP_1)
	v_fma_f64 v[2:3], v[30:31], v[34:35], v[2:3]
	s_waitcnt vmcnt(2)
	v_fma_f64 v[2:3], v[36:37], v[40:41], v[2:3]
	s_delay_alu instid0(VALU_DEP_1) | instskip(SKIP_1) | instid1(VALU_DEP_1)
	v_fma_f64 v[2:3], v[38:39], v[42:43], v[2:3]
	s_waitcnt vmcnt(0)
	v_fma_f64 v[2:3], v[44:45], v[48:49], v[2:3]
	s_delay_alu instid0(VALU_DEP_1)
	v_fma_f64 v[6:7], v[46:47], v[50:51], v[2:3]
.LBB28_32:                              ;   in Loop: Header=BB28_12 Depth=1
	s_add_i32 s20, s20, -1
	s_add_i32 s21, s21, 4
	s_cmp_eq_u32 s20, 0
	s_cbranch_scc1 .LBB28_34
; %bb.33:                               ;   in Loop: Header=BB28_12 Depth=1
	s_delay_alu instid0(VALU_DEP_1)
	v_dual_mov_b32 v2, v6 :: v_dual_mov_b32 v3, v7
	s_waitcnt lgkmcnt(0)
	v_mov_b32_e32 v4, s21
	s_and_b32 vcc_lo, exec_lo, s28
	ds_load_2addr_b32 v[4:5], v4 offset1:32
	s_cbranch_vccz .LBB28_30
	s_branch .LBB28_29
.LBB28_34:                              ;   in Loop: Header=BB28_12 Depth=1
	ds_store_b64 v20, v[6:7]
	s_waitcnt lgkmcnt(0)
	buffer_gl0_inv
	ds_load_b64 v[4:5], v23
	ds_load_b64 v[2:3], v17
	s_waitcnt lgkmcnt(1)
	v_cmp_neq_f64_e32 vcc_lo, 0, v[4:5]
	v_cndmask_b32_e32 v5, 0x3ff00000, v5, vcc_lo
	v_cndmask_b32_e32 v4, 0, v4, vcc_lo
	s_or_b32 s20, vcc_lo, s0
	s_delay_alu instid0(SALU_CYCLE_1) | instskip(NEXT) | instid1(SALU_CYCLE_1)
	s_xor_b32 s21, s20, -1
	s_and_saveexec_b32 s20, s21
	s_cbranch_execz .LBB28_38
; %bb.35:                               ;   in Loop: Header=BB28_12 Depth=1
	v_mbcnt_lo_u32_b32 v4, exec_lo, 0
	s_mov_b32 s21, exec_lo
	s_delay_alu instid0(VALU_DEP_1)
	v_cmpx_eq_u32_e32 0, v4
	s_cbranch_execz .LBB28_37
; %bb.36:                               ;   in Loop: Header=BB28_12 Depth=1
	v_mov_b32_e32 v4, s3
	global_atomic_min_i32 v23, v4, s[10:11]
.LBB28_37:                              ;   in Loop: Header=BB28_12 Depth=1
	s_or_b32 exec_lo, exec_lo, s21
	v_mov_b32_e32 v4, 0
	v_mov_b32_e32 v5, 0x3ff00000
.LBB28_38:                              ;   in Loop: Header=BB28_12 Depth=1
	s_or_b32 exec_lo, exec_lo, s20
	ds_load_b64 v[6:7], v18
	s_waitcnt lgkmcnt(0)
	v_add_f64 v[2:3], v[2:3], -v[6:7]
	s_delay_alu instid0(VALU_DEP_1) | instskip(SKIP_1) | instid1(VALU_DEP_2)
	v_div_scale_f64 v[6:7], null, v[4:5], v[4:5], v[2:3]
	v_div_scale_f64 v[28:29], vcc_lo, v[2:3], v[4:5], v[2:3]
	v_rcp_f64_e32 v[24:25], v[6:7]
	s_waitcnt_depctr 0xfff
	v_fma_f64 v[26:27], -v[6:7], v[24:25], 1.0
	s_delay_alu instid0(VALU_DEP_1) | instskip(NEXT) | instid1(VALU_DEP_1)
	v_fma_f64 v[24:25], v[24:25], v[26:27], v[24:25]
	v_fma_f64 v[26:27], -v[6:7], v[24:25], 1.0
	s_delay_alu instid0(VALU_DEP_1) | instskip(NEXT) | instid1(VALU_DEP_1)
	v_fma_f64 v[24:25], v[24:25], v[26:27], v[24:25]
	v_mul_f64 v[26:27], v[28:29], v[24:25]
	s_delay_alu instid0(VALU_DEP_1) | instskip(NEXT) | instid1(VALU_DEP_1)
	v_fma_f64 v[6:7], -v[6:7], v[26:27], v[28:29]
	v_div_fmas_f64 v[6:7], v[6:7], v[24:25], v[26:27]
	s_delay_alu instid0(VALU_DEP_1)
	v_div_fixup_f64 v[2:3], v[6:7], v[4:5], v[2:3]
	ds_store_b64 v17, v[2:3]
	s_waitcnt lgkmcnt(0)
	s_waitcnt_vscnt null, 0x0
	buffer_gl0_inv
	ds_load_b64 v[4:5], v21
	ds_load_b64 v[6:7], v11
	s_waitcnt lgkmcnt(0)
	v_fma_f64 v[2:3], v[2:3], v[4:5], v[6:7]
	ds_store_b64 v11, v[2:3]
	s_waitcnt lgkmcnt(0)
	buffer_gl0_inv
	ds_load_b64 v[4:5], v23 offset:80
	ds_load_b64 v[2:3], v17 offset:8
	s_waitcnt lgkmcnt(1)
	v_cmp_neq_f64_e32 vcc_lo, 0, v[4:5]
	v_cndmask_b32_e32 v5, 0x3ff00000, v5, vcc_lo
	v_cndmask_b32_e32 v4, 0, v4, vcc_lo
	s_or_b32 s20, vcc_lo, s0
	s_delay_alu instid0(SALU_CYCLE_1) | instskip(NEXT) | instid1(SALU_CYCLE_1)
	s_xor_b32 s21, s20, -1
	s_and_saveexec_b32 s20, s21
	s_cbranch_execz .LBB28_42
; %bb.39:                               ;   in Loop: Header=BB28_12 Depth=1
	v_mbcnt_lo_u32_b32 v4, exec_lo, 0
	s_mov_b32 s21, exec_lo
	s_delay_alu instid0(VALU_DEP_1)
	v_cmpx_eq_u32_e32 0, v4
	s_cbranch_execz .LBB28_41
; %bb.40:                               ;   in Loop: Header=BB28_12 Depth=1
	v_mov_b32_e32 v4, s3
	global_atomic_min_i32 v23, v4, s[10:11]
.LBB28_41:                              ;   in Loop: Header=BB28_12 Depth=1
	s_or_b32 exec_lo, exec_lo, s21
	v_mov_b32_e32 v4, 0
	v_mov_b32_e32 v5, 0x3ff00000
.LBB28_42:                              ;   in Loop: Header=BB28_12 Depth=1
	s_or_b32 exec_lo, exec_lo, s20
	ds_load_b64 v[6:7], v17
	ds_load_b64 v[24:25], v23 offset:72
	ds_load_b64 v[26:27], v18 offset:8
	s_waitcnt lgkmcnt(0)
	v_fma_f64 v[6:7], v[24:25], v[6:7], v[26:27]
	s_delay_alu instid0(VALU_DEP_1) | instskip(NEXT) | instid1(VALU_DEP_1)
	v_add_f64 v[2:3], v[2:3], -v[6:7]
	v_div_scale_f64 v[6:7], null, v[4:5], v[4:5], v[2:3]
	v_div_scale_f64 v[28:29], vcc_lo, v[2:3], v[4:5], v[2:3]
	s_delay_alu instid0(VALU_DEP_2) | instskip(SKIP_2) | instid1(VALU_DEP_1)
	v_rcp_f64_e32 v[24:25], v[6:7]
	s_waitcnt_depctr 0xfff
	v_fma_f64 v[26:27], -v[6:7], v[24:25], 1.0
	v_fma_f64 v[24:25], v[24:25], v[26:27], v[24:25]
	s_delay_alu instid0(VALU_DEP_1) | instskip(NEXT) | instid1(VALU_DEP_1)
	v_fma_f64 v[26:27], -v[6:7], v[24:25], 1.0
	v_fma_f64 v[24:25], v[24:25], v[26:27], v[24:25]
	s_delay_alu instid0(VALU_DEP_1) | instskip(NEXT) | instid1(VALU_DEP_1)
	v_mul_f64 v[26:27], v[28:29], v[24:25]
	v_fma_f64 v[6:7], -v[6:7], v[26:27], v[28:29]
	s_delay_alu instid0(VALU_DEP_1) | instskip(NEXT) | instid1(VALU_DEP_1)
	v_div_fmas_f64 v[6:7], v[6:7], v[24:25], v[26:27]
	v_div_fixup_f64 v[2:3], v[6:7], v[4:5], v[2:3]
	ds_store_b64 v17, v[2:3] offset:8
	s_waitcnt lgkmcnt(0)
	s_waitcnt_vscnt null, 0x0
	buffer_gl0_inv
	ds_load_b64 v[4:5], v21 offset:8
	ds_load_b64 v[6:7], v11
	s_waitcnt lgkmcnt(0)
	v_fma_f64 v[2:3], v[2:3], v[4:5], v[6:7]
	ds_store_b64 v11, v[2:3]
	s_waitcnt lgkmcnt(0)
	buffer_gl0_inv
	ds_load_b64 v[4:5], v23 offset:160
	ds_load_b64 v[2:3], v17 offset:16
	s_waitcnt lgkmcnt(1)
	v_cmp_neq_f64_e32 vcc_lo, 0, v[4:5]
	v_cndmask_b32_e32 v5, 0x3ff00000, v5, vcc_lo
	v_cndmask_b32_e32 v4, 0, v4, vcc_lo
	s_or_b32 s20, vcc_lo, s0
	s_delay_alu instid0(SALU_CYCLE_1) | instskip(NEXT) | instid1(SALU_CYCLE_1)
	s_xor_b32 s21, s20, -1
	s_and_saveexec_b32 s20, s21
	s_cbranch_execz .LBB28_46
; %bb.43:                               ;   in Loop: Header=BB28_12 Depth=1
	v_mbcnt_lo_u32_b32 v4, exec_lo, 0
	s_mov_b32 s21, exec_lo
	s_delay_alu instid0(VALU_DEP_1)
	v_cmpx_eq_u32_e32 0, v4
	s_cbranch_execz .LBB28_45
; %bb.44:                               ;   in Loop: Header=BB28_12 Depth=1
	v_mov_b32_e32 v4, s3
	global_atomic_min_i32 v23, v4, s[10:11]
.LBB28_45:                              ;   in Loop: Header=BB28_12 Depth=1
	s_or_b32 exec_lo, exec_lo, s21
	v_mov_b32_e32 v4, 0
	v_mov_b32_e32 v5, 0x3ff00000
.LBB28_46:                              ;   in Loop: Header=BB28_12 Depth=1
	s_or_b32 exec_lo, exec_lo, s20
	ds_load_b128 v[24:27], v23 offset:144
	ds_load_2addr_b64 v[28:31], v17 offset1:1
	ds_load_b64 v[6:7], v18 offset:16
	s_waitcnt lgkmcnt(0)
	v_fma_f64 v[6:7], v[24:25], v[28:29], v[6:7]
	s_delay_alu instid0(VALU_DEP_1) | instskip(NEXT) | instid1(VALU_DEP_1)
	v_fma_f64 v[6:7], v[26:27], v[30:31], v[6:7]
	v_add_f64 v[2:3], v[2:3], -v[6:7]
	s_delay_alu instid0(VALU_DEP_1) | instskip(SKIP_1) | instid1(VALU_DEP_2)
	v_div_scale_f64 v[6:7], null, v[4:5], v[4:5], v[2:3]
	v_div_scale_f64 v[28:29], vcc_lo, v[2:3], v[4:5], v[2:3]
	v_rcp_f64_e32 v[24:25], v[6:7]
	s_waitcnt_depctr 0xfff
	v_fma_f64 v[26:27], -v[6:7], v[24:25], 1.0
	s_delay_alu instid0(VALU_DEP_1) | instskip(NEXT) | instid1(VALU_DEP_1)
	v_fma_f64 v[24:25], v[24:25], v[26:27], v[24:25]
	v_fma_f64 v[26:27], -v[6:7], v[24:25], 1.0
	s_delay_alu instid0(VALU_DEP_1) | instskip(NEXT) | instid1(VALU_DEP_1)
	v_fma_f64 v[24:25], v[24:25], v[26:27], v[24:25]
	v_mul_f64 v[26:27], v[28:29], v[24:25]
	s_delay_alu instid0(VALU_DEP_1) | instskip(NEXT) | instid1(VALU_DEP_1)
	v_fma_f64 v[6:7], -v[6:7], v[26:27], v[28:29]
	v_div_fmas_f64 v[6:7], v[6:7], v[24:25], v[26:27]
	s_delay_alu instid0(VALU_DEP_1)
	v_div_fixup_f64 v[2:3], v[6:7], v[4:5], v[2:3]
	ds_store_b64 v17, v[2:3] offset:16
	s_waitcnt lgkmcnt(0)
	s_waitcnt_vscnt null, 0x0
	buffer_gl0_inv
	ds_load_b64 v[4:5], v21 offset:16
	ds_load_b64 v[6:7], v11
	s_waitcnt lgkmcnt(0)
	v_fma_f64 v[2:3], v[2:3], v[4:5], v[6:7]
	ds_store_b64 v11, v[2:3]
	s_waitcnt lgkmcnt(0)
	buffer_gl0_inv
	ds_load_b64 v[4:5], v23 offset:240
	ds_load_b64 v[2:3], v17 offset:24
	s_waitcnt lgkmcnt(1)
	v_cmp_neq_f64_e32 vcc_lo, 0, v[4:5]
	v_cndmask_b32_e32 v5, 0x3ff00000, v5, vcc_lo
	v_cndmask_b32_e32 v4, 0, v4, vcc_lo
	s_or_b32 s20, vcc_lo, s0
	s_delay_alu instid0(SALU_CYCLE_1) | instskip(NEXT) | instid1(SALU_CYCLE_1)
	s_xor_b32 s21, s20, -1
	s_and_saveexec_b32 s20, s21
	s_cbranch_execz .LBB28_50
; %bb.47:                               ;   in Loop: Header=BB28_12 Depth=1
	v_mbcnt_lo_u32_b32 v4, exec_lo, 0
	s_mov_b32 s21, exec_lo
	s_delay_alu instid0(VALU_DEP_1)
	v_cmpx_eq_u32_e32 0, v4
	s_cbranch_execz .LBB28_49
; %bb.48:                               ;   in Loop: Header=BB28_12 Depth=1
	v_mov_b32_e32 v4, s3
	global_atomic_min_i32 v23, v4, s[10:11]
.LBB28_49:                              ;   in Loop: Header=BB28_12 Depth=1
	s_or_b32 exec_lo, exec_lo, s21
	v_mov_b32_e32 v4, 0
	v_mov_b32_e32 v5, 0x3ff00000
.LBB28_50:                              ;   in Loop: Header=BB28_12 Depth=1
	s_or_b32 exec_lo, exec_lo, s20
	ds_load_2addr_b64 v[24:27], v17 offset1:1
	ds_load_2addr_b64 v[28:31], v23 offset0:27 offset1:28
	ds_load_b64 v[6:7], v18 offset:24
	s_waitcnt lgkmcnt(0)
	v_fma_f64 v[6:7], v[28:29], v[24:25], v[6:7]
	s_delay_alu instid0(VALU_DEP_1) | instskip(SKIP_4) | instid1(VALU_DEP_1)
	v_fma_f64 v[6:7], v[30:31], v[26:27], v[6:7]
	ds_load_b64 v[24:25], v17 offset:16
	ds_load_b64 v[26:27], v23 offset:232
	s_waitcnt lgkmcnt(0)
	v_fma_f64 v[6:7], v[26:27], v[24:25], v[6:7]
	v_add_f64 v[2:3], v[2:3], -v[6:7]
	s_delay_alu instid0(VALU_DEP_1) | instskip(SKIP_1) | instid1(VALU_DEP_2)
	v_div_scale_f64 v[6:7], null, v[4:5], v[4:5], v[2:3]
	v_div_scale_f64 v[28:29], vcc_lo, v[2:3], v[4:5], v[2:3]
	v_rcp_f64_e32 v[24:25], v[6:7]
	s_waitcnt_depctr 0xfff
	v_fma_f64 v[26:27], -v[6:7], v[24:25], 1.0
	s_delay_alu instid0(VALU_DEP_1) | instskip(NEXT) | instid1(VALU_DEP_1)
	v_fma_f64 v[24:25], v[24:25], v[26:27], v[24:25]
	v_fma_f64 v[26:27], -v[6:7], v[24:25], 1.0
	s_delay_alu instid0(VALU_DEP_1) | instskip(NEXT) | instid1(VALU_DEP_1)
	v_fma_f64 v[24:25], v[24:25], v[26:27], v[24:25]
	v_mul_f64 v[26:27], v[28:29], v[24:25]
	s_delay_alu instid0(VALU_DEP_1) | instskip(NEXT) | instid1(VALU_DEP_1)
	v_fma_f64 v[6:7], -v[6:7], v[26:27], v[28:29]
	v_div_fmas_f64 v[6:7], v[6:7], v[24:25], v[26:27]
	s_delay_alu instid0(VALU_DEP_1)
	v_div_fixup_f64 v[2:3], v[6:7], v[4:5], v[2:3]
	ds_store_b64 v17, v[2:3] offset:24
	s_waitcnt lgkmcnt(0)
	s_waitcnt_vscnt null, 0x0
	buffer_gl0_inv
	ds_load_b64 v[4:5], v21 offset:24
	ds_load_b64 v[6:7], v11
	s_waitcnt lgkmcnt(0)
	v_fma_f64 v[2:3], v[2:3], v[4:5], v[6:7]
	ds_store_b64 v11, v[2:3]
	s_waitcnt lgkmcnt(0)
	buffer_gl0_inv
	ds_load_b64 v[4:5], v23 offset:320
	ds_load_b64 v[2:3], v17 offset:32
	s_waitcnt lgkmcnt(1)
	v_cmp_neq_f64_e32 vcc_lo, 0, v[4:5]
	v_cndmask_b32_e32 v5, 0x3ff00000, v5, vcc_lo
	v_cndmask_b32_e32 v4, 0, v4, vcc_lo
	s_or_b32 s20, vcc_lo, s0
	s_delay_alu instid0(SALU_CYCLE_1) | instskip(NEXT) | instid1(SALU_CYCLE_1)
	s_xor_b32 s21, s20, -1
	s_and_saveexec_b32 s20, s21
	s_cbranch_execz .LBB28_54
; %bb.51:                               ;   in Loop: Header=BB28_12 Depth=1
	v_mbcnt_lo_u32_b32 v4, exec_lo, 0
	s_mov_b32 s21, exec_lo
	s_delay_alu instid0(VALU_DEP_1)
	v_cmpx_eq_u32_e32 0, v4
	s_cbranch_execz .LBB28_53
; %bb.52:                               ;   in Loop: Header=BB28_12 Depth=1
	v_mov_b32_e32 v4, s3
	global_atomic_min_i32 v23, v4, s[10:11]
.LBB28_53:                              ;   in Loop: Header=BB28_12 Depth=1
	s_or_b32 exec_lo, exec_lo, s21
	v_mov_b32_e32 v4, 0
	v_mov_b32_e32 v5, 0x3ff00000
.LBB28_54:                              ;   in Loop: Header=BB28_12 Depth=1
	s_or_b32 exec_lo, exec_lo, s20
	ds_load_2addr_b64 v[24:27], v17 offset1:1
	ds_load_b128 v[28:31], v23 offset:288
	ds_load_b64 v[6:7], v18 offset:32
	s_waitcnt lgkmcnt(0)
	v_fma_f64 v[6:7], v[28:29], v[24:25], v[6:7]
	s_delay_alu instid0(VALU_DEP_1) | instskip(SKIP_4) | instid1(VALU_DEP_1)
	v_fma_f64 v[6:7], v[30:31], v[26:27], v[6:7]
	ds_load_2addr_b64 v[24:27], v17 offset0:2 offset1:3
	ds_load_b128 v[28:31], v23 offset:304
	s_waitcnt lgkmcnt(0)
	v_fma_f64 v[6:7], v[28:29], v[24:25], v[6:7]
	v_fma_f64 v[6:7], v[30:31], v[26:27], v[6:7]
	s_delay_alu instid0(VALU_DEP_1) | instskip(NEXT) | instid1(VALU_DEP_1)
	v_add_f64 v[2:3], v[2:3], -v[6:7]
	v_div_scale_f64 v[6:7], null, v[4:5], v[4:5], v[2:3]
	v_div_scale_f64 v[28:29], vcc_lo, v[2:3], v[4:5], v[2:3]
	s_delay_alu instid0(VALU_DEP_2) | instskip(SKIP_2) | instid1(VALU_DEP_1)
	v_rcp_f64_e32 v[24:25], v[6:7]
	s_waitcnt_depctr 0xfff
	v_fma_f64 v[26:27], -v[6:7], v[24:25], 1.0
	v_fma_f64 v[24:25], v[24:25], v[26:27], v[24:25]
	s_delay_alu instid0(VALU_DEP_1) | instskip(NEXT) | instid1(VALU_DEP_1)
	v_fma_f64 v[26:27], -v[6:7], v[24:25], 1.0
	v_fma_f64 v[24:25], v[24:25], v[26:27], v[24:25]
	s_delay_alu instid0(VALU_DEP_1) | instskip(NEXT) | instid1(VALU_DEP_1)
	v_mul_f64 v[26:27], v[28:29], v[24:25]
	v_fma_f64 v[6:7], -v[6:7], v[26:27], v[28:29]
	s_delay_alu instid0(VALU_DEP_1) | instskip(NEXT) | instid1(VALU_DEP_1)
	v_div_fmas_f64 v[6:7], v[6:7], v[24:25], v[26:27]
	v_div_fixup_f64 v[2:3], v[6:7], v[4:5], v[2:3]
	ds_store_b64 v17, v[2:3] offset:32
	s_waitcnt lgkmcnt(0)
	s_waitcnt_vscnt null, 0x0
	buffer_gl0_inv
	ds_load_b64 v[4:5], v21 offset:32
	ds_load_b64 v[6:7], v11
	s_waitcnt lgkmcnt(0)
	v_fma_f64 v[2:3], v[2:3], v[4:5], v[6:7]
	ds_store_b64 v11, v[2:3]
	s_waitcnt lgkmcnt(0)
	buffer_gl0_inv
	ds_load_b64 v[4:5], v23 offset:400
	ds_load_b64 v[2:3], v17 offset:40
	s_waitcnt lgkmcnt(1)
	v_cmp_neq_f64_e32 vcc_lo, 0, v[4:5]
	v_cndmask_b32_e32 v5, 0x3ff00000, v5, vcc_lo
	v_cndmask_b32_e32 v4, 0, v4, vcc_lo
	s_or_b32 s20, vcc_lo, s0
	s_delay_alu instid0(SALU_CYCLE_1) | instskip(NEXT) | instid1(SALU_CYCLE_1)
	s_xor_b32 s21, s20, -1
	s_and_saveexec_b32 s20, s21
	s_cbranch_execz .LBB28_58
; %bb.55:                               ;   in Loop: Header=BB28_12 Depth=1
	v_mbcnt_lo_u32_b32 v4, exec_lo, 0
	s_mov_b32 s21, exec_lo
	s_delay_alu instid0(VALU_DEP_1)
	v_cmpx_eq_u32_e32 0, v4
	s_cbranch_execz .LBB28_57
; %bb.56:                               ;   in Loop: Header=BB28_12 Depth=1
	v_mov_b32_e32 v4, s3
	global_atomic_min_i32 v23, v4, s[10:11]
.LBB28_57:                              ;   in Loop: Header=BB28_12 Depth=1
	s_or_b32 exec_lo, exec_lo, s21
	v_mov_b32_e32 v4, 0
	v_mov_b32_e32 v5, 0x3ff00000
.LBB28_58:                              ;   in Loop: Header=BB28_12 Depth=1
	s_or_b32 exec_lo, exec_lo, s20
	ds_load_2addr_b64 v[24:27], v23 offset0:45 offset1:46
	ds_load_2addr_b64 v[28:31], v17 offset1:1
	ds_load_b64 v[6:7], v18 offset:40
	s_waitcnt lgkmcnt(0)
	v_fma_f64 v[6:7], v[24:25], v[28:29], v[6:7]
	s_delay_alu instid0(VALU_DEP_1) | instskip(SKIP_4) | instid1(VALU_DEP_1)
	v_fma_f64 v[6:7], v[26:27], v[30:31], v[6:7]
	ds_load_2addr_b64 v[24:27], v23 offset0:47 offset1:48
	ds_load_2addr_b64 v[28:31], v17 offset0:2 offset1:3
	s_waitcnt lgkmcnt(0)
	v_fma_f64 v[6:7], v[24:25], v[28:29], v[6:7]
	v_fma_f64 v[6:7], v[26:27], v[30:31], v[6:7]
	ds_load_b64 v[24:25], v17 offset:32
	ds_load_b64 v[26:27], v23 offset:392
	s_waitcnt lgkmcnt(0)
	v_fma_f64 v[6:7], v[26:27], v[24:25], v[6:7]
	s_delay_alu instid0(VALU_DEP_1) | instskip(NEXT) | instid1(VALU_DEP_1)
	v_add_f64 v[2:3], v[2:3], -v[6:7]
	v_div_scale_f64 v[6:7], null, v[4:5], v[4:5], v[2:3]
	v_div_scale_f64 v[28:29], vcc_lo, v[2:3], v[4:5], v[2:3]
	s_delay_alu instid0(VALU_DEP_2) | instskip(SKIP_2) | instid1(VALU_DEP_1)
	v_rcp_f64_e32 v[24:25], v[6:7]
	s_waitcnt_depctr 0xfff
	v_fma_f64 v[26:27], -v[6:7], v[24:25], 1.0
	v_fma_f64 v[24:25], v[24:25], v[26:27], v[24:25]
	s_delay_alu instid0(VALU_DEP_1) | instskip(NEXT) | instid1(VALU_DEP_1)
	v_fma_f64 v[26:27], -v[6:7], v[24:25], 1.0
	v_fma_f64 v[24:25], v[24:25], v[26:27], v[24:25]
	s_delay_alu instid0(VALU_DEP_1) | instskip(NEXT) | instid1(VALU_DEP_1)
	v_mul_f64 v[26:27], v[28:29], v[24:25]
	v_fma_f64 v[6:7], -v[6:7], v[26:27], v[28:29]
	s_delay_alu instid0(VALU_DEP_1) | instskip(NEXT) | instid1(VALU_DEP_1)
	v_div_fmas_f64 v[6:7], v[6:7], v[24:25], v[26:27]
	v_div_fixup_f64 v[2:3], v[6:7], v[4:5], v[2:3]
	ds_store_b64 v17, v[2:3] offset:40
	s_waitcnt lgkmcnt(0)
	s_waitcnt_vscnt null, 0x0
	buffer_gl0_inv
	ds_load_b64 v[4:5], v21 offset:40
	ds_load_b64 v[6:7], v11
	s_waitcnt lgkmcnt(0)
	v_fma_f64 v[2:3], v[2:3], v[4:5], v[6:7]
	ds_store_b64 v11, v[2:3]
	s_waitcnt lgkmcnt(0)
	buffer_gl0_inv
	ds_load_b64 v[4:5], v23 offset:480
	ds_load_b64 v[2:3], v17 offset:48
	s_waitcnt lgkmcnt(1)
	v_cmp_neq_f64_e32 vcc_lo, 0, v[4:5]
	v_cndmask_b32_e32 v5, 0x3ff00000, v5, vcc_lo
	v_cndmask_b32_e32 v4, 0, v4, vcc_lo
	s_or_b32 s20, vcc_lo, s0
	s_delay_alu instid0(SALU_CYCLE_1) | instskip(NEXT) | instid1(SALU_CYCLE_1)
	s_xor_b32 s21, s20, -1
	s_and_saveexec_b32 s20, s21
	s_cbranch_execz .LBB28_62
; %bb.59:                               ;   in Loop: Header=BB28_12 Depth=1
	v_mbcnt_lo_u32_b32 v4, exec_lo, 0
	s_mov_b32 s21, exec_lo
	s_delay_alu instid0(VALU_DEP_1)
	v_cmpx_eq_u32_e32 0, v4
	s_cbranch_execz .LBB28_61
; %bb.60:                               ;   in Loop: Header=BB28_12 Depth=1
	v_mov_b32_e32 v4, s3
	global_atomic_min_i32 v23, v4, s[10:11]
.LBB28_61:                              ;   in Loop: Header=BB28_12 Depth=1
	s_or_b32 exec_lo, exec_lo, s21
	v_mov_b32_e32 v4, 0
	v_mov_b32_e32 v5, 0x3ff00000
.LBB28_62:                              ;   in Loop: Header=BB28_12 Depth=1
	s_or_b32 exec_lo, exec_lo, s20
	ds_load_2addr_b64 v[24:27], v17 offset1:1
	ds_load_b64 v[6:7], v18 offset:48
	ds_load_b128 v[28:31], v23 offset:432
	ds_load_b128 v[32:35], v23 offset:448
	s_waitcnt lgkmcnt(1)
	v_fma_f64 v[6:7], v[28:29], v[24:25], v[6:7]
	s_delay_alu instid0(VALU_DEP_1) | instskip(SKIP_3) | instid1(VALU_DEP_1)
	v_fma_f64 v[6:7], v[30:31], v[26:27], v[6:7]
	ds_load_2addr_b64 v[24:27], v17 offset0:2 offset1:3
	s_waitcnt lgkmcnt(0)
	v_fma_f64 v[6:7], v[32:33], v[24:25], v[6:7]
	v_fma_f64 v[6:7], v[34:35], v[26:27], v[6:7]
	ds_load_2addr_b64 v[24:27], v17 offset0:4 offset1:5
	ds_load_b128 v[28:31], v23 offset:464
	s_waitcnt lgkmcnt(0)
	v_fma_f64 v[6:7], v[28:29], v[24:25], v[6:7]
	s_delay_alu instid0(VALU_DEP_1) | instskip(NEXT) | instid1(VALU_DEP_1)
	v_fma_f64 v[6:7], v[30:31], v[26:27], v[6:7]
	v_add_f64 v[2:3], v[2:3], -v[6:7]
	s_delay_alu instid0(VALU_DEP_1) | instskip(SKIP_1) | instid1(VALU_DEP_2)
	v_div_scale_f64 v[6:7], null, v[4:5], v[4:5], v[2:3]
	v_div_scale_f64 v[28:29], vcc_lo, v[2:3], v[4:5], v[2:3]
	v_rcp_f64_e32 v[24:25], v[6:7]
	s_waitcnt_depctr 0xfff
	v_fma_f64 v[26:27], -v[6:7], v[24:25], 1.0
	s_delay_alu instid0(VALU_DEP_1) | instskip(NEXT) | instid1(VALU_DEP_1)
	v_fma_f64 v[24:25], v[24:25], v[26:27], v[24:25]
	v_fma_f64 v[26:27], -v[6:7], v[24:25], 1.0
	s_delay_alu instid0(VALU_DEP_1) | instskip(NEXT) | instid1(VALU_DEP_1)
	v_fma_f64 v[24:25], v[24:25], v[26:27], v[24:25]
	v_mul_f64 v[26:27], v[28:29], v[24:25]
	s_delay_alu instid0(VALU_DEP_1) | instskip(NEXT) | instid1(VALU_DEP_1)
	v_fma_f64 v[6:7], -v[6:7], v[26:27], v[28:29]
	v_div_fmas_f64 v[6:7], v[6:7], v[24:25], v[26:27]
	s_delay_alu instid0(VALU_DEP_1)
	v_div_fixup_f64 v[2:3], v[6:7], v[4:5], v[2:3]
	ds_store_b64 v17, v[2:3] offset:48
	s_waitcnt lgkmcnt(0)
	s_waitcnt_vscnt null, 0x0
	buffer_gl0_inv
	ds_load_b64 v[4:5], v21 offset:48
	ds_load_b64 v[6:7], v11
	s_waitcnt lgkmcnt(0)
	v_fma_f64 v[2:3], v[2:3], v[4:5], v[6:7]
	ds_store_b64 v11, v[2:3]
	s_waitcnt lgkmcnt(0)
	buffer_gl0_inv
	ds_load_b64 v[4:5], v23 offset:560
	ds_load_b64 v[2:3], v17 offset:56
	s_waitcnt lgkmcnt(1)
	v_cmp_neq_f64_e32 vcc_lo, 0, v[4:5]
	v_cndmask_b32_e32 v5, 0x3ff00000, v5, vcc_lo
	v_cndmask_b32_e32 v4, 0, v4, vcc_lo
	s_or_b32 s20, vcc_lo, s0
	s_delay_alu instid0(SALU_CYCLE_1) | instskip(NEXT) | instid1(SALU_CYCLE_1)
	s_xor_b32 s21, s20, -1
	s_and_saveexec_b32 s20, s21
	s_cbranch_execz .LBB28_10
; %bb.63:                               ;   in Loop: Header=BB28_12 Depth=1
	v_mbcnt_lo_u32_b32 v4, exec_lo, 0
	s_mov_b32 s21, exec_lo
	s_delay_alu instid0(VALU_DEP_1)
	v_cmpx_eq_u32_e32 0, v4
	s_cbranch_execz .LBB28_9
; %bb.64:                               ;   in Loop: Header=BB28_12 Depth=1
	v_mov_b32_e32 v4, s3
	global_atomic_min_i32 v23, v4, s[10:11]
	s_branch .LBB28_9
.LBB28_65:
	s_waitcnt lgkmcnt(0)
	s_cmp_eq_u32 s1, 0
	s_mov_b32 s1, exec_lo
	s_cselect_b32 vcc_lo, -1, 0
	v_cndmask_b32_e32 v0, v16, v13, vcc_lo
	s_delay_alu instid0(VALU_DEP_1) | instskip(NEXT) | instid1(VALU_DEP_1)
	v_lshl_add_u32 v0, s26, 6, v0
	v_ashrrev_i32_e32 v1, 31, v0
	s_delay_alu instid0(VALU_DEP_1) | instskip(NEXT) | instid1(VALU_DEP_1)
	v_lshlrev_b64 v[0:1], 3, v[0:1]
	v_add_co_u32 v0, vcc_lo, s18, v0
	s_delay_alu instid0(VALU_DEP_2)
	v_add_co_ci_u32_e32 v1, vcc_lo, s19, v1, vcc_lo
	v_cmp_ne_u32_e32 vcc_lo, 0, v9
	global_load_b64 v[2:3], v[0:1], off
	s_waitcnt vmcnt(0)
	ds_store_b64 v12, v[2:3] offset:1152
	s_waitcnt lgkmcnt(0)
	buffer_gl0_inv
	v_cmpx_eq_u32_e32 0, v9
	s_cbranch_execz .LBB28_67
; %bb.66:
	v_mov_b32_e32 v15, 0
	ds_load_2addr_b64 v[2:5], v15 offset0:144 offset1:216
	s_waitcnt lgkmcnt(0)
	v_add_f64 v[2:3], v[2:3], -v[4:5]
	s_delay_alu instid0(VALU_DEP_1) | instskip(SKIP_1) | instid1(VALU_DEP_1)
	v_cmp_gt_f64_e64 s0, 0, v[2:3]
	v_xor_b32_e32 v4, 0x80000000, v3
	v_cndmask_b32_e64 v3, v3, v4, s0
	v_cndmask_b32_e64 v2, v2, v2, s0
	s_delay_alu instid0(VALU_DEP_1) | instskip(NEXT) | instid1(VALU_DEP_1)
	v_cmp_gt_f64_e64 s0, 0x10000000, v[2:3]
	v_cndmask_b32_e64 v4, 0, 1, s0
	s_and_b32 s0, s0, exec_lo
	s_cselect_b32 s0, 0xffffff80, 0
	s_delay_alu instid0(VALU_DEP_1) | instskip(NEXT) | instid1(VALU_DEP_1)
	v_lshlrev_b32_e32 v4, 8, v4
	v_ldexp_f64 v[2:3], v[2:3], v4
	s_delay_alu instid0(VALU_DEP_1) | instskip(SKIP_3) | instid1(VALU_DEP_1)
	v_rsq_f64_e32 v[4:5], v[2:3]
	s_waitcnt_depctr 0xfff
	v_mul_f64 v[6:7], v[2:3], v[4:5]
	v_mul_f64 v[4:5], v[4:5], 0.5
	v_fma_f64 v[13:14], -v[4:5], v[6:7], 0.5
	s_delay_alu instid0(VALU_DEP_1) | instskip(SKIP_1) | instid1(VALU_DEP_2)
	v_fma_f64 v[6:7], v[6:7], v[13:14], v[6:7]
	v_fma_f64 v[4:5], v[4:5], v[13:14], v[4:5]
	v_fma_f64 v[13:14], -v[6:7], v[6:7], v[2:3]
	s_delay_alu instid0(VALU_DEP_1) | instskip(NEXT) | instid1(VALU_DEP_1)
	v_fma_f64 v[6:7], v[13:14], v[4:5], v[6:7]
	v_fma_f64 v[13:14], -v[6:7], v[6:7], v[2:3]
	s_delay_alu instid0(VALU_DEP_1) | instskip(NEXT) | instid1(VALU_DEP_1)
	v_fma_f64 v[4:5], v[13:14], v[4:5], v[6:7]
	v_ldexp_f64 v[4:5], v[4:5], s0
	v_cmp_class_f64_e64 s0, v[2:3], 0x260
	s_delay_alu instid0(VALU_DEP_1) | instskip(NEXT) | instid1(VALU_DEP_3)
	v_cndmask_b32_e64 v3, v5, v3, s0
	v_cndmask_b32_e64 v2, v4, v2, s0
	ds_store_b64 v15, v[2:3] offset:1152
.LBB28_67:
	s_or_b32 exec_lo, exec_lo, s1
	v_mov_b32_e32 v2, 0
	s_waitcnt lgkmcnt(0)
	buffer_gl0_inv
	v_cmp_ne_u32_e64 s0, 0, v10
	s_add_i32 s2, s16, s17
	ds_load_b64 v[2:3], v2 offset:1152
	s_waitcnt lgkmcnt(0)
	v_cmp_neq_f64_e64 s1, 0, v[2:3]
	s_delay_alu instid0(VALU_DEP_1) | instskip(SKIP_2) | instid1(SALU_CYCLE_1)
	v_cndmask_b32_e64 v3, 0x3ff00000, v3, s1
	v_cndmask_b32_e64 v2, 0, v2, s1
	s_or_b32 s1, s1, s0
	s_xor_b32 s1, s1, -1
	s_delay_alu instid0(SALU_CYCLE_1)
	s_and_saveexec_b32 s3, s1
	s_cbranch_execz .LBB28_71
; %bb.68:
	v_mbcnt_lo_u32_b32 v2, exec_lo, 0
	s_mov_b32 s4, exec_lo
	s_delay_alu instid0(VALU_DEP_1)
	v_cmpx_eq_u32_e32 0, v2
	s_cbranch_execz .LBB28_70
; %bb.69:
	v_dual_mov_b32 v2, 0 :: v_dual_mov_b32 v3, s2
	global_atomic_min_i32 v2, v3, s[10:11]
.LBB28_70:
	s_or_b32 exec_lo, exec_lo, s4
	v_mov_b32_e32 v2, 0
	v_mov_b32_e32 v3, 0x3ff00000
.LBB28_71:
	s_or_b32 exec_lo, exec_lo, s3
	s_and_saveexec_b32 s1, vcc_lo
	s_cbranch_execz .LBB28_73
; %bb.72:
	v_mul_u32_u24_e32 v19, 0x48, v9
	ds_load_2addr_b64 v[4:7], v19 offset0:144 offset1:216
	s_waitcnt lgkmcnt(0)
	v_add_f64 v[4:5], v[4:5], -v[6:7]
	s_delay_alu instid0(VALU_DEP_1) | instskip(SKIP_1) | instid1(VALU_DEP_2)
	v_div_scale_f64 v[6:7], null, v[2:3], v[2:3], v[4:5]
	v_div_scale_f64 v[17:18], vcc_lo, v[4:5], v[2:3], v[4:5]
	v_rcp_f64_e32 v[13:14], v[6:7]
	s_waitcnt_depctr 0xfff
	v_fma_f64 v[15:16], -v[6:7], v[13:14], 1.0
	s_delay_alu instid0(VALU_DEP_1) | instskip(NEXT) | instid1(VALU_DEP_1)
	v_fma_f64 v[13:14], v[13:14], v[15:16], v[13:14]
	v_fma_f64 v[15:16], -v[6:7], v[13:14], 1.0
	s_delay_alu instid0(VALU_DEP_1) | instskip(NEXT) | instid1(VALU_DEP_1)
	v_fma_f64 v[13:14], v[13:14], v[15:16], v[13:14]
	v_mul_f64 v[15:16], v[17:18], v[13:14]
	s_delay_alu instid0(VALU_DEP_1) | instskip(NEXT) | instid1(VALU_DEP_1)
	v_fma_f64 v[6:7], -v[6:7], v[15:16], v[17:18]
	v_div_fmas_f64 v[6:7], v[6:7], v[13:14], v[15:16]
	s_delay_alu instid0(VALU_DEP_1)
	v_div_fixup_f64 v[2:3], v[6:7], v[2:3], v[4:5]
	v_mul_u32_u24_e32 v4, 0x48, v8
	ds_store_b64 v19, v[2:3] offset:1152
	s_waitcnt lgkmcnt(0)
	s_waitcnt_vscnt null, 0x0
	buffer_gl0_inv
	ds_load_b64 v[4:5], v4 offset:1152
	ds_load_b64 v[6:7], v11
	s_waitcnt lgkmcnt(0)
	v_fma_f64 v[2:3], v[2:3], v[4:5], v[6:7]
	ds_store_b64 v11, v[2:3]
.LBB28_73:
	s_or_b32 exec_lo, exec_lo, s1
	s_delay_alu instid0(SALU_CYCLE_1)
	s_mov_b32 s1, exec_lo
	s_waitcnt lgkmcnt(0)
	s_waitcnt_vscnt null, 0x0
	buffer_gl0_inv
	v_cmpx_eq_u32_e32 1, v9
	s_cbranch_execz .LBB28_75
; %bb.74:
	v_mov_b32_e32 v15, 0
	ds_load_2addr_b64 v[2:5], v15 offset0:154 offset1:226
	s_waitcnt lgkmcnt(0)
	v_add_f64 v[2:3], v[2:3], -v[4:5]
	s_delay_alu instid0(VALU_DEP_1) | instskip(SKIP_1) | instid1(VALU_DEP_1)
	v_cmp_gt_f64_e32 vcc_lo, 0, v[2:3]
	v_xor_b32_e32 v4, 0x80000000, v3
	v_dual_cndmask_b32 v2, v2, v2 :: v_dual_cndmask_b32 v3, v3, v4
	s_delay_alu instid0(VALU_DEP_1) | instskip(SKIP_3) | instid1(VALU_DEP_1)
	v_cmp_gt_f64_e32 vcc_lo, 0x10000000, v[2:3]
	v_cndmask_b32_e64 v4, 0, 1, vcc_lo
	s_and_b32 s3, vcc_lo, exec_lo
	s_cselect_b32 s3, 0xffffff80, 0
	v_lshlrev_b32_e32 v4, 8, v4
	s_delay_alu instid0(VALU_DEP_1) | instskip(NEXT) | instid1(VALU_DEP_1)
	v_ldexp_f64 v[2:3], v[2:3], v4
	v_rsq_f64_e32 v[4:5], v[2:3]
	v_cmp_class_f64_e64 vcc_lo, v[2:3], 0x260
	s_waitcnt_depctr 0xfff
	v_mul_f64 v[6:7], v[2:3], v[4:5]
	v_mul_f64 v[4:5], v[4:5], 0.5
	s_delay_alu instid0(VALU_DEP_1) | instskip(NEXT) | instid1(VALU_DEP_1)
	v_fma_f64 v[13:14], -v[4:5], v[6:7], 0.5
	v_fma_f64 v[6:7], v[6:7], v[13:14], v[6:7]
	v_fma_f64 v[4:5], v[4:5], v[13:14], v[4:5]
	s_delay_alu instid0(VALU_DEP_2) | instskip(NEXT) | instid1(VALU_DEP_1)
	v_fma_f64 v[13:14], -v[6:7], v[6:7], v[2:3]
	v_fma_f64 v[6:7], v[13:14], v[4:5], v[6:7]
	s_delay_alu instid0(VALU_DEP_1) | instskip(NEXT) | instid1(VALU_DEP_1)
	v_fma_f64 v[13:14], -v[6:7], v[6:7], v[2:3]
	v_fma_f64 v[4:5], v[13:14], v[4:5], v[6:7]
	s_delay_alu instid0(VALU_DEP_1) | instskip(NEXT) | instid1(VALU_DEP_1)
	v_ldexp_f64 v[4:5], v[4:5], s3
	v_dual_cndmask_b32 v3, v5, v3 :: v_dual_cndmask_b32 v2, v4, v2
	ds_store_b64 v15, v[2:3] offset:1232
.LBB28_75:
	s_or_b32 exec_lo, exec_lo, s1
	v_mov_b32_e32 v2, 0
	s_waitcnt lgkmcnt(0)
	buffer_gl0_inv
	ds_load_b64 v[2:3], v2 offset:1232
	s_waitcnt lgkmcnt(0)
	v_cmp_neq_f64_e32 vcc_lo, 0, v[2:3]
	v_cndmask_b32_e32 v3, 0x3ff00000, v3, vcc_lo
	v_cndmask_b32_e32 v2, 0, v2, vcc_lo
	s_or_b32 s1, vcc_lo, s0
	s_delay_alu instid0(SALU_CYCLE_1) | instskip(NEXT) | instid1(SALU_CYCLE_1)
	s_xor_b32 s3, s1, -1
	s_and_saveexec_b32 s1, s3
	s_cbranch_execz .LBB28_79
; %bb.76:
	v_mbcnt_lo_u32_b32 v2, exec_lo, 0
	s_mov_b32 s3, exec_lo
	s_delay_alu instid0(VALU_DEP_1)
	v_cmpx_eq_u32_e32 0, v2
	s_cbranch_execz .LBB28_78
; %bb.77:
	v_dual_mov_b32 v2, 0 :: v_dual_mov_b32 v3, s2
	global_atomic_min_i32 v2, v3, s[10:11]
.LBB28_78:
	s_or_b32 exec_lo, exec_lo, s3
	v_mov_b32_e32 v2, 0
	v_mov_b32_e32 v3, 0x3ff00000
.LBB28_79:
	s_or_b32 exec_lo, exec_lo, s1
	s_delay_alu instid0(SALU_CYCLE_1)
	s_mov_b32 s1, exec_lo
	v_cmpx_lt_u32_e32 1, v9
	s_cbranch_execz .LBB28_81
; %bb.80:
	v_mul_u32_u24_e32 v19, 0x48, v9
	ds_load_2addr_b64 v[4:7], v19 offset0:145 offset1:217
	s_waitcnt lgkmcnt(0)
	v_add_f64 v[4:5], v[4:5], -v[6:7]
	s_delay_alu instid0(VALU_DEP_1) | instskip(SKIP_1) | instid1(VALU_DEP_2)
	v_div_scale_f64 v[6:7], null, v[2:3], v[2:3], v[4:5]
	v_div_scale_f64 v[17:18], vcc_lo, v[4:5], v[2:3], v[4:5]
	v_rcp_f64_e32 v[13:14], v[6:7]
	s_waitcnt_depctr 0xfff
	v_fma_f64 v[15:16], -v[6:7], v[13:14], 1.0
	s_delay_alu instid0(VALU_DEP_1) | instskip(NEXT) | instid1(VALU_DEP_1)
	v_fma_f64 v[13:14], v[13:14], v[15:16], v[13:14]
	v_fma_f64 v[15:16], -v[6:7], v[13:14], 1.0
	s_delay_alu instid0(VALU_DEP_1) | instskip(NEXT) | instid1(VALU_DEP_1)
	v_fma_f64 v[13:14], v[13:14], v[15:16], v[13:14]
	v_mul_f64 v[15:16], v[17:18], v[13:14]
	s_delay_alu instid0(VALU_DEP_1) | instskip(NEXT) | instid1(VALU_DEP_1)
	v_fma_f64 v[6:7], -v[6:7], v[15:16], v[17:18]
	v_div_fmas_f64 v[6:7], v[6:7], v[13:14], v[15:16]
	s_delay_alu instid0(VALU_DEP_1)
	v_div_fixup_f64 v[2:3], v[6:7], v[2:3], v[4:5]
	v_mul_u32_u24_e32 v4, 0x48, v8
	ds_store_b64 v19, v[2:3] offset:1160
	s_waitcnt lgkmcnt(0)
	s_waitcnt_vscnt null, 0x0
	buffer_gl0_inv
	ds_load_b64 v[4:5], v4 offset:1160
	ds_load_b64 v[6:7], v11
	s_waitcnt lgkmcnt(0)
	v_fma_f64 v[2:3], v[2:3], v[4:5], v[6:7]
	ds_store_b64 v11, v[2:3]
.LBB28_81:
	s_or_b32 exec_lo, exec_lo, s1
	s_delay_alu instid0(SALU_CYCLE_1)
	s_mov_b32 s1, exec_lo
	s_waitcnt lgkmcnt(0)
	s_waitcnt_vscnt null, 0x0
	buffer_gl0_inv
	v_cmpx_eq_u32_e32 2, v9
	s_cbranch_execz .LBB28_83
; %bb.82:
	v_mov_b32_e32 v15, 0
	ds_load_2addr_b64 v[2:5], v15 offset0:164 offset1:236
	s_waitcnt lgkmcnt(0)
	v_add_f64 v[2:3], v[2:3], -v[4:5]
	s_delay_alu instid0(VALU_DEP_1) | instskip(SKIP_1) | instid1(VALU_DEP_1)
	v_cmp_gt_f64_e32 vcc_lo, 0, v[2:3]
	v_xor_b32_e32 v4, 0x80000000, v3
	v_dual_cndmask_b32 v2, v2, v2 :: v_dual_cndmask_b32 v3, v3, v4
	s_delay_alu instid0(VALU_DEP_1) | instskip(SKIP_3) | instid1(VALU_DEP_1)
	v_cmp_gt_f64_e32 vcc_lo, 0x10000000, v[2:3]
	v_cndmask_b32_e64 v4, 0, 1, vcc_lo
	s_and_b32 s3, vcc_lo, exec_lo
	s_cselect_b32 s3, 0xffffff80, 0
	v_lshlrev_b32_e32 v4, 8, v4
	s_delay_alu instid0(VALU_DEP_1) | instskip(NEXT) | instid1(VALU_DEP_1)
	v_ldexp_f64 v[2:3], v[2:3], v4
	v_rsq_f64_e32 v[4:5], v[2:3]
	v_cmp_class_f64_e64 vcc_lo, v[2:3], 0x260
	s_waitcnt_depctr 0xfff
	v_mul_f64 v[6:7], v[2:3], v[4:5]
	v_mul_f64 v[4:5], v[4:5], 0.5
	s_delay_alu instid0(VALU_DEP_1) | instskip(NEXT) | instid1(VALU_DEP_1)
	v_fma_f64 v[13:14], -v[4:5], v[6:7], 0.5
	v_fma_f64 v[6:7], v[6:7], v[13:14], v[6:7]
	v_fma_f64 v[4:5], v[4:5], v[13:14], v[4:5]
	s_delay_alu instid0(VALU_DEP_2) | instskip(NEXT) | instid1(VALU_DEP_1)
	v_fma_f64 v[13:14], -v[6:7], v[6:7], v[2:3]
	v_fma_f64 v[6:7], v[13:14], v[4:5], v[6:7]
	s_delay_alu instid0(VALU_DEP_1) | instskip(NEXT) | instid1(VALU_DEP_1)
	v_fma_f64 v[13:14], -v[6:7], v[6:7], v[2:3]
	v_fma_f64 v[4:5], v[13:14], v[4:5], v[6:7]
	s_delay_alu instid0(VALU_DEP_1) | instskip(NEXT) | instid1(VALU_DEP_1)
	v_ldexp_f64 v[4:5], v[4:5], s3
	v_dual_cndmask_b32 v3, v5, v3 :: v_dual_cndmask_b32 v2, v4, v2
	ds_store_b64 v15, v[2:3] offset:1312
.LBB28_83:
	s_or_b32 exec_lo, exec_lo, s1
	v_mov_b32_e32 v2, 0
	s_waitcnt lgkmcnt(0)
	buffer_gl0_inv
	ds_load_b64 v[2:3], v2 offset:1312
	s_waitcnt lgkmcnt(0)
	v_cmp_neq_f64_e32 vcc_lo, 0, v[2:3]
	v_cndmask_b32_e32 v3, 0x3ff00000, v3, vcc_lo
	v_cndmask_b32_e32 v2, 0, v2, vcc_lo
	s_or_b32 s1, vcc_lo, s0
	s_delay_alu instid0(SALU_CYCLE_1) | instskip(NEXT) | instid1(SALU_CYCLE_1)
	s_xor_b32 s3, s1, -1
	s_and_saveexec_b32 s1, s3
	s_cbranch_execz .LBB28_87
; %bb.84:
	v_mbcnt_lo_u32_b32 v2, exec_lo, 0
	s_mov_b32 s3, exec_lo
	s_delay_alu instid0(VALU_DEP_1)
	v_cmpx_eq_u32_e32 0, v2
	s_cbranch_execz .LBB28_86
; %bb.85:
	v_dual_mov_b32 v2, 0 :: v_dual_mov_b32 v3, s2
	global_atomic_min_i32 v2, v3, s[10:11]
.LBB28_86:
	s_or_b32 exec_lo, exec_lo, s3
	v_mov_b32_e32 v2, 0
	v_mov_b32_e32 v3, 0x3ff00000
.LBB28_87:
	s_or_b32 exec_lo, exec_lo, s1
	s_delay_alu instid0(SALU_CYCLE_1)
	s_mov_b32 s1, exec_lo
	v_cmpx_lt_u32_e32 2, v9
	s_cbranch_execz .LBB28_89
; %bb.88:
	v_mul_u32_u24_e32 v19, 0x48, v9
	ds_load_2addr_b64 v[4:7], v19 offset0:146 offset1:218
	s_waitcnt lgkmcnt(0)
	v_add_f64 v[4:5], v[4:5], -v[6:7]
	s_delay_alu instid0(VALU_DEP_1) | instskip(SKIP_1) | instid1(VALU_DEP_2)
	v_div_scale_f64 v[6:7], null, v[2:3], v[2:3], v[4:5]
	v_div_scale_f64 v[17:18], vcc_lo, v[4:5], v[2:3], v[4:5]
	v_rcp_f64_e32 v[13:14], v[6:7]
	s_waitcnt_depctr 0xfff
	v_fma_f64 v[15:16], -v[6:7], v[13:14], 1.0
	s_delay_alu instid0(VALU_DEP_1) | instskip(NEXT) | instid1(VALU_DEP_1)
	v_fma_f64 v[13:14], v[13:14], v[15:16], v[13:14]
	v_fma_f64 v[15:16], -v[6:7], v[13:14], 1.0
	s_delay_alu instid0(VALU_DEP_1) | instskip(NEXT) | instid1(VALU_DEP_1)
	v_fma_f64 v[13:14], v[13:14], v[15:16], v[13:14]
	v_mul_f64 v[15:16], v[17:18], v[13:14]
	s_delay_alu instid0(VALU_DEP_1) | instskip(NEXT) | instid1(VALU_DEP_1)
	v_fma_f64 v[6:7], -v[6:7], v[15:16], v[17:18]
	v_div_fmas_f64 v[6:7], v[6:7], v[13:14], v[15:16]
	s_delay_alu instid0(VALU_DEP_1)
	v_div_fixup_f64 v[2:3], v[6:7], v[2:3], v[4:5]
	v_mul_u32_u24_e32 v4, 0x48, v8
	ds_store_b64 v19, v[2:3] offset:1168
	s_waitcnt lgkmcnt(0)
	s_waitcnt_vscnt null, 0x0
	buffer_gl0_inv
	ds_load_b64 v[4:5], v4 offset:1168
	ds_load_b64 v[6:7], v11
	s_waitcnt lgkmcnt(0)
	v_fma_f64 v[2:3], v[2:3], v[4:5], v[6:7]
	ds_store_b64 v11, v[2:3]
.LBB28_89:
	s_or_b32 exec_lo, exec_lo, s1
	s_delay_alu instid0(SALU_CYCLE_1)
	s_mov_b32 s1, exec_lo
	s_waitcnt lgkmcnt(0)
	s_waitcnt_vscnt null, 0x0
	buffer_gl0_inv
	v_cmpx_eq_u32_e32 3, v9
	s_cbranch_execz .LBB28_91
; %bb.90:
	v_mov_b32_e32 v15, 0
	ds_load_2addr_b64 v[2:5], v15 offset0:174 offset1:246
	s_waitcnt lgkmcnt(0)
	v_add_f64 v[2:3], v[2:3], -v[4:5]
	s_delay_alu instid0(VALU_DEP_1) | instskip(SKIP_1) | instid1(VALU_DEP_1)
	v_cmp_gt_f64_e32 vcc_lo, 0, v[2:3]
	v_xor_b32_e32 v4, 0x80000000, v3
	v_dual_cndmask_b32 v2, v2, v2 :: v_dual_cndmask_b32 v3, v3, v4
	s_delay_alu instid0(VALU_DEP_1) | instskip(SKIP_3) | instid1(VALU_DEP_1)
	v_cmp_gt_f64_e32 vcc_lo, 0x10000000, v[2:3]
	v_cndmask_b32_e64 v4, 0, 1, vcc_lo
	s_and_b32 s3, vcc_lo, exec_lo
	s_cselect_b32 s3, 0xffffff80, 0
	v_lshlrev_b32_e32 v4, 8, v4
	s_delay_alu instid0(VALU_DEP_1) | instskip(NEXT) | instid1(VALU_DEP_1)
	v_ldexp_f64 v[2:3], v[2:3], v4
	v_rsq_f64_e32 v[4:5], v[2:3]
	v_cmp_class_f64_e64 vcc_lo, v[2:3], 0x260
	s_waitcnt_depctr 0xfff
	v_mul_f64 v[6:7], v[2:3], v[4:5]
	v_mul_f64 v[4:5], v[4:5], 0.5
	s_delay_alu instid0(VALU_DEP_1) | instskip(NEXT) | instid1(VALU_DEP_1)
	v_fma_f64 v[13:14], -v[4:5], v[6:7], 0.5
	v_fma_f64 v[6:7], v[6:7], v[13:14], v[6:7]
	v_fma_f64 v[4:5], v[4:5], v[13:14], v[4:5]
	s_delay_alu instid0(VALU_DEP_2) | instskip(NEXT) | instid1(VALU_DEP_1)
	v_fma_f64 v[13:14], -v[6:7], v[6:7], v[2:3]
	v_fma_f64 v[6:7], v[13:14], v[4:5], v[6:7]
	s_delay_alu instid0(VALU_DEP_1) | instskip(NEXT) | instid1(VALU_DEP_1)
	v_fma_f64 v[13:14], -v[6:7], v[6:7], v[2:3]
	v_fma_f64 v[4:5], v[13:14], v[4:5], v[6:7]
	s_delay_alu instid0(VALU_DEP_1) | instskip(NEXT) | instid1(VALU_DEP_1)
	v_ldexp_f64 v[4:5], v[4:5], s3
	v_dual_cndmask_b32 v3, v5, v3 :: v_dual_cndmask_b32 v2, v4, v2
	ds_store_b64 v15, v[2:3] offset:1392
.LBB28_91:
	s_or_b32 exec_lo, exec_lo, s1
	v_mov_b32_e32 v2, 0
	s_waitcnt lgkmcnt(0)
	buffer_gl0_inv
	ds_load_b64 v[2:3], v2 offset:1392
	s_waitcnt lgkmcnt(0)
	v_cmp_neq_f64_e32 vcc_lo, 0, v[2:3]
	v_cndmask_b32_e32 v3, 0x3ff00000, v3, vcc_lo
	v_cndmask_b32_e32 v2, 0, v2, vcc_lo
	s_or_b32 s1, vcc_lo, s0
	s_delay_alu instid0(SALU_CYCLE_1) | instskip(NEXT) | instid1(SALU_CYCLE_1)
	s_xor_b32 s3, s1, -1
	s_and_saveexec_b32 s1, s3
	s_cbranch_execz .LBB28_95
; %bb.92:
	v_mbcnt_lo_u32_b32 v2, exec_lo, 0
	s_mov_b32 s3, exec_lo
	s_delay_alu instid0(VALU_DEP_1)
	v_cmpx_eq_u32_e32 0, v2
	s_cbranch_execz .LBB28_94
; %bb.93:
	v_dual_mov_b32 v2, 0 :: v_dual_mov_b32 v3, s2
	global_atomic_min_i32 v2, v3, s[10:11]
.LBB28_94:
	s_or_b32 exec_lo, exec_lo, s3
	v_mov_b32_e32 v2, 0
	v_mov_b32_e32 v3, 0x3ff00000
.LBB28_95:
	s_or_b32 exec_lo, exec_lo, s1
	s_delay_alu instid0(SALU_CYCLE_1)
	s_mov_b32 s1, exec_lo
	v_cmpx_lt_u32_e32 3, v9
	s_cbranch_execz .LBB28_97
; %bb.96:
	v_mul_u32_u24_e32 v19, 0x48, v9
	ds_load_2addr_b64 v[4:7], v19 offset0:147 offset1:219
	s_waitcnt lgkmcnt(0)
	v_add_f64 v[4:5], v[4:5], -v[6:7]
	s_delay_alu instid0(VALU_DEP_1) | instskip(SKIP_1) | instid1(VALU_DEP_2)
	v_div_scale_f64 v[6:7], null, v[2:3], v[2:3], v[4:5]
	v_div_scale_f64 v[17:18], vcc_lo, v[4:5], v[2:3], v[4:5]
	v_rcp_f64_e32 v[13:14], v[6:7]
	s_waitcnt_depctr 0xfff
	v_fma_f64 v[15:16], -v[6:7], v[13:14], 1.0
	s_delay_alu instid0(VALU_DEP_1) | instskip(NEXT) | instid1(VALU_DEP_1)
	v_fma_f64 v[13:14], v[13:14], v[15:16], v[13:14]
	v_fma_f64 v[15:16], -v[6:7], v[13:14], 1.0
	s_delay_alu instid0(VALU_DEP_1) | instskip(NEXT) | instid1(VALU_DEP_1)
	v_fma_f64 v[13:14], v[13:14], v[15:16], v[13:14]
	v_mul_f64 v[15:16], v[17:18], v[13:14]
	s_delay_alu instid0(VALU_DEP_1) | instskip(NEXT) | instid1(VALU_DEP_1)
	v_fma_f64 v[6:7], -v[6:7], v[15:16], v[17:18]
	v_div_fmas_f64 v[6:7], v[6:7], v[13:14], v[15:16]
	s_delay_alu instid0(VALU_DEP_1)
	v_div_fixup_f64 v[2:3], v[6:7], v[2:3], v[4:5]
	v_mul_u32_u24_e32 v4, 0x48, v8
	ds_store_b64 v19, v[2:3] offset:1176
	s_waitcnt lgkmcnt(0)
	s_waitcnt_vscnt null, 0x0
	buffer_gl0_inv
	ds_load_b64 v[4:5], v4 offset:1176
	ds_load_b64 v[6:7], v11
	s_waitcnt lgkmcnt(0)
	v_fma_f64 v[2:3], v[2:3], v[4:5], v[6:7]
	ds_store_b64 v11, v[2:3]
.LBB28_97:
	s_or_b32 exec_lo, exec_lo, s1
	s_delay_alu instid0(SALU_CYCLE_1)
	s_mov_b32 s1, exec_lo
	s_waitcnt lgkmcnt(0)
	s_waitcnt_vscnt null, 0x0
	buffer_gl0_inv
	v_cmpx_eq_u32_e32 4, v9
	s_cbranch_execz .LBB28_99
; %bb.98:
	v_add_nc_u32_e64 v2, 0x400, 0
	ds_load_2addr_b64 v[2:5], v2 offset0:56 offset1:128
	s_waitcnt lgkmcnt(0)
	v_add_f64 v[2:3], v[2:3], -v[4:5]
	s_delay_alu instid0(VALU_DEP_1) | instskip(SKIP_1) | instid1(VALU_DEP_1)
	v_cmp_gt_f64_e32 vcc_lo, 0, v[2:3]
	v_xor_b32_e32 v4, 0x80000000, v3
	v_dual_cndmask_b32 v3, v3, v4 :: v_dual_cndmask_b32 v2, v2, v2
	s_delay_alu instid0(VALU_DEP_1) | instskip(SKIP_3) | instid1(VALU_DEP_1)
	v_cmp_gt_f64_e32 vcc_lo, 0x10000000, v[2:3]
	v_cndmask_b32_e64 v4, 0, 1, vcc_lo
	s_and_b32 s3, vcc_lo, exec_lo
	s_cselect_b32 s3, 0xffffff80, 0
	v_lshlrev_b32_e32 v4, 8, v4
	s_delay_alu instid0(VALU_DEP_1) | instskip(NEXT) | instid1(VALU_DEP_1)
	v_ldexp_f64 v[2:3], v[2:3], v4
	v_rsq_f64_e32 v[4:5], v[2:3]
	v_cmp_class_f64_e64 vcc_lo, v[2:3], 0x260
	s_waitcnt_depctr 0xfff
	v_mul_f64 v[6:7], v[2:3], v[4:5]
	v_mul_f64 v[4:5], v[4:5], 0.5
	s_delay_alu instid0(VALU_DEP_1) | instskip(NEXT) | instid1(VALU_DEP_1)
	v_fma_f64 v[13:14], -v[4:5], v[6:7], 0.5
	v_fma_f64 v[6:7], v[6:7], v[13:14], v[6:7]
	v_fma_f64 v[4:5], v[4:5], v[13:14], v[4:5]
	s_delay_alu instid0(VALU_DEP_2) | instskip(NEXT) | instid1(VALU_DEP_1)
	v_fma_f64 v[13:14], -v[6:7], v[6:7], v[2:3]
	v_fma_f64 v[6:7], v[13:14], v[4:5], v[6:7]
	s_delay_alu instid0(VALU_DEP_1) | instskip(NEXT) | instid1(VALU_DEP_1)
	v_fma_f64 v[13:14], -v[6:7], v[6:7], v[2:3]
	v_fma_f64 v[4:5], v[13:14], v[4:5], v[6:7]
	v_mov_b32_e32 v6, 0
	s_delay_alu instid0(VALU_DEP_2) | instskip(NEXT) | instid1(VALU_DEP_1)
	v_ldexp_f64 v[4:5], v[4:5], s3
	v_dual_cndmask_b32 v3, v5, v3 :: v_dual_cndmask_b32 v2, v4, v2
	ds_store_b64 v6, v[2:3] offset:1472
.LBB28_99:
	s_or_b32 exec_lo, exec_lo, s1
	v_mov_b32_e32 v2, 0
	s_waitcnt lgkmcnt(0)
	buffer_gl0_inv
	ds_load_b64 v[2:3], v2 offset:1472
	s_waitcnt lgkmcnt(0)
	v_cmp_neq_f64_e32 vcc_lo, 0, v[2:3]
	v_cndmask_b32_e32 v3, 0x3ff00000, v3, vcc_lo
	v_cndmask_b32_e32 v2, 0, v2, vcc_lo
	s_or_b32 s1, vcc_lo, s0
	s_delay_alu instid0(SALU_CYCLE_1) | instskip(NEXT) | instid1(SALU_CYCLE_1)
	s_xor_b32 s3, s1, -1
	s_and_saveexec_b32 s1, s3
	s_cbranch_execz .LBB28_103
; %bb.100:
	v_mbcnt_lo_u32_b32 v2, exec_lo, 0
	s_mov_b32 s3, exec_lo
	s_delay_alu instid0(VALU_DEP_1)
	v_cmpx_eq_u32_e32 0, v2
	s_cbranch_execz .LBB28_102
; %bb.101:
	v_dual_mov_b32 v2, 0 :: v_dual_mov_b32 v3, s2
	global_atomic_min_i32 v2, v3, s[10:11]
.LBB28_102:
	s_or_b32 exec_lo, exec_lo, s3
	v_mov_b32_e32 v2, 0
	v_mov_b32_e32 v3, 0x3ff00000
.LBB28_103:
	s_or_b32 exec_lo, exec_lo, s1
	s_delay_alu instid0(SALU_CYCLE_1)
	s_mov_b32 s1, exec_lo
	v_cmpx_lt_u32_e32 4, v9
	s_cbranch_execz .LBB28_105
; %bb.104:
	v_mul_u32_u24_e32 v19, 0x48, v9
	ds_load_2addr_b64 v[4:7], v19 offset0:148 offset1:220
	s_waitcnt lgkmcnt(0)
	v_add_f64 v[4:5], v[4:5], -v[6:7]
	s_delay_alu instid0(VALU_DEP_1) | instskip(SKIP_1) | instid1(VALU_DEP_2)
	v_div_scale_f64 v[6:7], null, v[2:3], v[2:3], v[4:5]
	v_div_scale_f64 v[17:18], vcc_lo, v[4:5], v[2:3], v[4:5]
	v_rcp_f64_e32 v[13:14], v[6:7]
	s_waitcnt_depctr 0xfff
	v_fma_f64 v[15:16], -v[6:7], v[13:14], 1.0
	s_delay_alu instid0(VALU_DEP_1) | instskip(NEXT) | instid1(VALU_DEP_1)
	v_fma_f64 v[13:14], v[13:14], v[15:16], v[13:14]
	v_fma_f64 v[15:16], -v[6:7], v[13:14], 1.0
	s_delay_alu instid0(VALU_DEP_1) | instskip(NEXT) | instid1(VALU_DEP_1)
	v_fma_f64 v[13:14], v[13:14], v[15:16], v[13:14]
	v_mul_f64 v[15:16], v[17:18], v[13:14]
	s_delay_alu instid0(VALU_DEP_1) | instskip(NEXT) | instid1(VALU_DEP_1)
	v_fma_f64 v[6:7], -v[6:7], v[15:16], v[17:18]
	v_div_fmas_f64 v[6:7], v[6:7], v[13:14], v[15:16]
	s_delay_alu instid0(VALU_DEP_1)
	v_div_fixup_f64 v[2:3], v[6:7], v[2:3], v[4:5]
	v_mul_u32_u24_e32 v4, 0x48, v8
	ds_store_b64 v19, v[2:3] offset:1184
	s_waitcnt lgkmcnt(0)
	s_waitcnt_vscnt null, 0x0
	buffer_gl0_inv
	ds_load_b64 v[4:5], v4 offset:1184
	ds_load_b64 v[6:7], v11
	s_waitcnt lgkmcnt(0)
	v_fma_f64 v[2:3], v[2:3], v[4:5], v[6:7]
	ds_store_b64 v11, v[2:3]
.LBB28_105:
	s_or_b32 exec_lo, exec_lo, s1
	s_delay_alu instid0(SALU_CYCLE_1)
	s_mov_b32 s1, exec_lo
	s_waitcnt lgkmcnt(0)
	s_waitcnt_vscnt null, 0x0
	buffer_gl0_inv
	v_cmpx_eq_u32_e32 5, v9
	s_cbranch_execz .LBB28_107
; %bb.106:
	v_add_nc_u32_e64 v2, 0x400, 0
	ds_load_2addr_b64 v[2:5], v2 offset0:66 offset1:138
	s_waitcnt lgkmcnt(0)
	v_add_f64 v[2:3], v[2:3], -v[4:5]
	s_delay_alu instid0(VALU_DEP_1) | instskip(SKIP_1) | instid1(VALU_DEP_1)
	v_cmp_gt_f64_e32 vcc_lo, 0, v[2:3]
	v_xor_b32_e32 v4, 0x80000000, v3
	v_dual_cndmask_b32 v3, v3, v4 :: v_dual_cndmask_b32 v2, v2, v2
	s_delay_alu instid0(VALU_DEP_1) | instskip(SKIP_3) | instid1(VALU_DEP_1)
	v_cmp_gt_f64_e32 vcc_lo, 0x10000000, v[2:3]
	v_cndmask_b32_e64 v4, 0, 1, vcc_lo
	s_and_b32 s3, vcc_lo, exec_lo
	s_cselect_b32 s3, 0xffffff80, 0
	v_lshlrev_b32_e32 v4, 8, v4
	s_delay_alu instid0(VALU_DEP_1) | instskip(NEXT) | instid1(VALU_DEP_1)
	v_ldexp_f64 v[2:3], v[2:3], v4
	v_rsq_f64_e32 v[4:5], v[2:3]
	v_cmp_class_f64_e64 vcc_lo, v[2:3], 0x260
	s_waitcnt_depctr 0xfff
	v_mul_f64 v[6:7], v[2:3], v[4:5]
	v_mul_f64 v[4:5], v[4:5], 0.5
	s_delay_alu instid0(VALU_DEP_1) | instskip(NEXT) | instid1(VALU_DEP_1)
	v_fma_f64 v[13:14], -v[4:5], v[6:7], 0.5
	v_fma_f64 v[6:7], v[6:7], v[13:14], v[6:7]
	v_fma_f64 v[4:5], v[4:5], v[13:14], v[4:5]
	s_delay_alu instid0(VALU_DEP_2) | instskip(NEXT) | instid1(VALU_DEP_1)
	v_fma_f64 v[13:14], -v[6:7], v[6:7], v[2:3]
	v_fma_f64 v[6:7], v[13:14], v[4:5], v[6:7]
	s_delay_alu instid0(VALU_DEP_1) | instskip(NEXT) | instid1(VALU_DEP_1)
	v_fma_f64 v[13:14], -v[6:7], v[6:7], v[2:3]
	v_fma_f64 v[4:5], v[13:14], v[4:5], v[6:7]
	v_mov_b32_e32 v6, 0
	s_delay_alu instid0(VALU_DEP_2) | instskip(NEXT) | instid1(VALU_DEP_1)
	v_ldexp_f64 v[4:5], v[4:5], s3
	v_dual_cndmask_b32 v3, v5, v3 :: v_dual_cndmask_b32 v2, v4, v2
	ds_store_b64 v6, v[2:3] offset:1552
.LBB28_107:
	s_or_b32 exec_lo, exec_lo, s1
	v_mov_b32_e32 v2, 0
	s_waitcnt lgkmcnt(0)
	buffer_gl0_inv
	ds_load_b64 v[2:3], v2 offset:1552
	s_waitcnt lgkmcnt(0)
	v_cmp_neq_f64_e32 vcc_lo, 0, v[2:3]
	v_cndmask_b32_e32 v3, 0x3ff00000, v3, vcc_lo
	v_cndmask_b32_e32 v2, 0, v2, vcc_lo
	s_or_b32 s1, vcc_lo, s0
	s_delay_alu instid0(SALU_CYCLE_1) | instskip(NEXT) | instid1(SALU_CYCLE_1)
	s_xor_b32 s3, s1, -1
	s_and_saveexec_b32 s1, s3
	s_cbranch_execz .LBB28_111
; %bb.108:
	v_mbcnt_lo_u32_b32 v2, exec_lo, 0
	s_mov_b32 s3, exec_lo
	s_delay_alu instid0(VALU_DEP_1)
	v_cmpx_eq_u32_e32 0, v2
	s_cbranch_execz .LBB28_110
; %bb.109:
	v_dual_mov_b32 v2, 0 :: v_dual_mov_b32 v3, s2
	global_atomic_min_i32 v2, v3, s[10:11]
.LBB28_110:
	s_or_b32 exec_lo, exec_lo, s3
	v_mov_b32_e32 v2, 0
	v_mov_b32_e32 v3, 0x3ff00000
.LBB28_111:
	s_or_b32 exec_lo, exec_lo, s1
	s_delay_alu instid0(SALU_CYCLE_1)
	s_mov_b32 s1, exec_lo
	v_cmpx_lt_u32_e32 5, v9
	s_cbranch_execz .LBB28_113
; %bb.112:
	v_mul_u32_u24_e32 v19, 0x48, v9
	ds_load_2addr_b64 v[4:7], v19 offset0:149 offset1:221
	s_waitcnt lgkmcnt(0)
	v_add_f64 v[4:5], v[4:5], -v[6:7]
	s_delay_alu instid0(VALU_DEP_1) | instskip(SKIP_1) | instid1(VALU_DEP_2)
	v_div_scale_f64 v[6:7], null, v[2:3], v[2:3], v[4:5]
	v_div_scale_f64 v[17:18], vcc_lo, v[4:5], v[2:3], v[4:5]
	v_rcp_f64_e32 v[13:14], v[6:7]
	s_waitcnt_depctr 0xfff
	v_fma_f64 v[15:16], -v[6:7], v[13:14], 1.0
	s_delay_alu instid0(VALU_DEP_1) | instskip(NEXT) | instid1(VALU_DEP_1)
	v_fma_f64 v[13:14], v[13:14], v[15:16], v[13:14]
	v_fma_f64 v[15:16], -v[6:7], v[13:14], 1.0
	s_delay_alu instid0(VALU_DEP_1) | instskip(NEXT) | instid1(VALU_DEP_1)
	v_fma_f64 v[13:14], v[13:14], v[15:16], v[13:14]
	v_mul_f64 v[15:16], v[17:18], v[13:14]
	s_delay_alu instid0(VALU_DEP_1) | instskip(NEXT) | instid1(VALU_DEP_1)
	v_fma_f64 v[6:7], -v[6:7], v[15:16], v[17:18]
	v_div_fmas_f64 v[6:7], v[6:7], v[13:14], v[15:16]
	s_delay_alu instid0(VALU_DEP_1)
	v_div_fixup_f64 v[2:3], v[6:7], v[2:3], v[4:5]
	v_mul_u32_u24_e32 v4, 0x48, v8
	ds_store_b64 v19, v[2:3] offset:1192
	s_waitcnt lgkmcnt(0)
	s_waitcnt_vscnt null, 0x0
	buffer_gl0_inv
	ds_load_b64 v[4:5], v4 offset:1192
	ds_load_b64 v[6:7], v11
	s_waitcnt lgkmcnt(0)
	v_fma_f64 v[2:3], v[2:3], v[4:5], v[6:7]
	ds_store_b64 v11, v[2:3]
.LBB28_113:
	s_or_b32 exec_lo, exec_lo, s1
	s_delay_alu instid0(SALU_CYCLE_1)
	s_mov_b32 s1, exec_lo
	s_waitcnt lgkmcnt(0)
	s_waitcnt_vscnt null, 0x0
	buffer_gl0_inv
	v_cmpx_eq_u32_e32 6, v9
	s_cbranch_execz .LBB28_115
; %bb.114:
	v_add_nc_u32_e64 v2, 0x400, 0
	ds_load_2addr_b64 v[2:5], v2 offset0:76 offset1:148
	s_waitcnt lgkmcnt(0)
	v_add_f64 v[2:3], v[2:3], -v[4:5]
	s_delay_alu instid0(VALU_DEP_1) | instskip(SKIP_1) | instid1(VALU_DEP_1)
	v_cmp_gt_f64_e32 vcc_lo, 0, v[2:3]
	v_xor_b32_e32 v4, 0x80000000, v3
	v_dual_cndmask_b32 v3, v3, v4 :: v_dual_cndmask_b32 v2, v2, v2
	s_delay_alu instid0(VALU_DEP_1) | instskip(SKIP_3) | instid1(VALU_DEP_1)
	v_cmp_gt_f64_e32 vcc_lo, 0x10000000, v[2:3]
	v_cndmask_b32_e64 v4, 0, 1, vcc_lo
	s_and_b32 s3, vcc_lo, exec_lo
	s_cselect_b32 s3, 0xffffff80, 0
	v_lshlrev_b32_e32 v4, 8, v4
	s_delay_alu instid0(VALU_DEP_1) | instskip(NEXT) | instid1(VALU_DEP_1)
	v_ldexp_f64 v[2:3], v[2:3], v4
	v_rsq_f64_e32 v[4:5], v[2:3]
	v_cmp_class_f64_e64 vcc_lo, v[2:3], 0x260
	s_waitcnt_depctr 0xfff
	v_mul_f64 v[6:7], v[2:3], v[4:5]
	v_mul_f64 v[4:5], v[4:5], 0.5
	s_delay_alu instid0(VALU_DEP_1) | instskip(NEXT) | instid1(VALU_DEP_1)
	v_fma_f64 v[13:14], -v[4:5], v[6:7], 0.5
	v_fma_f64 v[6:7], v[6:7], v[13:14], v[6:7]
	v_fma_f64 v[4:5], v[4:5], v[13:14], v[4:5]
	s_delay_alu instid0(VALU_DEP_2) | instskip(NEXT) | instid1(VALU_DEP_1)
	v_fma_f64 v[13:14], -v[6:7], v[6:7], v[2:3]
	v_fma_f64 v[6:7], v[13:14], v[4:5], v[6:7]
	s_delay_alu instid0(VALU_DEP_1) | instskip(NEXT) | instid1(VALU_DEP_1)
	v_fma_f64 v[13:14], -v[6:7], v[6:7], v[2:3]
	v_fma_f64 v[4:5], v[13:14], v[4:5], v[6:7]
	v_mov_b32_e32 v6, 0
	s_delay_alu instid0(VALU_DEP_2) | instskip(NEXT) | instid1(VALU_DEP_1)
	v_ldexp_f64 v[4:5], v[4:5], s3
	v_dual_cndmask_b32 v3, v5, v3 :: v_dual_cndmask_b32 v2, v4, v2
	ds_store_b64 v6, v[2:3] offset:1632
.LBB28_115:
	s_or_b32 exec_lo, exec_lo, s1
	v_mov_b32_e32 v2, 0
	s_waitcnt lgkmcnt(0)
	buffer_gl0_inv
	ds_load_b64 v[2:3], v2 offset:1632
	s_waitcnt lgkmcnt(0)
	v_cmp_neq_f64_e32 vcc_lo, 0, v[2:3]
	v_cndmask_b32_e32 v3, 0x3ff00000, v3, vcc_lo
	v_cndmask_b32_e32 v2, 0, v2, vcc_lo
	s_or_b32 s1, vcc_lo, s0
	s_delay_alu instid0(SALU_CYCLE_1) | instskip(NEXT) | instid1(SALU_CYCLE_1)
	s_xor_b32 s3, s1, -1
	s_and_saveexec_b32 s1, s3
	s_cbranch_execz .LBB28_119
; %bb.116:
	v_mbcnt_lo_u32_b32 v2, exec_lo, 0
	s_mov_b32 s3, exec_lo
	s_delay_alu instid0(VALU_DEP_1)
	v_cmpx_eq_u32_e32 0, v2
	s_cbranch_execz .LBB28_118
; %bb.117:
	v_dual_mov_b32 v2, 0 :: v_dual_mov_b32 v3, s2
	global_atomic_min_i32 v2, v3, s[10:11]
.LBB28_118:
	s_or_b32 exec_lo, exec_lo, s3
	v_mov_b32_e32 v2, 0
	v_mov_b32_e32 v3, 0x3ff00000
.LBB28_119:
	s_or_b32 exec_lo, exec_lo, s1
	s_delay_alu instid0(SALU_CYCLE_1)
	s_mov_b32 s1, exec_lo
	v_cmpx_lt_u32_e32 6, v9
	s_cbranch_execz .LBB28_121
; %bb.120:
	v_mul_u32_u24_e32 v19, 0x48, v9
	ds_load_2addr_b64 v[4:7], v19 offset0:150 offset1:222
	s_waitcnt lgkmcnt(0)
	v_add_f64 v[4:5], v[4:5], -v[6:7]
	s_delay_alu instid0(VALU_DEP_1) | instskip(SKIP_1) | instid1(VALU_DEP_2)
	v_div_scale_f64 v[6:7], null, v[2:3], v[2:3], v[4:5]
	v_div_scale_f64 v[17:18], vcc_lo, v[4:5], v[2:3], v[4:5]
	v_rcp_f64_e32 v[13:14], v[6:7]
	s_waitcnt_depctr 0xfff
	v_fma_f64 v[15:16], -v[6:7], v[13:14], 1.0
	s_delay_alu instid0(VALU_DEP_1) | instskip(NEXT) | instid1(VALU_DEP_1)
	v_fma_f64 v[13:14], v[13:14], v[15:16], v[13:14]
	v_fma_f64 v[15:16], -v[6:7], v[13:14], 1.0
	s_delay_alu instid0(VALU_DEP_1) | instskip(NEXT) | instid1(VALU_DEP_1)
	v_fma_f64 v[13:14], v[13:14], v[15:16], v[13:14]
	v_mul_f64 v[15:16], v[17:18], v[13:14]
	s_delay_alu instid0(VALU_DEP_1) | instskip(NEXT) | instid1(VALU_DEP_1)
	v_fma_f64 v[6:7], -v[6:7], v[15:16], v[17:18]
	v_div_fmas_f64 v[6:7], v[6:7], v[13:14], v[15:16]
	s_delay_alu instid0(VALU_DEP_1)
	v_div_fixup_f64 v[2:3], v[6:7], v[2:3], v[4:5]
	v_mul_u32_u24_e32 v4, 0x48, v8
	ds_store_b64 v19, v[2:3] offset:1200
	s_waitcnt lgkmcnt(0)
	s_waitcnt_vscnt null, 0x0
	buffer_gl0_inv
	ds_load_b64 v[4:5], v4 offset:1200
	ds_load_b64 v[6:7], v11
	s_waitcnt lgkmcnt(0)
	v_fma_f64 v[2:3], v[2:3], v[4:5], v[6:7]
	ds_store_b64 v11, v[2:3]
.LBB28_121:
	s_or_b32 exec_lo, exec_lo, s1
	s_delay_alu instid0(SALU_CYCLE_1)
	s_mov_b32 s1, exec_lo
	s_waitcnt lgkmcnt(0)
	s_waitcnt_vscnt null, 0x0
	buffer_gl0_inv
	v_cmpx_eq_u32_e32 7, v9
	s_cbranch_execz .LBB28_123
; %bb.122:
	v_add_nc_u32_e64 v2, 0x400, 0
	ds_load_2addr_b64 v[2:5], v2 offset0:86 offset1:158
	s_waitcnt lgkmcnt(0)
	v_add_f64 v[2:3], v[2:3], -v[4:5]
	s_delay_alu instid0(VALU_DEP_1) | instskip(SKIP_1) | instid1(VALU_DEP_1)
	v_cmp_gt_f64_e32 vcc_lo, 0, v[2:3]
	v_xor_b32_e32 v4, 0x80000000, v3
	v_dual_cndmask_b32 v3, v3, v4 :: v_dual_cndmask_b32 v2, v2, v2
	s_delay_alu instid0(VALU_DEP_1) | instskip(SKIP_3) | instid1(VALU_DEP_1)
	v_cmp_gt_f64_e32 vcc_lo, 0x10000000, v[2:3]
	v_cndmask_b32_e64 v4, 0, 1, vcc_lo
	s_and_b32 s3, vcc_lo, exec_lo
	s_cselect_b32 s3, 0xffffff80, 0
	v_lshlrev_b32_e32 v4, 8, v4
	s_delay_alu instid0(VALU_DEP_1) | instskip(NEXT) | instid1(VALU_DEP_1)
	v_ldexp_f64 v[2:3], v[2:3], v4
	v_rsq_f64_e32 v[4:5], v[2:3]
	v_cmp_class_f64_e64 vcc_lo, v[2:3], 0x260
	s_waitcnt_depctr 0xfff
	v_mul_f64 v[6:7], v[2:3], v[4:5]
	v_mul_f64 v[4:5], v[4:5], 0.5
	s_delay_alu instid0(VALU_DEP_1) | instskip(NEXT) | instid1(VALU_DEP_1)
	v_fma_f64 v[13:14], -v[4:5], v[6:7], 0.5
	v_fma_f64 v[6:7], v[6:7], v[13:14], v[6:7]
	v_fma_f64 v[4:5], v[4:5], v[13:14], v[4:5]
	s_delay_alu instid0(VALU_DEP_2) | instskip(NEXT) | instid1(VALU_DEP_1)
	v_fma_f64 v[13:14], -v[6:7], v[6:7], v[2:3]
	v_fma_f64 v[6:7], v[13:14], v[4:5], v[6:7]
	s_delay_alu instid0(VALU_DEP_1) | instskip(NEXT) | instid1(VALU_DEP_1)
	v_fma_f64 v[13:14], -v[6:7], v[6:7], v[2:3]
	v_fma_f64 v[4:5], v[13:14], v[4:5], v[6:7]
	v_mov_b32_e32 v6, 0
	s_delay_alu instid0(VALU_DEP_2) | instskip(NEXT) | instid1(VALU_DEP_1)
	v_ldexp_f64 v[4:5], v[4:5], s3
	v_dual_cndmask_b32 v3, v5, v3 :: v_dual_cndmask_b32 v2, v4, v2
	ds_store_b64 v6, v[2:3] offset:1712
.LBB28_123:
	s_or_b32 exec_lo, exec_lo, s1
	v_mov_b32_e32 v2, 0
	s_waitcnt lgkmcnt(0)
	buffer_gl0_inv
	ds_load_b64 v[2:3], v2 offset:1712
	s_waitcnt lgkmcnt(0)
	v_cmp_neq_f64_e32 vcc_lo, 0, v[2:3]
	v_cndmask_b32_e32 v3, 0x3ff00000, v3, vcc_lo
	v_cndmask_b32_e32 v2, 0, v2, vcc_lo
	s_or_b32 s0, vcc_lo, s0
	s_delay_alu instid0(SALU_CYCLE_1) | instskip(NEXT) | instid1(SALU_CYCLE_1)
	s_xor_b32 s1, s0, -1
	s_and_saveexec_b32 s0, s1
	s_cbranch_execz .LBB28_127
; %bb.124:
	v_mbcnt_lo_u32_b32 v2, exec_lo, 0
	s_mov_b32 s1, exec_lo
	s_delay_alu instid0(VALU_DEP_1)
	v_cmpx_eq_u32_e32 0, v2
	s_cbranch_execz .LBB28_126
; %bb.125:
	v_dual_mov_b32 v2, 0 :: v_dual_mov_b32 v3, s2
	global_atomic_min_i32 v2, v3, s[10:11]
.LBB28_126:
	s_or_b32 exec_lo, exec_lo, s1
	v_mov_b32_e32 v2, 0
	v_mov_b32_e32 v3, 0x3ff00000
.LBB28_127:
	s_or_b32 exec_lo, exec_lo, s0
	v_add_nc_u32_e32 v4, 0x480, v12
	s_mov_b32 s0, exec_lo
	v_cmpx_lt_u32_e32 7, v9
	s_cbranch_execz .LBB28_129
; %bb.128:
	v_mul_u32_u24_e32 v7, 0x48, v9
	ds_load_2addr_b64 v[12:15], v7 offset0:151 offset1:223
	s_waitcnt lgkmcnt(0)
	v_add_f64 v[5:6], v[12:13], -v[14:15]
	s_delay_alu instid0(VALU_DEP_1) | instskip(SKIP_1) | instid1(VALU_DEP_2)
	v_div_scale_f64 v[12:13], null, v[2:3], v[2:3], v[5:6]
	v_div_scale_f64 v[18:19], vcc_lo, v[5:6], v[2:3], v[5:6]
	v_rcp_f64_e32 v[14:15], v[12:13]
	s_waitcnt_depctr 0xfff
	v_fma_f64 v[16:17], -v[12:13], v[14:15], 1.0
	s_delay_alu instid0(VALU_DEP_1) | instskip(NEXT) | instid1(VALU_DEP_1)
	v_fma_f64 v[14:15], v[14:15], v[16:17], v[14:15]
	v_fma_f64 v[16:17], -v[12:13], v[14:15], 1.0
	s_delay_alu instid0(VALU_DEP_1) | instskip(NEXT) | instid1(VALU_DEP_1)
	v_fma_f64 v[14:15], v[14:15], v[16:17], v[14:15]
	v_mul_f64 v[16:17], v[18:19], v[14:15]
	s_delay_alu instid0(VALU_DEP_1) | instskip(NEXT) | instid1(VALU_DEP_1)
	v_fma_f64 v[12:13], -v[12:13], v[16:17], v[18:19]
	v_div_fmas_f64 v[12:13], v[12:13], v[14:15], v[16:17]
	s_delay_alu instid0(VALU_DEP_1)
	v_div_fixup_f64 v[2:3], v[12:13], v[2:3], v[5:6]
	v_mul_u32_u24_e32 v5, 0x48, v8
	ds_store_b64 v7, v[2:3] offset:1208
	s_waitcnt lgkmcnt(0)
	s_waitcnt_vscnt null, 0x0
	buffer_gl0_inv
	ds_load_b64 v[5:6], v5 offset:1208
	ds_load_b64 v[12:13], v11
	s_waitcnt lgkmcnt(0)
	v_fma_f64 v[2:3], v[2:3], v[5:6], v[12:13]
	ds_store_b64 v11, v[2:3]
.LBB28_129:
	s_or_b32 exec_lo, exec_lo, s0
	s_waitcnt lgkmcnt(0)
	s_waitcnt_vscnt null, 0x0
	buffer_gl0_inv
	ds_load_b64 v[2:3], v4
	v_cmp_eq_u32_e64 s3, 0, v10
	s_waitcnt lgkmcnt(0)
	global_store_b64 v[0:1], v[2:3], off
	s_branch .LBB28_135
.LBB28_130:
	v_or_b32_e32 v0, v8, v9
	s_mov_b32 s0, exec_lo
	s_delay_alu instid0(VALU_DEP_1)
	v_cmpx_eq_u32_e32 0, v0
	s_cbranch_execz .LBB28_134
; %bb.131:
	v_mbcnt_lo_u32_b32 v0, exec_lo, 0
	s_mov_b32 s1, exec_lo
	s_delay_alu instid0(VALU_DEP_1)
	v_cmpx_eq_u32_e32 0, v0
	s_cbranch_execz .LBB28_133
; %bb.132:
	s_add_i32 s2, s16, s17
	s_delay_alu instid0(SALU_CYCLE_1)
	v_dual_mov_b32 v0, 0 :: v_dual_mov_b32 v1, s2
	global_atomic_min_i32 v0, v1, s[10:11]
.LBB28_133:
	s_or_b32 exec_lo, exec_lo, s1
	s_delay_alu instid0(SALU_CYCLE_1)
	s_or_b32 s3, s3, exec_lo
.LBB28_134:
	s_or_b32 exec_lo, exec_lo, s0
.LBB28_135:
	s_and_saveexec_b32 s0, s3
	s_cbranch_execnz .LBB28_137
; %bb.136:
	s_nop 0
	s_sendmsg sendmsg(MSG_DEALLOC_VGPRS)
	s_endpgm
.LBB28_137:
	v_dual_mov_b32 v0, 0 :: v_dual_mov_b32 v1, 1
	s_add_u32 s0, s6, s8
	s_addc_u32 s1, s7, s9
	s_waitcnt_vscnt null, 0x0
	global_store_b32 v0, v1, s[0:1]
	s_nop 0
	s_sendmsg sendmsg(MSG_DEALLOC_VGPRS)
	s_endpgm
	.section	.rodata,"a",@progbits
	.p2align	6, 0x0
	.amdhsa_kernel _ZN9rocsparseL26bsric0_2_8_unrolled_kernelILi64ELi32ELi8EdEEv20rocsparse_direction_iiPKiS3_PT2_S3_PiS3_S6_21rocsparse_index_base_
		.amdhsa_group_segment_fixed_size 2688
		.amdhsa_private_segment_fixed_size 0
		.amdhsa_kernarg_size 76
		.amdhsa_user_sgpr_count 15
		.amdhsa_user_sgpr_dispatch_ptr 0
		.amdhsa_user_sgpr_queue_ptr 0
		.amdhsa_user_sgpr_kernarg_segment_ptr 1
		.amdhsa_user_sgpr_dispatch_id 0
		.amdhsa_user_sgpr_private_segment_size 0
		.amdhsa_wavefront_size32 1
		.amdhsa_uses_dynamic_stack 0
		.amdhsa_enable_private_segment 0
		.amdhsa_system_sgpr_workgroup_id_x 1
		.amdhsa_system_sgpr_workgroup_id_y 0
		.amdhsa_system_sgpr_workgroup_id_z 0
		.amdhsa_system_sgpr_workgroup_info 0
		.amdhsa_system_vgpr_workitem_id 1
		.amdhsa_next_free_vgpr 55
		.amdhsa_next_free_sgpr 37
		.amdhsa_reserve_vcc 1
		.amdhsa_float_round_mode_32 0
		.amdhsa_float_round_mode_16_64 0
		.amdhsa_float_denorm_mode_32 3
		.amdhsa_float_denorm_mode_16_64 3
		.amdhsa_dx10_clamp 1
		.amdhsa_ieee_mode 1
		.amdhsa_fp16_overflow 0
		.amdhsa_workgroup_processor_mode 1
		.amdhsa_memory_ordered 1
		.amdhsa_forward_progress 0
		.amdhsa_shared_vgpr_count 0
		.amdhsa_exception_fp_ieee_invalid_op 0
		.amdhsa_exception_fp_denorm_src 0
		.amdhsa_exception_fp_ieee_div_zero 0
		.amdhsa_exception_fp_ieee_overflow 0
		.amdhsa_exception_fp_ieee_underflow 0
		.amdhsa_exception_fp_ieee_inexact 0
		.amdhsa_exception_int_div_zero 0
	.end_amdhsa_kernel
	.section	.text._ZN9rocsparseL26bsric0_2_8_unrolled_kernelILi64ELi32ELi8EdEEv20rocsparse_direction_iiPKiS3_PT2_S3_PiS3_S6_21rocsparse_index_base_,"axG",@progbits,_ZN9rocsparseL26bsric0_2_8_unrolled_kernelILi64ELi32ELi8EdEEv20rocsparse_direction_iiPKiS3_PT2_S3_PiS3_S6_21rocsparse_index_base_,comdat
.Lfunc_end28:
	.size	_ZN9rocsparseL26bsric0_2_8_unrolled_kernelILi64ELi32ELi8EdEEv20rocsparse_direction_iiPKiS3_PT2_S3_PiS3_S6_21rocsparse_index_base_, .Lfunc_end28-_ZN9rocsparseL26bsric0_2_8_unrolled_kernelILi64ELi32ELi8EdEEv20rocsparse_direction_iiPKiS3_PT2_S3_PiS3_S6_21rocsparse_index_base_
                                        ; -- End function
	.section	.AMDGPU.csdata,"",@progbits
; Kernel info:
; codeLenInByte = 10648
; NumSgprs: 39
; NumVgprs: 55
; ScratchSize: 0
; MemoryBound: 1
; FloatMode: 240
; IeeeMode: 1
; LDSByteSize: 2688 bytes/workgroup (compile time only)
; SGPRBlocks: 4
; VGPRBlocks: 6
; NumSGPRsForWavesPerEU: 39
; NumVGPRsForWavesPerEU: 55
; Occupancy: 16
; WaveLimiterHint : 1
; COMPUTE_PGM_RSRC2:SCRATCH_EN: 0
; COMPUTE_PGM_RSRC2:USER_SGPR: 15
; COMPUTE_PGM_RSRC2:TRAP_HANDLER: 0
; COMPUTE_PGM_RSRC2:TGID_X_EN: 1
; COMPUTE_PGM_RSRC2:TGID_Y_EN: 0
; COMPUTE_PGM_RSRC2:TGID_Z_EN: 0
; COMPUTE_PGM_RSRC2:TIDIG_COMP_CNT: 1
	.section	.text._ZN9rocsparseL18bsric0_9_16_kernelILi64ELi32ELi16EdEEv20rocsparse_direction_iiPKiS3_PT2_S3_PiS3_S6_21rocsparse_index_base_,"axG",@progbits,_ZN9rocsparseL18bsric0_9_16_kernelILi64ELi32ELi16EdEEv20rocsparse_direction_iiPKiS3_PT2_S3_PiS3_S6_21rocsparse_index_base_,comdat
	.globl	_ZN9rocsparseL18bsric0_9_16_kernelILi64ELi32ELi16EdEEv20rocsparse_direction_iiPKiS3_PT2_S3_PiS3_S6_21rocsparse_index_base_ ; -- Begin function _ZN9rocsparseL18bsric0_9_16_kernelILi64ELi32ELi16EdEEv20rocsparse_direction_iiPKiS3_PT2_S3_PiS3_S6_21rocsparse_index_base_
	.p2align	8
	.type	_ZN9rocsparseL18bsric0_9_16_kernelILi64ELi32ELi16EdEEv20rocsparse_direction_iiPKiS3_PT2_S3_PiS3_S6_21rocsparse_index_base_,@function
_ZN9rocsparseL18bsric0_9_16_kernelILi64ELi32ELi16EdEEv20rocsparse_direction_iiPKiS3_PT2_S3_PiS3_S6_21rocsparse_index_base_: ; @_ZN9rocsparseL18bsric0_9_16_kernelILi64ELi32ELi16EdEEv20rocsparse_direction_iiPKiS3_PT2_S3_PiS3_S6_21rocsparse_index_base_
; %bb.0:
	s_load_b256 s[4:11], s[0:1], 0x28
	s_mov_b32 s2, s15
	s_mov_b32 s3, 0
	v_and_b32_e32 v12, 0x3ff, v0
	s_lshl_b64 s[12:13], s[2:3], 2
	v_bfe_u32 v0, v0, 10, 10
	s_waitcnt lgkmcnt(0)
	s_add_u32 s8, s8, s12
	s_addc_u32 s9, s9, s13
	s_load_b32 s16, s[8:9], 0x0
	s_waitcnt lgkmcnt(0)
	s_ashr_i32 s17, s16, 31
	s_delay_alu instid0(SALU_CYCLE_1) | instskip(NEXT) | instid1(SALU_CYCLE_1)
	s_lshl_b64 s[8:9], s[16:17], 2
	s_add_u32 s12, s4, s8
	s_addc_u32 s13, s5, s9
	s_load_b32 s28, s[12:13], 0x0
	s_load_b32 s17, s[0:1], 0x48
	s_waitcnt lgkmcnt(0)
	s_cmp_lg_u32 s28, -1
	s_cbranch_scc0 .LBB29_131
; %bb.1:
	s_clause 0x1
	s_load_b128 s[12:15], s[0:1], 0x10
	s_load_b64 s[18:19], s[0:1], 0x20
	v_lshlrev_b32_e32 v1, 2, v0
	s_waitcnt lgkmcnt(0)
	s_add_u32 s2, s12, s8
	s_addc_u32 s3, s13, s9
	s_load_b32 s2, s[2:3], 0x0
	s_waitcnt lgkmcnt(0)
	s_sub_i32 s3, s2, s17
	s_mov_b32 s2, exec_lo
	v_add3_u32 v1, v1, v12, s3
	s_delay_alu instid0(VALU_DEP_1)
	v_cmpx_ge_i32_e64 s28, v1
	s_cbranch_execz .LBB29_4
; %bb.2:
	v_lshlrev_b32_e32 v2, 4, v0
	v_lshlrev_b32_e32 v3, 2, v12
	s_mov_b32 s20, 0
	s_delay_alu instid0(VALU_DEP_1)
	v_add3_u32 v3, v2, v3, 0x2300
	.p2align	6
.LBB29_3:                               ; =>This Inner Loop Header: Depth=1
	v_ashrrev_i32_e32 v2, 31, v1
	s_delay_alu instid0(VALU_DEP_1) | instskip(SKIP_1) | instid1(VALU_DEP_2)
	v_lshlrev_b64 v[4:5], 2, v[1:2]
	v_add_nc_u32_e32 v1, 64, v1
	v_add_co_u32 v4, vcc_lo, s14, v4
	s_delay_alu instid0(VALU_DEP_3) | instskip(NEXT) | instid1(VALU_DEP_3)
	v_add_co_ci_u32_e32 v5, vcc_lo, s15, v5, vcc_lo
	v_cmp_lt_i32_e32 vcc_lo, s28, v1
	global_load_b32 v2, v[4:5], off
	s_or_b32 s20, vcc_lo, s20
	s_waitcnt vmcnt(0)
	v_subrev_nc_u32_e32 v2, s17, v2
	ds_store_b32 v3, v2
	v_add_nc_u32_e32 v3, 0x100, v3
	s_and_not1_b32 exec_lo, exec_lo, s20
	s_cbranch_execnz .LBB29_3
.LBB29_4:
	s_or_b32 exec_lo, exec_lo, s2
	v_mul_u32_u24_e32 v13, 0x88, v0
	v_lshlrev_b32_e32 v14, 3, v12
	s_mov_b32 s2, exec_lo
	v_cmpx_gt_u32_e32 16, v12
	s_cbranch_execz .LBB29_7
; %bb.5:
	v_mov_b32_e32 v1, 0
	v_add_nc_u32_e32 v3, -4, v12
	v_add3_u32 v4, v13, v14, 0x1980
	s_mov_b32 s20, 0
	s_delay_alu instid0(VALU_DEP_3)
	v_mov_b32_e32 v2, v1
.LBB29_6:                               ; =>This Inner Loop Header: Depth=1
	s_delay_alu instid0(VALU_DEP_3) | instskip(SKIP_4) | instid1(SALU_CYCLE_1)
	v_add_nc_u32_e32 v3, 4, v3
	ds_store_b64 v4, v[1:2]
	v_add_nc_u32_e32 v4, 32, v4
	v_cmp_lt_u32_e32 vcc_lo, 11, v3
	s_or_b32 s20, vcc_lo, s20
	s_and_not1_b32 exec_lo, exec_lo, s20
	s_cbranch_execnz .LBB29_6
.LBB29_7:
	s_or_b32 exec_lo, exec_lo, s2
	s_clause 0x1
	s_load_b32 s29, s[0:1], 0x8
	s_load_b32 s30, s[0:1], 0x0
	s_cmp_ge_i32 s3, s28
	s_waitcnt lgkmcnt(0)
	buffer_gl0_inv
	v_cmp_gt_i32_e64 s0, s29, v12
	s_cbranch_scc1 .LBB29_92
; %bb.8:
	v_mad_u64_u32 v[1:2], null, s29, s3, v[0:1]
	v_or_b32_e32 v2, v12, v0
	v_mad_u32_u24 v15, 0x88, v0, v14
	v_mul_lo_u32 v16, v0, s29
	v_mul_lo_u32 v18, v12, s29
	s_movk_i32 s20, 0x1100
	s_cmp_lg_u32 s30, 0
	v_mul_lo_u32 v20, s29, v1
	v_cmp_gt_i32_e64 s1, s29, v0
	v_cmp_ne_u32_e64 s2, 0, v2
	v_add_nc_u32_e32 v17, 0x880, v15
	v_mad_u32_u24 v19, 0x88, v0, s20
	v_mad_u32_u24 v21, 0x88, v12, s20
	v_dual_mov_b32 v1, 0 :: v_dual_add_nc_u32 v22, 0x1980, v15
	v_add_nc_u32_e32 v23, 0x1100, v15
	s_cselect_b32 s31, -1, 0
	s_cmp_gt_i32 s29, 0
	s_mul_i32 s34, s29, s29
	s_cselect_b32 s33, -1, 0
	s_lshl_b32 s35, s29, 2
	s_mov_b32 s20, s3
	s_branch .LBB29_10
.LBB29_9:                               ;   in Loop: Header=BB29_10 Depth=1
	s_set_inst_prefetch_distance 0x2
	s_or_b32 exec_lo, exec_lo, s22
	s_add_i32 s20, s20, 1
	v_add_nc_u32_e32 v20, s34, v20
	s_cmp_ge_i32 s20, s28
	s_waitcnt_vscnt null, 0x0
	buffer_gl1_inv
	buffer_gl0_inv
	s_cselect_b32 s21, -1, 0
	s_delay_alu instid0(SALU_CYCLE_1)
	s_and_b32 vcc_lo, exec_lo, s21
	s_cbranch_vccnz .LBB29_92
.LBB29_10:                              ; =>This Loop Header: Depth=1
                                        ;     Child Loop BB29_14 Depth 2
                                        ;     Child Loop BB29_27 Depth 2
	;; [unrolled: 1-line block ×5, first 2 shown]
                                        ;       Child Loop BB29_59 Depth 3
                                        ;     Child Loop BB29_72 Depth 2
                                        ;       Child Loop BB29_78 Depth 3
                                        ;       Child Loop BB29_81 Depth 3
                                        ;     Child Loop BB29_86 Depth 2
	s_ashr_i32 s21, s20, 31
	s_delay_alu instid0(SALU_CYCLE_1) | instskip(NEXT) | instid1(SALU_CYCLE_1)
	s_lshl_b64 s[22:23], s[20:21], 2
	s_add_u32 s22, s14, s22
	s_addc_u32 s23, s15, s23
	s_load_b32 s36, s[22:23], 0x0
	s_waitcnt lgkmcnt(0)
	s_sub_i32 s24, s36, s17
	s_delay_alu instid0(SALU_CYCLE_1) | instskip(NEXT) | instid1(SALU_CYCLE_1)
	s_ashr_i32 s25, s24, 31
	s_lshl_b64 s[22:23], s[24:25], 2
	s_delay_alu instid0(SALU_CYCLE_1)
	s_add_u32 s26, s4, s22
	s_addc_u32 s27, s5, s23
	s_load_b32 s25, s[26:27], 0x0
	s_waitcnt lgkmcnt(0)
	s_cmp_eq_u32 s25, -1
	s_cbranch_scc1 .LBB29_91
; %bb.11:                               ;   in Loop: Header=BB29_10 Depth=1
	s_add_u32 s26, s12, s22
	s_addc_u32 s27, s13, s23
	s_mul_i32 s21, s20, s29
	s_load_b32 s37, s[26:27], 0x0
	s_and_saveexec_b32 s38, s0
	s_cbranch_execz .LBB29_24
; %bb.12:                               ;   in Loop: Header=BB29_10 Depth=1
	v_dual_mov_b32 v5, v17 :: v_dual_mov_b32 v6, v12
	s_mov_b32 s39, 0
	s_branch .LBB29_14
.LBB29_13:                              ;   in Loop: Header=BB29_14 Depth=2
	s_or_b32 exec_lo, exec_lo, s26
	v_add_nc_u32_e32 v6, 4, v6
	v_mov_b32_e32 v2, v1
	s_waitcnt vmcnt(0)
	ds_store_b64 v5, v[3:4] offset:2176
	ds_store_b64 v5, v[1:2]
	v_add_nc_u32_e32 v5, 32, v5
	v_cmp_le_i32_e32 vcc_lo, s29, v6
	s_or_b32 s39, vcc_lo, s39
	s_delay_alu instid0(SALU_CYCLE_1)
	s_and_not1_b32 exec_lo, exec_lo, s39
	s_cbranch_execz .LBB29_24
.LBB29_14:                              ;   Parent Loop BB29_10 Depth=1
                                        ; =>  This Inner Loop Header: Depth=2
	s_and_b32 vcc_lo, exec_lo, s31
	s_cbranch_vccz .LBB29_19
; %bb.15:                               ;   in Loop: Header=BB29_14 Depth=2
	s_mov_b32 s41, 0
	s_mov_b32 s40, 0
                                        ; implicit-def: $vgpr2
	s_and_saveexec_b32 s26, s1
	s_delay_alu instid0(SALU_CYCLE_1)
	s_xor_b32 s26, exec_lo, s26
; %bb.16:                               ;   in Loop: Header=BB29_14 Depth=2
	v_add_nc_u32_e32 v4, s21, v6
	s_mov_b32 s40, exec_lo
	s_delay_alu instid0(VALU_DEP_1)
	v_mad_u64_u32 v[2:3], null, v4, s29, v[0:1]
; %bb.17:                               ;   in Loop: Header=BB29_14 Depth=2
	s_or_b32 exec_lo, exec_lo, s26
	s_mov_b64 s[26:27], 0
	s_and_b32 vcc_lo, exec_lo, s41
	s_cbranch_vccnz .LBB29_20
.LBB29_18:                              ;   in Loop: Header=BB29_14 Depth=2
	v_dual_mov_b32 v3, s26 :: v_dual_mov_b32 v4, s27
	s_and_saveexec_b32 s26, s40
	s_cbranch_execz .LBB29_13
	s_branch .LBB29_23
.LBB29_19:                              ;   in Loop: Header=BB29_14 Depth=2
	s_mov_b32 s40, 0
                                        ; implicit-def: $vgpr2
                                        ; implicit-def: $sgpr26_sgpr27
	s_cbranch_execz .LBB29_18
.LBB29_20:                              ;   in Loop: Header=BB29_14 Depth=2
                                        ; implicit-def: $vgpr2
	s_and_saveexec_b32 s26, s1
; %bb.21:                               ;   in Loop: Header=BB29_14 Depth=2
	v_add_nc_u32_e32 v2, v20, v6
	s_or_b32 s40, s40, exec_lo
; %bb.22:                               ;   in Loop: Header=BB29_14 Depth=2
	s_or_b32 exec_lo, exec_lo, s26
	s_mov_b64 s[26:27], 0
	s_delay_alu instid0(SALU_CYCLE_1)
	v_dual_mov_b32 v3, s26 :: v_dual_mov_b32 v4, s27
	s_and_saveexec_b32 s26, s40
	s_cbranch_execz .LBB29_13
.LBB29_23:                              ;   in Loop: Header=BB29_14 Depth=2
	v_ashrrev_i32_e32 v3, 31, v2
	s_delay_alu instid0(VALU_DEP_1) | instskip(NEXT) | instid1(VALU_DEP_1)
	v_lshlrev_b64 v[2:3], 3, v[2:3]
	v_add_co_u32 v2, vcc_lo, s18, v2
	s_delay_alu instid0(VALU_DEP_2)
	v_add_co_ci_u32_e32 v3, vcc_lo, s19, v3, vcc_lo
	global_load_b64 v[3:4], v[2:3], off
	s_branch .LBB29_13
.LBB29_24:                              ;   in Loop: Header=BB29_10 Depth=1
	s_or_b32 exec_lo, exec_lo, s38
; %bb.25:                               ;   in Loop: Header=BB29_10 Depth=1
	ds_load_b32 v2, v1 offset:8960
	s_waitcnt lgkmcnt(0)
	s_sub_i32 s26, s37, s17
	s_delay_alu instid0(SALU_CYCLE_1) | instskip(SKIP_3) | instid1(SALU_CYCLE_1)
	s_cmp_le_i32 s26, s25
	s_cselect_b32 s27, -1, 0
	v_cmp_ge_i32_e32 vcc_lo, s24, v2
	s_and_b32 s27, s27, vcc_lo
	s_and_not1_b32 vcc_lo, exec_lo, s27
	s_mov_b32 s27, 0
	s_cbranch_vccnz .LBB29_37
; %bb.26:                               ;   in Loop: Header=BB29_10 Depth=1
	s_mov_b32 s37, 0
	s_mov_b32 s38, 0
.LBB29_27:                              ;   Parent Loop BB29_10 Depth=1
                                        ; =>  This Inner Loop Header: Depth=2
	s_ashr_i32 s27, s26, 31
	s_mov_b32 s42, -1
	s_lshl_b64 s[40:41], s[26:27], 2
	s_delay_alu instid0(SALU_CYCLE_1) | instskip(SKIP_2) | instid1(SALU_CYCLE_1)
	s_add_u32 s40, s14, s40
	s_addc_u32 s41, s15, s41
	s_lshl_b32 s27, s38, 2
	v_mov_b32_e32 v2, s27
	s_load_b32 s27, s[40:41], 0x0
                                        ; implicit-def: $sgpr41
                                        ; implicit-def: $sgpr40
	ds_load_b32 v2, v2 offset:8960
	s_waitcnt lgkmcnt(0)
	s_sub_i32 s43, s27, s17
                                        ; implicit-def: $sgpr27
	s_delay_alu instid0(SALU_CYCLE_1)
	v_cmp_ge_i32_e32 vcc_lo, s43, v2
	v_readfirstlane_b32 s39, v2
	s_cbranch_vccz .LBB29_33
; %bb.28:                               ;   in Loop: Header=BB29_27 Depth=2
	s_delay_alu instid0(VALU_DEP_1)
	s_cmp_le_i32 s43, s39
                                        ; implicit-def: $sgpr27
                                        ; implicit-def: $sgpr41
                                        ; implicit-def: $sgpr40
	s_cbranch_scc0 .LBB29_30
; %bb.29:                               ;   in Loop: Header=BB29_27 Depth=2
	s_add_i32 s27, s38, s3
	s_lshl_b32 s40, s37, 2
	s_mul_i32 s27, s27, s34
	s_mul_i32 s41, s26, s34
	s_delay_alu instid0(SALU_CYCLE_1)
	v_dual_mov_b32 v2, s27 :: v_dual_mov_b32 v3, s41
	v_add_nc_u32_e64 v4, 0x2000, s40
	s_add_i32 s40, s38, 1
	s_add_i32 s41, s26, 1
	;; [unrolled: 1-line block ×3, first 2 shown]
	s_mov_b32 s42, 0
	ds_store_2addr_b32 v4, v3, v2 offset0:128 offset1:160
.LBB29_30:                              ;   in Loop: Header=BB29_27 Depth=2
	s_and_not1_b32 vcc_lo, exec_lo, s42
	s_cbranch_vccnz .LBB29_32
; %bb.31:                               ;   in Loop: Header=BB29_27 Depth=2
	s_add_i32 s40, s38, 1
	s_mov_b32 s27, s37
	s_mov_b32 s41, s26
.LBB29_32:                              ;   in Loop: Header=BB29_27 Depth=2
	s_mov_b32 s42, 0
.LBB29_33:                              ;   in Loop: Header=BB29_27 Depth=2
	s_delay_alu instid0(SALU_CYCLE_1)
	s_and_not1_b32 vcc_lo, exec_lo, s42
	s_cbranch_vccnz .LBB29_35
; %bb.34:                               ;   in Loop: Header=BB29_27 Depth=2
	s_add_i32 s41, s26, 1
	s_mov_b32 s40, s38
	s_mov_b32 s27, s37
.LBB29_35:                              ;   in Loop: Header=BB29_27 Depth=2
	s_cmp_le_i32 s41, s25
	s_cselect_b32 s26, -1, 0
	s_cmp_le_i32 s39, s24
	s_cselect_b32 s37, -1, 0
	s_delay_alu instid0(SALU_CYCLE_1) | instskip(NEXT) | instid1(SALU_CYCLE_1)
	s_and_b32 s26, s26, s37
	s_and_b32 vcc_lo, exec_lo, s26
	s_cbranch_vccz .LBB29_37
; %bb.36:                               ;   in Loop: Header=BB29_27 Depth=2
	s_mov_b32 s37, s27
	s_mov_b32 s26, s41
	;; [unrolled: 1-line block ×3, first 2 shown]
	s_branch .LBB29_27
.LBB29_37:                              ;   in Loop: Header=BB29_10 Depth=1
	s_add_u32 s22, s6, s22
	s_addc_u32 s23, s7, s23
	s_waitcnt lgkmcnt(0)
	buffer_gl0_inv
.LBB29_38:                              ;   Parent Loop BB29_10 Depth=1
                                        ; =>  This Inner Loop Header: Depth=2
	global_load_b32 v2, v1, s[22:23] glc
	s_waitcnt vmcnt(0)
	v_cmp_eq_u32_e32 vcc_lo, 0, v2
	s_cbranch_vccnz .LBB29_38
; %bb.39:                               ;   in Loop: Header=BB29_10 Depth=1
	buffer_gl1_inv
	buffer_gl0_inv
	s_and_saveexec_b32 s24, s0
	s_cbranch_execz .LBB29_52
; %bb.40:                               ;   in Loop: Header=BB29_10 Depth=1
	s_mul_i32 s25, s25, s29
	v_mov_b32_e32 v6, v15
	v_dual_mov_b32 v7, v12 :: v_dual_add_nc_u32 v2, s25, v0
	s_mov_b32 s26, 0
	s_delay_alu instid0(VALU_DEP_1)
	v_mul_lo_u32 v5, v2, s29
	s_branch .LBB29_42
.LBB29_41:                              ;   in Loop: Header=BB29_42 Depth=2
	s_or_b32 exec_lo, exec_lo, s22
	v_add_nc_u32_e32 v7, 4, v7
	s_waitcnt vmcnt(0)
	ds_store_b64 v6, v[3:4]
	v_add_nc_u32_e32 v6, 32, v6
	v_cmp_le_i32_e32 vcc_lo, s29, v7
	s_or_b32 s26, vcc_lo, s26
	s_delay_alu instid0(SALU_CYCLE_1)
	s_and_not1_b32 exec_lo, exec_lo, s26
	s_cbranch_execz .LBB29_52
.LBB29_42:                              ;   Parent Loop BB29_10 Depth=1
                                        ; =>  This Inner Loop Header: Depth=2
	s_and_b32 vcc_lo, exec_lo, s31
	s_cbranch_vccz .LBB29_47
; %bb.43:                               ;   in Loop: Header=BB29_42 Depth=2
	s_mov_b32 s38, 0
	s_mov_b32 s37, 0
                                        ; implicit-def: $vgpr2
	s_and_saveexec_b32 s22, s1
	s_delay_alu instid0(SALU_CYCLE_1)
	s_xor_b32 s22, exec_lo, s22
; %bb.44:                               ;   in Loop: Header=BB29_42 Depth=2
	v_add_nc_u32_e32 v4, s25, v7
	s_mov_b32 s37, exec_lo
	s_delay_alu instid0(VALU_DEP_1)
	v_mad_u64_u32 v[2:3], null, v4, s29, v[0:1]
; %bb.45:                               ;   in Loop: Header=BB29_42 Depth=2
	s_or_b32 exec_lo, exec_lo, s22
	s_mov_b64 s[22:23], 0
	s_and_b32 vcc_lo, exec_lo, s38
	s_cbranch_vccnz .LBB29_48
.LBB29_46:                              ;   in Loop: Header=BB29_42 Depth=2
	v_dual_mov_b32 v3, s22 :: v_dual_mov_b32 v4, s23
	s_and_saveexec_b32 s22, s37
	s_cbranch_execz .LBB29_41
	s_branch .LBB29_51
.LBB29_47:                              ;   in Loop: Header=BB29_42 Depth=2
	s_mov_b32 s37, 0
                                        ; implicit-def: $vgpr2
                                        ; implicit-def: $sgpr22_sgpr23
	s_cbranch_execz .LBB29_46
.LBB29_48:                              ;   in Loop: Header=BB29_42 Depth=2
                                        ; implicit-def: $vgpr2
	s_and_saveexec_b32 s22, s1
; %bb.49:                               ;   in Loop: Header=BB29_42 Depth=2
	s_delay_alu instid0(VALU_DEP_1)
	v_add_nc_u32_e32 v2, v5, v7
	s_or_b32 s37, s37, exec_lo
; %bb.50:                               ;   in Loop: Header=BB29_42 Depth=2
	s_or_b32 exec_lo, exec_lo, s22
	s_mov_b64 s[22:23], 0
	s_delay_alu instid0(SALU_CYCLE_1)
	v_dual_mov_b32 v3, s22 :: v_dual_mov_b32 v4, s23
	s_and_saveexec_b32 s22, s37
	s_cbranch_execz .LBB29_41
.LBB29_51:                              ;   in Loop: Header=BB29_42 Depth=2
	v_ashrrev_i32_e32 v3, 31, v2
	s_delay_alu instid0(VALU_DEP_1) | instskip(NEXT) | instid1(VALU_DEP_1)
	v_lshlrev_b64 v[2:3], 3, v[2:3]
	v_add_co_u32 v2, vcc_lo, s18, v2
	s_delay_alu instid0(VALU_DEP_2)
	v_add_co_ci_u32_e32 v3, vcc_lo, s19, v3, vcc_lo
	global_load_b64 v[3:4], v[2:3], off
	s_branch .LBB29_41
.LBB29_52:                              ;   in Loop: Header=BB29_10 Depth=1
	s_or_b32 exec_lo, exec_lo, s24
; %bb.53:                               ;   in Loop: Header=BB29_10 Depth=1
	s_cmp_lt_i32 s27, 2
	s_cbranch_scc1 .LBB29_69
; %bb.54:                               ;   in Loop: Header=BB29_10 Depth=1
	s_add_i32 s22, s27, -2
	s_mov_b32 s23, 0
	s_branch .LBB29_56
.LBB29_55:                              ;   in Loop: Header=BB29_56 Depth=2
	s_or_b32 exec_lo, exec_lo, s24
	s_add_i32 s24, s23, 1
	s_cmp_eq_u32 s23, s22
	s_mov_b32 s23, s24
	s_cbranch_scc1 .LBB29_69
.LBB29_56:                              ;   Parent Loop BB29_10 Depth=1
                                        ; =>  This Loop Header: Depth=2
                                        ;       Child Loop BB29_59 Depth 3
	s_and_saveexec_b32 s24, s0
	s_cbranch_execz .LBB29_55
; %bb.57:                               ;   in Loop: Header=BB29_56 Depth=2
	s_lshl_b32 s25, s23, 2
	v_mov_b32_e32 v28, v12
	v_add_nc_u32_e64 v2, 0x2000, s25
	s_mov_b32 s25, 0
	ds_load_2addr_b32 v[2:3], v2 offset0:128 offset1:160
	s_waitcnt lgkmcnt(0)
	v_add_nc_u32_e32 v24, v3, v16
	v_add_nc_u32_e32 v25, v0, v3
	;; [unrolled: 1-line block ×4, first 2 shown]
	s_branch .LBB29_59
.LBB29_58:                              ;   in Loop: Header=BB29_59 Depth=3
	v_lshlrev_b32_e32 v2, 3, v28
	v_add_nc_u32_e32 v28, 4, v28
	v_add_nc_u32_e32 v26, 4, v26
	;; [unrolled: 1-line block ×3, first 2 shown]
	s_delay_alu instid0(VALU_DEP_4) | instskip(NEXT) | instid1(VALU_DEP_4)
	v_mad_u32_u24 v4, 0x88, v0, v2
	v_cmp_le_i32_e32 vcc_lo, s29, v28
	ds_load_b64 v[2:3], v4 offset:2176
	s_or_b32 s25, vcc_lo, s25
	s_waitcnt lgkmcnt(0)
	v_add_f64 v[2:3], v[8:9], v[2:3]
	ds_store_b64 v4, v[2:3] offset:2176
	s_and_not1_b32 exec_lo, exec_lo, s25
	s_cbranch_execz .LBB29_55
.LBB29_59:                              ;   Parent Loop BB29_10 Depth=1
                                        ;     Parent Loop BB29_56 Depth=2
                                        ; =>    This Inner Loop Header: Depth=3
	v_mov_b32_e32 v6, 0
	s_delay_alu instid0(VALU_DEP_3)
	v_dual_mov_b32 v7, 0 :: v_dual_mov_b32 v2, v26
	v_mov_b32_e32 v4, v25
	s_mov_b32 s26, 0
	s_and_b32 vcc_lo, exec_lo, s31
	s_cbranch_vccz .LBB29_63
.LBB29_60:                              ;   in Loop: Header=BB29_59 Depth=3
	v_ashrrev_i32_e32 v3, 31, v2
	v_mov_b32_e32 v10, 0
	v_mov_b32_e32 v11, 0
	s_delay_alu instid0(VALU_DEP_3) | instskip(NEXT) | instid1(VALU_DEP_1)
	v_lshlrev_b64 v[8:9], 3, v[2:3]
	v_add_co_u32 v8, vcc_lo, s18, v8
	s_delay_alu instid0(VALU_DEP_2)
	v_add_co_ci_u32_e32 v9, vcc_lo, s19, v9, vcc_lo
	global_load_b64 v[8:9], v[8:9], off
	s_and_saveexec_b32 s27, s1
	s_cbranch_execz .LBB29_62
; %bb.61:                               ;   in Loop: Header=BB29_59 Depth=3
	v_ashrrev_i32_e32 v5, 31, v4
	s_delay_alu instid0(VALU_DEP_1) | instskip(NEXT) | instid1(VALU_DEP_1)
	v_lshlrev_b64 v[10:11], 3, v[4:5]
	v_add_co_u32 v10, vcc_lo, s18, v10
	s_delay_alu instid0(VALU_DEP_2)
	v_add_co_ci_u32_e32 v11, vcc_lo, s19, v11, vcc_lo
	global_load_b64 v[10:11], v[10:11], off
.LBB29_62:                              ;   in Loop: Header=BB29_59 Depth=3
	s_or_b32 exec_lo, exec_lo, s27
	s_waitcnt vmcnt(0)
	v_fma_f64 v[8:9], v[8:9], v[10:11], v[6:7]
	s_branch .LBB29_67
.LBB29_63:                              ;   in Loop: Header=BB29_59 Depth=3
                                        ; implicit-def: $vgpr8_vgpr9
	s_cbranch_execz .LBB29_67
; %bb.64:                               ;   in Loop: Header=BB29_59 Depth=3
	v_add_nc_u32_e32 v8, s26, v27
	v_mov_b32_e32 v10, 0
	v_mov_b32_e32 v11, 0
	s_delay_alu instid0(VALU_DEP_3) | instskip(NEXT) | instid1(VALU_DEP_1)
	v_ashrrev_i32_e32 v9, 31, v8
	v_lshlrev_b64 v[8:9], 3, v[8:9]
	s_delay_alu instid0(VALU_DEP_1) | instskip(NEXT) | instid1(VALU_DEP_2)
	v_add_co_u32 v8, vcc_lo, s18, v8
	v_add_co_ci_u32_e32 v9, vcc_lo, s19, v9, vcc_lo
	global_load_b64 v[8:9], v[8:9], off
	s_and_saveexec_b32 s27, s1
	s_cbranch_execz .LBB29_66
; %bb.65:                               ;   in Loop: Header=BB29_59 Depth=3
	v_add_nc_u32_e32 v10, s26, v24
	s_delay_alu instid0(VALU_DEP_1) | instskip(NEXT) | instid1(VALU_DEP_1)
	v_ashrrev_i32_e32 v11, 31, v10
	v_lshlrev_b64 v[10:11], 3, v[10:11]
	s_delay_alu instid0(VALU_DEP_1) | instskip(NEXT) | instid1(VALU_DEP_2)
	v_add_co_u32 v10, vcc_lo, s18, v10
	v_add_co_ci_u32_e32 v11, vcc_lo, s19, v11, vcc_lo
	global_load_b64 v[10:11], v[10:11], off
.LBB29_66:                              ;   in Loop: Header=BB29_59 Depth=3
	s_or_b32 exec_lo, exec_lo, s27
	s_waitcnt vmcnt(0)
	v_fma_f64 v[8:9], v[8:9], v[10:11], v[6:7]
.LBB29_67:                              ;   in Loop: Header=BB29_59 Depth=3
	v_add_nc_u32_e32 v4, s29, v4
	v_add_nc_u32_e32 v2, s29, v2
	s_add_i32 s26, s26, 1
	s_delay_alu instid0(SALU_CYCLE_1)
	s_cmp_eq_u32 s29, s26
	s_cbranch_scc1 .LBB29_58
; %bb.68:                               ;   in Loop: Header=BB29_59 Depth=3
	s_delay_alu instid0(VALU_DEP_3)
	v_dual_mov_b32 v6, v8 :: v_dual_mov_b32 v7, v9
	s_and_b32 vcc_lo, exec_lo, s31
	s_cbranch_vccnz .LBB29_60
	s_branch .LBB29_63
.LBB29_69:                              ;   in Loop: Header=BB29_10 Depth=1
	s_and_not1_b32 vcc_lo, exec_lo, s33
	s_waitcnt lgkmcnt(0)
	buffer_gl0_inv
	s_cbranch_vccnz .LBB29_82
; %bb.70:                               ;   in Loop: Header=BB29_10 Depth=1
	v_mov_b32_e32 v8, v21
	s_mov_b32 s22, 0
	s_mov_b32 s23, 0
	s_branch .LBB29_72
.LBB29_71:                              ;   in Loop: Header=BB29_72 Depth=2
	s_or_b32 exec_lo, exec_lo, s24
	v_add_nc_u32_e32 v8, 8, v8
	s_add_i32 s23, s23, 1
	s_addk_i32 s22, 0x88
	s_cmp_eq_u32 s23, s29
	s_waitcnt lgkmcnt(0)
	buffer_gl0_inv
	s_cbranch_scc1 .LBB29_82
.LBB29_72:                              ;   Parent Loop BB29_10 Depth=1
                                        ; =>  This Loop Header: Depth=2
                                        ;       Child Loop BB29_78 Depth 3
                                        ;       Child Loop BB29_81 Depth 3
	s_lshl_b32 s24, s23, 3
	s_mul_i32 s25, s23, 0x88
	v_mad_u32_u24 v9, 0x88, v0, s24
	s_add_i32 s25, s24, s25
	s_delay_alu instid0(SALU_CYCLE_1)
	v_mov_b32_e32 v2, s25
	ds_load_b64 v[4:5], v2
	ds_load_b64 v[2:3], v9 offset:4352
	s_waitcnt lgkmcnt(1)
	v_cmp_neq_f64_e32 vcc_lo, 0, v[4:5]
	v_cndmask_b32_e32 v5, 0x3ff00000, v5, vcc_lo
	v_cndmask_b32_e32 v4, 0, v4, vcc_lo
	s_or_b32 s24, vcc_lo, s2
	s_delay_alu instid0(SALU_CYCLE_1) | instskip(NEXT) | instid1(SALU_CYCLE_1)
	s_xor_b32 s25, s24, -1
	s_and_saveexec_b32 s24, s25
	s_cbranch_execz .LBB29_76
; %bb.73:                               ;   in Loop: Header=BB29_72 Depth=2
	v_mbcnt_lo_u32_b32 v4, exec_lo, 0
	s_mov_b32 s25, exec_lo
	s_delay_alu instid0(VALU_DEP_1)
	v_cmpx_eq_u32_e32 0, v4
	s_cbranch_execz .LBB29_75
; %bb.74:                               ;   in Loop: Header=BB29_72 Depth=2
	v_mov_b32_e32 v4, s36
	global_atomic_min_i32 v1, v4, s[10:11]
.LBB29_75:                              ;   in Loop: Header=BB29_72 Depth=2
	s_or_b32 exec_lo, exec_lo, s25
	v_mov_b32_e32 v4, 0
	v_mov_b32_e32 v5, 0x3ff00000
.LBB29_76:                              ;   in Loop: Header=BB29_72 Depth=2
	s_or_b32 exec_lo, exec_lo, s24
	v_lshl_add_u32 v6, s23, 3, v13
	s_cmp_eq_u32 s23, 0
	ds_load_b64 v[6:7], v6 offset:2176
	s_cbranch_scc1 .LBB29_79
; %bb.77:                               ;   in Loop: Header=BB29_72 Depth=2
	v_mov_b32_e32 v10, v19
	s_mov_b32 s24, 0
	s_mov_b32 s25, s22
.LBB29_78:                              ;   Parent Loop BB29_10 Depth=1
                                        ;     Parent Loop BB29_72 Depth=2
                                        ; =>    This Inner Loop Header: Depth=3
	s_delay_alu instid0(SALU_CYCLE_1)
	v_mov_b32_e32 v11, s25
	s_add_i32 s24, s24, 1
	s_add_i32 s25, s25, 8
	s_cmp_ge_u32 s24, s23
	ds_load_b64 v[24:25], v10
	ds_load_b64 v[26:27], v11
	v_add_nc_u32_e32 v10, 8, v10
	s_waitcnt lgkmcnt(0)
	v_fma_f64 v[6:7], v[26:27], v[24:25], v[6:7]
	s_cbranch_scc0 .LBB29_78
.LBB29_79:                              ;   in Loop: Header=BB29_72 Depth=2
	s_waitcnt lgkmcnt(0)
	s_delay_alu instid0(VALU_DEP_1) | instskip(SKIP_1) | instid1(VALU_DEP_2)
	v_add_f64 v[2:3], v[2:3], -v[6:7]
	v_add_nc_u32_e32 v9, 0x1100, v9
	v_div_scale_f64 v[6:7], null, v[4:5], v[4:5], v[2:3]
	v_div_scale_f64 v[26:27], vcc_lo, v[2:3], v[4:5], v[2:3]
	s_delay_alu instid0(VALU_DEP_2) | instskip(SKIP_2) | instid1(VALU_DEP_1)
	v_rcp_f64_e32 v[10:11], v[6:7]
	s_waitcnt_depctr 0xfff
	v_fma_f64 v[24:25], -v[6:7], v[10:11], 1.0
	v_fma_f64 v[10:11], v[10:11], v[24:25], v[10:11]
	s_delay_alu instid0(VALU_DEP_1) | instskip(NEXT) | instid1(VALU_DEP_1)
	v_fma_f64 v[24:25], -v[6:7], v[10:11], 1.0
	v_fma_f64 v[10:11], v[10:11], v[24:25], v[10:11]
	s_delay_alu instid0(VALU_DEP_1) | instskip(NEXT) | instid1(VALU_DEP_1)
	v_mul_f64 v[24:25], v[26:27], v[10:11]
	v_fma_f64 v[6:7], -v[6:7], v[24:25], v[26:27]
	s_delay_alu instid0(VALU_DEP_1) | instskip(NEXT) | instid1(VALU_DEP_1)
	v_div_fmas_f64 v[6:7], v[6:7], v[10:11], v[24:25]
	v_div_fixup_f64 v[2:3], v[6:7], v[4:5], v[2:3]
	ds_store_b64 v9, v[2:3]
	s_waitcnt lgkmcnt(0)
	s_waitcnt_vscnt null, 0x0
	buffer_gl0_inv
	s_and_saveexec_b32 s24, s0
	s_cbranch_execz .LBB29_71
; %bb.80:                               ;   in Loop: Header=BB29_72 Depth=2
	v_dual_mov_b32 v4, v22 :: v_dual_mov_b32 v5, v8
	v_mov_b32_e32 v6, v12
	s_mov_b32 s25, 0
	.p2align	6
.LBB29_81:                              ;   Parent Loop BB29_10 Depth=1
                                        ;     Parent Loop BB29_72 Depth=2
                                        ; =>    This Inner Loop Header: Depth=3
	ds_load_b64 v[9:10], v5
	ds_load_b64 v[24:25], v4
	v_add_nc_u32_e32 v6, 4, v6
	v_add_nc_u32_e32 v5, 0x220, v5
	s_delay_alu instid0(VALU_DEP_2)
	v_cmp_le_i32_e32 vcc_lo, s29, v6
	s_or_b32 s25, vcc_lo, s25
	s_waitcnt lgkmcnt(0)
	v_fma_f64 v[9:10], v[2:3], v[9:10], v[24:25]
	ds_store_b64 v4, v[9:10]
	v_add_nc_u32_e32 v4, 32, v4
	s_and_not1_b32 exec_lo, exec_lo, s25
	s_cbranch_execnz .LBB29_81
	s_branch .LBB29_71
.LBB29_82:                              ;   in Loop: Header=BB29_10 Depth=1
	s_and_saveexec_b32 s22, s0
	s_cbranch_execz .LBB29_9
; %bb.83:                               ;   in Loop: Header=BB29_10 Depth=1
	v_dual_mov_b32 v6, v23 :: v_dual_mov_b32 v7, v12
	s_mov_b32 s23, 0
	s_set_inst_prefetch_distance 0x1
	s_branch .LBB29_86
	.p2align	6
.LBB29_84:                              ;   in Loop: Header=BB29_86 Depth=2
	s_delay_alu instid0(VALU_DEP_1) | instskip(NEXT) | instid1(VALU_DEP_1)
	v_ashrrev_i32_e32 v5, 31, v4
	v_lshlrev_b64 v[4:5], 3, v[4:5]
	s_delay_alu instid0(VALU_DEP_1) | instskip(NEXT) | instid1(VALU_DEP_2)
	v_add_co_u32 v4, vcc_lo, s18, v4
	v_add_co_ci_u32_e32 v5, vcc_lo, s19, v5, vcc_lo
	s_waitcnt lgkmcnt(0)
	global_store_b64 v[4:5], v[2:3], off
.LBB29_85:                              ;   in Loop: Header=BB29_86 Depth=2
	s_or_b32 exec_lo, exec_lo, s24
	v_add_nc_u32_e32 v7, 4, v7
	v_add_nc_u32_e32 v6, 32, v6
	s_delay_alu instid0(VALU_DEP_2) | instskip(SKIP_1) | instid1(SALU_CYCLE_1)
	v_cmp_le_i32_e32 vcc_lo, s29, v7
	s_or_b32 s23, vcc_lo, s23
	s_and_not1_b32 exec_lo, exec_lo, s23
	s_cbranch_execz .LBB29_9
.LBB29_86:                              ;   Parent Loop BB29_10 Depth=1
                                        ; =>  This Inner Loop Header: Depth=2
	s_and_saveexec_b32 s24, s1
	s_cbranch_execz .LBB29_85
; %bb.87:                               ;   in Loop: Header=BB29_86 Depth=2
	ds_load_b64 v[2:3], v6
	s_and_b32 vcc_lo, exec_lo, s31
	s_cbranch_vccz .LBB29_89
; %bb.88:                               ;   in Loop: Header=BB29_86 Depth=2
	v_add_nc_u32_e32 v8, s21, v7
	s_delay_alu instid0(VALU_DEP_1)
	v_mad_u64_u32 v[4:5], null, v8, s29, v[0:1]
	s_cbranch_execnz .LBB29_84
	s_branch .LBB29_90
.LBB29_89:                              ;   in Loop: Header=BB29_86 Depth=2
                                        ; implicit-def: $vgpr4
.LBB29_90:                              ;   in Loop: Header=BB29_86 Depth=2
	v_add_nc_u32_e32 v4, v20, v7
	s_branch .LBB29_84
.LBB29_91:                              ;   in Loop: Header=BB29_10 Depth=1
                                        ; implicit-def: $sgpr20
                                        ; implicit-def: $vgpr20
	s_cbranch_execz .LBB29_10
.LBB29_92:
	v_cmp_gt_i32_e64 s0, s29, v12
	s_delay_alu instid0(VALU_DEP_1)
	s_and_saveexec_b32 s4, s0
	s_cbranch_execz .LBB29_105
; %bb.93:
	s_mul_i32 s5, s28, s29
	v_cmp_gt_i32_e64 s1, s29, v0
	v_dual_mov_b32 v6, v12 :: v_dual_add_nc_u32 v1, s5, v0
	v_add3_u32 v5, v13, v14, 0x1100
	s_cmp_lg_u32 s30, 0
	s_mov_b32 s12, 0
	s_delay_alu instid0(VALU_DEP_2)
	v_mul_lo_u32 v4, v1, s29
	s_cselect_b32 s13, -1, 0
	s_branch .LBB29_95
.LBB29_94:                              ;   in Loop: Header=BB29_95 Depth=1
	s_or_b32 exec_lo, exec_lo, s2
	v_add_nc_u32_e32 v6, 4, v6
	s_waitcnt vmcnt(0)
	ds_store_b64 v5, v[2:3]
	v_add_nc_u32_e32 v5, 32, v5
	v_cmp_le_i32_e32 vcc_lo, s29, v6
	s_or_b32 s12, vcc_lo, s12
	s_delay_alu instid0(SALU_CYCLE_1)
	s_and_not1_b32 exec_lo, exec_lo, s12
	s_cbranch_execz .LBB29_105
.LBB29_95:                              ; =>This Inner Loop Header: Depth=1
	s_and_b32 vcc_lo, exec_lo, s13
	s_cbranch_vccz .LBB29_100
; %bb.96:                               ;   in Loop: Header=BB29_95 Depth=1
	s_mov_b32 s15, 0
	s_mov_b32 s14, 0
                                        ; implicit-def: $vgpr1
	s_and_saveexec_b32 s2, s1
	s_delay_alu instid0(SALU_CYCLE_1)
	s_xor_b32 s2, exec_lo, s2
; %bb.97:                               ;   in Loop: Header=BB29_95 Depth=1
	v_add_nc_u32_e32 v3, s5, v6
	s_mov_b32 s14, exec_lo
	s_delay_alu instid0(VALU_DEP_1)
	v_mad_u64_u32 v[1:2], null, v3, s29, v[0:1]
; %bb.98:                               ;   in Loop: Header=BB29_95 Depth=1
	s_or_b32 exec_lo, exec_lo, s2
	s_mov_b64 s[2:3], 0
	s_and_b32 vcc_lo, exec_lo, s15
	s_cbranch_vccnz .LBB29_101
.LBB29_99:                              ;   in Loop: Header=BB29_95 Depth=1
	v_dual_mov_b32 v2, s2 :: v_dual_mov_b32 v3, s3
	s_and_saveexec_b32 s2, s14
	s_cbranch_execz .LBB29_94
	s_branch .LBB29_104
.LBB29_100:                             ;   in Loop: Header=BB29_95 Depth=1
	s_mov_b32 s14, 0
                                        ; implicit-def: $vgpr1
                                        ; implicit-def: $sgpr2_sgpr3
	s_cbranch_execz .LBB29_99
.LBB29_101:                             ;   in Loop: Header=BB29_95 Depth=1
                                        ; implicit-def: $vgpr1
	s_and_saveexec_b32 s2, s1
; %bb.102:                              ;   in Loop: Header=BB29_95 Depth=1
	v_add_nc_u32_e32 v1, v4, v6
	s_or_b32 s14, s14, exec_lo
; %bb.103:                              ;   in Loop: Header=BB29_95 Depth=1
	s_or_b32 exec_lo, exec_lo, s2
	s_mov_b64 s[2:3], 0
	s_delay_alu instid0(SALU_CYCLE_1)
	v_dual_mov_b32 v2, s2 :: v_dual_mov_b32 v3, s3
	s_and_saveexec_b32 s2, s14
	s_cbranch_execz .LBB29_94
.LBB29_104:                             ;   in Loop: Header=BB29_95 Depth=1
	v_ashrrev_i32_e32 v2, 31, v1
	s_delay_alu instid0(VALU_DEP_1) | instskip(NEXT) | instid1(VALU_DEP_1)
	v_lshlrev_b64 v[1:2], 3, v[1:2]
	v_add_co_u32 v1, vcc_lo, s18, v1
	s_delay_alu instid0(VALU_DEP_2)
	v_add_co_ci_u32_e32 v2, vcc_lo, s19, v2, vcc_lo
	global_load_b64 v[2:3], v[1:2], off
	s_branch .LBB29_94
.LBB29_105:
	s_or_b32 exec_lo, exec_lo, s4
; %bb.106:
	s_cmp_lt_i32 s29, 1
	s_waitcnt lgkmcnt(0)
	buffer_gl0_inv
	s_cbranch_scc1 .LBB29_119
; %bb.107:
	v_lshlrev_b32_e32 v1, 3, v0
	v_or_b32_e32 v2, v12, v0
	s_movk_i32 s1, 0x1100
	v_add3_u32 v5, v13, v14, 0x1980
	v_mad_u32_u24 v6, 0x88, v12, s1
	v_mad_u32_u24 v1, 0x88, v0, v1
	v_cmp_ne_u32_e64 s1, 0, v2
	s_mov_b32 s2, 0
	s_add_i32 s3, s16, s17
	v_mov_b32_e32 v9, 0
	v_add_nc_u32_e32 v7, 0x1100, v1
	v_add_nc_u32_e32 v8, 0x1980, v1
	s_branch .LBB29_109
.LBB29_108:                             ;   in Loop: Header=BB29_109 Depth=1
	s_or_b32 exec_lo, exec_lo, s4
	v_add_nc_u32_e32 v6, 8, v6
	s_add_i32 s2, s2, 1
	s_waitcnt lgkmcnt(0)
	s_waitcnt_vscnt null, 0x0
	buffer_gl0_inv
	s_cmp_eq_u32 s2, s29
	s_cbranch_scc1 .LBB29_119
.LBB29_109:                             ; =>This Loop Header: Depth=1
                                        ;     Child Loop BB29_118 Depth 2
	s_mov_b32 s4, exec_lo
	v_cmpx_eq_u32_e64 s2, v0
	s_cbranch_execz .LBB29_111
; %bb.110:                              ;   in Loop: Header=BB29_109 Depth=1
	ds_load_b64 v[1:2], v7
	ds_load_b64 v[3:4], v8
	s_waitcnt lgkmcnt(0)
	v_add_f64 v[1:2], v[1:2], -v[3:4]
	s_delay_alu instid0(VALU_DEP_1) | instskip(SKIP_1) | instid1(VALU_DEP_1)
	v_cmp_gt_f64_e32 vcc_lo, 0, v[1:2]
	v_xor_b32_e32 v3, 0x80000000, v2
	v_dual_cndmask_b32 v2, v2, v3 :: v_dual_cndmask_b32 v1, v1, v1
	s_delay_alu instid0(VALU_DEP_1) | instskip(SKIP_1) | instid1(VALU_DEP_1)
	v_cmp_gt_f64_e32 vcc_lo, 0x10000000, v[1:2]
	v_cndmask_b32_e64 v3, 0, 1, vcc_lo
	v_lshlrev_b32_e32 v3, 8, v3
	s_delay_alu instid0(VALU_DEP_1) | instskip(NEXT) | instid1(VALU_DEP_1)
	v_ldexp_f64 v[1:2], v[1:2], v3
	v_rsq_f64_e32 v[3:4], v[1:2]
	s_waitcnt_depctr 0xfff
	v_mul_f64 v[10:11], v[1:2], v[3:4]
	v_mul_f64 v[3:4], v[3:4], 0.5
	s_delay_alu instid0(VALU_DEP_1) | instskip(NEXT) | instid1(VALU_DEP_1)
	v_fma_f64 v[15:16], -v[3:4], v[10:11], 0.5
	v_fma_f64 v[10:11], v[10:11], v[15:16], v[10:11]
	v_fma_f64 v[3:4], v[3:4], v[15:16], v[3:4]
	s_delay_alu instid0(VALU_DEP_2) | instskip(NEXT) | instid1(VALU_DEP_1)
	v_fma_f64 v[15:16], -v[10:11], v[10:11], v[1:2]
	v_fma_f64 v[10:11], v[15:16], v[3:4], v[10:11]
	s_delay_alu instid0(VALU_DEP_1) | instskip(NEXT) | instid1(VALU_DEP_1)
	v_fma_f64 v[15:16], -v[10:11], v[10:11], v[1:2]
	v_fma_f64 v[3:4], v[15:16], v[3:4], v[10:11]
	v_cndmask_b32_e64 v10, 0, 0xffffff80, vcc_lo
	v_cmp_class_f64_e64 vcc_lo, v[1:2], 0x260
	s_delay_alu instid0(VALU_DEP_2) | instskip(NEXT) | instid1(VALU_DEP_1)
	v_ldexp_f64 v[3:4], v[3:4], v10
	v_dual_cndmask_b32 v2, v4, v2 :: v_dual_cndmask_b32 v1, v3, v1
	ds_store_b64 v7, v[1:2]
.LBB29_111:                             ;   in Loop: Header=BB29_109 Depth=1
	s_or_b32 exec_lo, exec_lo, s4
	s_lshl_b32 s4, s2, 3
	s_mul_i32 s5, s2, 0x88
	s_waitcnt lgkmcnt(0)
	buffer_gl0_inv
	s_add_i32 s5, s5, s4
	v_mad_u32_u24 v10, 0x88, v0, s4
	v_mov_b32_e32 v1, s5
	ds_load_b64 v[3:4], v1 offset:4352
	ds_load_b64 v[1:2], v10 offset:4352
	s_waitcnt lgkmcnt(1)
	v_cmp_neq_f64_e32 vcc_lo, 0, v[3:4]
	v_cndmask_b32_e32 v4, 0x3ff00000, v4, vcc_lo
	v_cndmask_b32_e32 v3, 0, v3, vcc_lo
	s_or_b32 s4, vcc_lo, s1
	s_delay_alu instid0(SALU_CYCLE_1) | instskip(NEXT) | instid1(SALU_CYCLE_1)
	s_xor_b32 s5, s4, -1
	s_and_saveexec_b32 s4, s5
	s_cbranch_execz .LBB29_115
; %bb.112:                              ;   in Loop: Header=BB29_109 Depth=1
	v_mbcnt_lo_u32_b32 v3, exec_lo, 0
	s_mov_b32 s5, exec_lo
	s_delay_alu instid0(VALU_DEP_1)
	v_cmpx_eq_u32_e32 0, v3
	s_cbranch_execz .LBB29_114
; %bb.113:                              ;   in Loop: Header=BB29_109 Depth=1
	v_mov_b32_e32 v3, s3
	global_atomic_min_i32 v9, v3, s[10:11]
.LBB29_114:                             ;   in Loop: Header=BB29_109 Depth=1
	s_or_b32 exec_lo, exec_lo, s5
	v_mov_b32_e32 v3, 0
	v_mov_b32_e32 v4, 0x3ff00000
.LBB29_115:                             ;   in Loop: Header=BB29_109 Depth=1
	s_or_b32 exec_lo, exec_lo, s4
	s_delay_alu instid0(SALU_CYCLE_1)
	s_mov_b32 s4, exec_lo
	v_cmpx_lt_u32_e64 s2, v0
	s_cbranch_execz .LBB29_108
; %bb.116:                              ;   in Loop: Header=BB29_109 Depth=1
	v_lshl_add_u32 v11, s2, 3, v13
	ds_load_b64 v[15:16], v11 offset:6528
	s_waitcnt lgkmcnt(0)
	v_add_f64 v[1:2], v[1:2], -v[15:16]
	s_delay_alu instid0(VALU_DEP_1) | instskip(SKIP_1) | instid1(VALU_DEP_2)
	v_div_scale_f64 v[15:16], null, v[3:4], v[3:4], v[1:2]
	v_div_scale_f64 v[21:22], vcc_lo, v[1:2], v[3:4], v[1:2]
	v_rcp_f64_e32 v[17:18], v[15:16]
	s_waitcnt_depctr 0xfff
	v_fma_f64 v[19:20], -v[15:16], v[17:18], 1.0
	s_delay_alu instid0(VALU_DEP_1) | instskip(NEXT) | instid1(VALU_DEP_1)
	v_fma_f64 v[17:18], v[17:18], v[19:20], v[17:18]
	v_fma_f64 v[19:20], -v[15:16], v[17:18], 1.0
	s_delay_alu instid0(VALU_DEP_1) | instskip(NEXT) | instid1(VALU_DEP_1)
	v_fma_f64 v[17:18], v[17:18], v[19:20], v[17:18]
	v_mul_f64 v[19:20], v[21:22], v[17:18]
	s_delay_alu instid0(VALU_DEP_1) | instskip(NEXT) | instid1(VALU_DEP_1)
	v_fma_f64 v[15:16], -v[15:16], v[19:20], v[21:22]
	v_div_fmas_f64 v[15:16], v[15:16], v[17:18], v[19:20]
	s_delay_alu instid0(VALU_DEP_1)
	v_div_fixup_f64 v[1:2], v[15:16], v[3:4], v[1:2]
	v_add_nc_u32_e32 v3, 0x1100, v10
	ds_store_b64 v3, v[1:2]
	s_waitcnt lgkmcnt(0)
	s_waitcnt_vscnt null, 0x0
	buffer_gl0_inv
	s_and_b32 exec_lo, exec_lo, s0
	s_cbranch_execz .LBB29_108
; %bb.117:                              ;   in Loop: Header=BB29_109 Depth=1
	v_dual_mov_b32 v3, v5 :: v_dual_mov_b32 v4, v6
	v_mov_b32_e32 v10, v12
	s_mov_b32 s5, 0
	.p2align	6
.LBB29_118:                             ;   Parent Loop BB29_109 Depth=1
                                        ; =>  This Inner Loop Header: Depth=2
	ds_load_b64 v[15:16], v4
	ds_load_b64 v[17:18], v3
	v_add_nc_u32_e32 v10, 4, v10
	v_add_nc_u32_e32 v4, 0x220, v4
	s_delay_alu instid0(VALU_DEP_2)
	v_cmp_le_i32_e32 vcc_lo, s29, v10
	s_or_b32 s5, vcc_lo, s5
	s_waitcnt lgkmcnt(0)
	v_fma_f64 v[15:16], v[1:2], v[15:16], v[17:18]
	ds_store_b64 v3, v[15:16]
	v_add_nc_u32_e32 v3, 32, v3
	s_and_not1_b32 exec_lo, exec_lo, s5
	s_cbranch_execnz .LBB29_118
	s_branch .LBB29_108
.LBB29_119:
	s_and_saveexec_b32 s1, s0
	s_cbranch_execz .LBB29_128
; %bb.120:
	s_mul_i32 s28, s28, s29
	v_cmp_gt_i32_e64 s0, s29, v0
	v_add_nc_u32_e32 v1, s28, v0
	v_add3_u32 v6, v13, v14, 0x1100
	v_mov_b32_e32 v7, v12
	s_cmp_lg_u32 s30, 0
	s_mov_b32 s2, 0
	v_mul_lo_u32 v5, v1, s29
	s_cselect_b32 s3, -1, 0
	s_set_inst_prefetch_distance 0x1
	s_branch .LBB29_123
	.p2align	6
.LBB29_121:                             ;   in Loop: Header=BB29_123 Depth=1
	s_delay_alu instid0(VALU_DEP_1) | instskip(NEXT) | instid1(VALU_DEP_1)
	v_ashrrev_i32_e32 v4, 31, v3
	v_lshlrev_b64 v[3:4], 3, v[3:4]
	s_delay_alu instid0(VALU_DEP_1) | instskip(NEXT) | instid1(VALU_DEP_2)
	v_add_co_u32 v3, vcc_lo, s18, v3
	v_add_co_ci_u32_e32 v4, vcc_lo, s19, v4, vcc_lo
	s_waitcnt lgkmcnt(0)
	global_store_b64 v[3:4], v[1:2], off
.LBB29_122:                             ;   in Loop: Header=BB29_123 Depth=1
	s_or_b32 exec_lo, exec_lo, s4
	v_add_nc_u32_e32 v7, 4, v7
	v_add_nc_u32_e32 v6, 32, v6
	s_delay_alu instid0(VALU_DEP_2) | instskip(SKIP_1) | instid1(SALU_CYCLE_1)
	v_cmp_le_i32_e32 vcc_lo, s29, v7
	s_or_b32 s2, vcc_lo, s2
	s_and_not1_b32 exec_lo, exec_lo, s2
	s_cbranch_execz .LBB29_128
.LBB29_123:                             ; =>This Inner Loop Header: Depth=1
	s_and_saveexec_b32 s4, s0
	s_cbranch_execz .LBB29_122
; %bb.124:                              ;   in Loop: Header=BB29_123 Depth=1
	ds_load_b64 v[1:2], v6
	s_and_b32 vcc_lo, exec_lo, s3
	s_cbranch_vccz .LBB29_126
; %bb.125:                              ;   in Loop: Header=BB29_123 Depth=1
	v_add_nc_u32_e32 v8, s28, v7
	s_waitcnt lgkmcnt(0)
	s_delay_alu instid0(VALU_DEP_1)
	v_mad_u64_u32 v[3:4], null, v8, s29, v[0:1]
	s_cbranch_execnz .LBB29_121
	s_branch .LBB29_127
.LBB29_126:                             ;   in Loop: Header=BB29_123 Depth=1
                                        ; implicit-def: $vgpr3
.LBB29_127:                             ;   in Loop: Header=BB29_123 Depth=1
	v_add_nc_u32_e32 v3, v5, v7
	s_branch .LBB29_121
.LBB29_128:
	s_set_inst_prefetch_distance 0x2
	s_or_b32 exec_lo, exec_lo, s1
	v_or_b32_e32 v1, v12, v0
	s_delay_alu instid0(VALU_DEP_1)
	v_cmp_eq_u32_e64 s3, 0, v1
.LBB29_129:
	s_delay_alu instid0(VALU_DEP_1)
	s_and_saveexec_b32 s0, s3
	s_cbranch_execnz .LBB29_137
.LBB29_130:
	s_nop 0
	s_sendmsg sendmsg(MSG_DEALLOC_VGPRS)
	s_endpgm
.LBB29_131:
	s_cbranch_execz .LBB29_129
; %bb.132:
	v_or_b32_e32 v0, v12, v0
	s_mov_b32 s0, exec_lo
	s_delay_alu instid0(VALU_DEP_1)
	v_cmpx_eq_u32_e32 0, v0
	s_cbranch_execz .LBB29_136
; %bb.133:
	v_mbcnt_lo_u32_b32 v0, exec_lo, 0
	s_mov_b32 s1, exec_lo
	s_delay_alu instid0(VALU_DEP_1)
	v_cmpx_eq_u32_e32 0, v0
	s_cbranch_execz .LBB29_135
; %bb.134:
	s_add_i32 s2, s16, s17
	s_delay_alu instid0(SALU_CYCLE_1)
	v_dual_mov_b32 v0, 0 :: v_dual_mov_b32 v1, s2
	global_atomic_min_i32 v0, v1, s[10:11]
.LBB29_135:
	s_or_b32 exec_lo, exec_lo, s1
	s_delay_alu instid0(SALU_CYCLE_1)
	s_or_b32 s3, s3, exec_lo
.LBB29_136:
	s_or_b32 exec_lo, exec_lo, s0
	s_and_saveexec_b32 s0, s3
	s_cbranch_execz .LBB29_130
.LBB29_137:
	v_dual_mov_b32 v0, 0 :: v_dual_mov_b32 v1, 1
	s_add_u32 s0, s6, s8
	s_addc_u32 s1, s7, s9
	s_waitcnt_vscnt null, 0x0
	global_store_b32 v0, v1, s[0:1]
	s_nop 0
	s_sendmsg sendmsg(MSG_DEALLOC_VGPRS)
	s_endpgm
	.section	.rodata,"a",@progbits
	.p2align	6, 0x0
	.amdhsa_kernel _ZN9rocsparseL18bsric0_9_16_kernelILi64ELi32ELi16EdEEv20rocsparse_direction_iiPKiS3_PT2_S3_PiS3_S6_21rocsparse_index_base_
		.amdhsa_group_segment_fixed_size 9088
		.amdhsa_private_segment_fixed_size 0
		.amdhsa_kernarg_size 76
		.amdhsa_user_sgpr_count 15
		.amdhsa_user_sgpr_dispatch_ptr 0
		.amdhsa_user_sgpr_queue_ptr 0
		.amdhsa_user_sgpr_kernarg_segment_ptr 1
		.amdhsa_user_sgpr_dispatch_id 0
		.amdhsa_user_sgpr_private_segment_size 0
		.amdhsa_wavefront_size32 1
		.amdhsa_uses_dynamic_stack 0
		.amdhsa_enable_private_segment 0
		.amdhsa_system_sgpr_workgroup_id_x 1
		.amdhsa_system_sgpr_workgroup_id_y 0
		.amdhsa_system_sgpr_workgroup_id_z 0
		.amdhsa_system_sgpr_workgroup_info 0
		.amdhsa_system_vgpr_workitem_id 1
		.amdhsa_next_free_vgpr 29
		.amdhsa_next_free_sgpr 44
		.amdhsa_reserve_vcc 1
		.amdhsa_float_round_mode_32 0
		.amdhsa_float_round_mode_16_64 0
		.amdhsa_float_denorm_mode_32 3
		.amdhsa_float_denorm_mode_16_64 3
		.amdhsa_dx10_clamp 1
		.amdhsa_ieee_mode 1
		.amdhsa_fp16_overflow 0
		.amdhsa_workgroup_processor_mode 1
		.amdhsa_memory_ordered 1
		.amdhsa_forward_progress 0
		.amdhsa_shared_vgpr_count 0
		.amdhsa_exception_fp_ieee_invalid_op 0
		.amdhsa_exception_fp_denorm_src 0
		.amdhsa_exception_fp_ieee_div_zero 0
		.amdhsa_exception_fp_ieee_overflow 0
		.amdhsa_exception_fp_ieee_underflow 0
		.amdhsa_exception_fp_ieee_inexact 0
		.amdhsa_exception_int_div_zero 0
	.end_amdhsa_kernel
	.section	.text._ZN9rocsparseL18bsric0_9_16_kernelILi64ELi32ELi16EdEEv20rocsparse_direction_iiPKiS3_PT2_S3_PiS3_S6_21rocsparse_index_base_,"axG",@progbits,_ZN9rocsparseL18bsric0_9_16_kernelILi64ELi32ELi16EdEEv20rocsparse_direction_iiPKiS3_PT2_S3_PiS3_S6_21rocsparse_index_base_,comdat
.Lfunc_end29:
	.size	_ZN9rocsparseL18bsric0_9_16_kernelILi64ELi32ELi16EdEEv20rocsparse_direction_iiPKiS3_PT2_S3_PiS3_S6_21rocsparse_index_base_, .Lfunc_end29-_ZN9rocsparseL18bsric0_9_16_kernelILi64ELi32ELi16EdEEv20rocsparse_direction_iiPKiS3_PT2_S3_PiS3_S6_21rocsparse_index_base_
                                        ; -- End function
	.section	.AMDGPU.csdata,"",@progbits
; Kernel info:
; codeLenInByte = 4404
; NumSgprs: 46
; NumVgprs: 29
; ScratchSize: 0
; MemoryBound: 0
; FloatMode: 240
; IeeeMode: 1
; LDSByteSize: 9088 bytes/workgroup (compile time only)
; SGPRBlocks: 5
; VGPRBlocks: 3
; NumSGPRsForWavesPerEU: 46
; NumVGPRsForWavesPerEU: 29
; Occupancy: 7
; WaveLimiterHint : 1
; COMPUTE_PGM_RSRC2:SCRATCH_EN: 0
; COMPUTE_PGM_RSRC2:USER_SGPR: 15
; COMPUTE_PGM_RSRC2:TRAP_HANDLER: 0
; COMPUTE_PGM_RSRC2:TGID_X_EN: 1
; COMPUTE_PGM_RSRC2:TGID_Y_EN: 0
; COMPUTE_PGM_RSRC2:TGID_Z_EN: 0
; COMPUTE_PGM_RSRC2:TIDIG_COMP_CNT: 1
	.section	.text._ZN9rocsparseL19bsric0_17_32_kernelILi64ELi32ELi32EdEEv20rocsparse_direction_iiPKiS3_PT2_S3_PiS3_S6_21rocsparse_index_base_,"axG",@progbits,_ZN9rocsparseL19bsric0_17_32_kernelILi64ELi32ELi32EdEEv20rocsparse_direction_iiPKiS3_PT2_S3_PiS3_S6_21rocsparse_index_base_,comdat
	.globl	_ZN9rocsparseL19bsric0_17_32_kernelILi64ELi32ELi32EdEEv20rocsparse_direction_iiPKiS3_PT2_S3_PiS3_S6_21rocsparse_index_base_ ; -- Begin function _ZN9rocsparseL19bsric0_17_32_kernelILi64ELi32ELi32EdEEv20rocsparse_direction_iiPKiS3_PT2_S3_PiS3_S6_21rocsparse_index_base_
	.p2align	8
	.type	_ZN9rocsparseL19bsric0_17_32_kernelILi64ELi32ELi32EdEEv20rocsparse_direction_iiPKiS3_PT2_S3_PiS3_S6_21rocsparse_index_base_,@function
_ZN9rocsparseL19bsric0_17_32_kernelILi64ELi32ELi32EdEEv20rocsparse_direction_iiPKiS3_PT2_S3_PiS3_S6_21rocsparse_index_base_: ; @_ZN9rocsparseL19bsric0_17_32_kernelILi64ELi32ELi32EdEEv20rocsparse_direction_iiPKiS3_PT2_S3_PiS3_S6_21rocsparse_index_base_
; %bb.0:
	s_load_b256 s[4:11], s[0:1], 0x28
	s_mov_b32 s2, s15
	s_mov_b32 s3, 0
	v_and_b32_e32 v12, 0x3ff, v0
	s_lshl_b64 s[12:13], s[2:3], 2
	v_bfe_u32 v0, v0, 10, 10
	s_waitcnt lgkmcnt(0)
	s_add_u32 s8, s8, s12
	s_addc_u32 s9, s9, s13
	s_load_b32 s16, s[8:9], 0x0
	s_waitcnt lgkmcnt(0)
	s_ashr_i32 s17, s16, 31
	s_delay_alu instid0(SALU_CYCLE_1) | instskip(NEXT) | instid1(SALU_CYCLE_1)
	s_lshl_b64 s[8:9], s[16:17], 2
	s_add_u32 s12, s4, s8
	s_addc_u32 s13, s5, s9
	s_load_b32 s28, s[12:13], 0x0
	s_load_b32 s17, s[0:1], 0x48
	s_waitcnt lgkmcnt(0)
	s_cmp_lg_u32 s28, -1
	s_cbranch_scc0 .LBB30_119
; %bb.1:
	s_clause 0x1
	s_load_b128 s[12:15], s[0:1], 0x10
	s_load_b64 s[18:19], s[0:1], 0x20
	v_lshlrev_b32_e32 v1, 1, v0
	v_lshlrev_b32_e32 v15, 3, v0
	s_waitcnt lgkmcnt(0)
	s_add_u32 s2, s12, s8
	s_addc_u32 s3, s13, s9
	s_load_b32 s2, s[2:3], 0x0
	s_waitcnt lgkmcnt(0)
	s_sub_i32 s3, s2, s17
	s_mov_b32 s2, exec_lo
	v_add3_u32 v1, v1, v12, s3
	s_delay_alu instid0(VALU_DEP_1)
	v_cmpx_ge_i32_e64 s28, v1
	s_cbranch_execz .LBB30_4
; %bb.2:
	v_lshlrev_b32_e32 v2, 2, v12
	s_mov_b32 s20, 0
	s_delay_alu instid0(VALU_DEP_1)
	v_add3_u32 v3, v15, v2, 0x6400
	.p2align	6
.LBB30_3:                               ; =>This Inner Loop Header: Depth=1
	v_ashrrev_i32_e32 v2, 31, v1
	s_delay_alu instid0(VALU_DEP_1) | instskip(SKIP_1) | instid1(VALU_DEP_2)
	v_lshlrev_b64 v[4:5], 2, v[1:2]
	v_add_nc_u32_e32 v1, 64, v1
	v_add_co_u32 v4, vcc_lo, s14, v4
	s_delay_alu instid0(VALU_DEP_3) | instskip(NEXT) | instid1(VALU_DEP_3)
	v_add_co_ci_u32_e32 v5, vcc_lo, s15, v5, vcc_lo
	v_cmp_lt_i32_e32 vcc_lo, s28, v1
	global_load_b32 v2, v[4:5], off
	s_or_b32 s20, vcc_lo, s20
	s_waitcnt vmcnt(0)
	v_subrev_nc_u32_e32 v2, s17, v2
	ds_store_b32 v3, v2
	v_add_nc_u32_e32 v3, 0x100, v3
	s_and_not1_b32 exec_lo, exec_lo, s20
	s_cbranch_execnz .LBB30_3
.LBB30_4:
	s_or_b32 exec_lo, exec_lo, s2
	v_mul_u32_u24_e32 v13, 0x108, v0
	v_lshlrev_b32_e32 v14, 3, v12
	s_mov_b32 s2, exec_lo
	v_cmpx_gt_u32_e32 32, v12
	s_cbranch_execz .LBB30_7
; %bb.5:
	v_mov_b32_e32 v1, 0
	v_add_nc_u32_e32 v3, -2, v12
	v_add3_u32 v4, v13, v14, 0x4200
	s_mov_b32 s20, 0
	s_delay_alu instid0(VALU_DEP_3)
	v_mov_b32_e32 v2, v1
.LBB30_6:                               ; =>This Inner Loop Header: Depth=1
	s_delay_alu instid0(VALU_DEP_3) | instskip(SKIP_4) | instid1(SALU_CYCLE_1)
	v_add_nc_u32_e32 v3, 2, v3
	ds_store_b64 v4, v[1:2]
	v_add_nc_u32_e32 v4, 16, v4
	v_cmp_lt_u32_e32 vcc_lo, 29, v3
	s_or_b32 s20, vcc_lo, s20
	s_and_not1_b32 exec_lo, exec_lo, s20
	s_cbranch_execnz .LBB30_6
.LBB30_7:
	s_or_b32 exec_lo, exec_lo, s2
	s_clause 0x1
	s_load_b32 s29, s[0:1], 0x8
	s_load_b32 s30, s[0:1], 0x0
	s_cmp_ge_i32 s3, s28
	s_waitcnt lgkmcnt(0)
	buffer_gl0_inv
	v_cmp_gt_i32_e64 s0, s29, v12
	s_cbranch_scc1 .LBB30_80
; %bb.8:
	v_mad_u64_u32 v[1:2], null, s29, s3, v[0:1]
	v_or_b32_e32 v2, v12, v0
	v_mad_u32_u24 v17, 0x108, v0, v14
	s_cmp_eq_u32 s30, 0
	v_mul_lo_u32 v16, v0, s29
	v_mul_lo_u32 v18, v12, s29
	s_movk_i32 s20, 0x2100
	v_mul_lo_u32 v20, s29, v1
	s_cselect_b32 s31, -1, 0
	s_cmp_lg_u32 s30, 0
	v_cmp_gt_i32_e64 s1, s29, v0
	v_cmp_ne_u32_e64 s2, 0, v2
	v_mad_u32_u24 v19, 0x108, v0, s20
	v_mad_u32_u24 v21, 0x108, v12, s20
	v_dual_mov_b32 v1, 0 :: v_dual_add_nc_u32 v22, 0x4200, v17
	v_add_nc_u32_e32 v23, 0x2100, v17
	s_cselect_b32 s33, -1, 0
	s_cmp_gt_i32 s29, 0
	s_mul_i32 s35, s29, s29
	s_cselect_b32 s34, -1, 0
	s_lshl_b32 s36, s29, 1
	s_mov_b32 s20, s3
	s_branch .LBB30_10
.LBB30_9:                               ;   in Loop: Header=BB30_10 Depth=1
	s_set_inst_prefetch_distance 0x2
	s_or_b32 exec_lo, exec_lo, s22
	s_add_i32 s20, s20, 1
	v_add_nc_u32_e32 v20, s35, v20
	s_cmp_ge_i32 s20, s28
	s_waitcnt_vscnt null, 0x0
	buffer_gl1_inv
	buffer_gl0_inv
	s_cselect_b32 s21, -1, 0
	s_delay_alu instid0(SALU_CYCLE_1)
	s_and_b32 vcc_lo, exec_lo, s21
	s_cbranch_vccnz .LBB30_80
.LBB30_10:                              ; =>This Loop Header: Depth=1
                                        ;     Child Loop BB30_14 Depth 2
                                        ;     Child Loop BB30_27 Depth 2
	;; [unrolled: 1-line block ×4, first 2 shown]
                                        ;       Child Loop BB30_45 Depth 3
                                        ;     Child Loop BB30_58 Depth 2
                                        ;       Child Loop BB30_65 Depth 3
                                        ;       Child Loop BB30_69 Depth 3
                                        ;     Child Loop BB30_74 Depth 2
	s_ashr_i32 s21, s20, 31
	s_delay_alu instid0(SALU_CYCLE_1) | instskip(NEXT) | instid1(SALU_CYCLE_1)
	s_lshl_b64 s[22:23], s[20:21], 2
	s_add_u32 s22, s14, s22
	s_addc_u32 s23, s15, s23
	s_load_b32 s37, s[22:23], 0x0
	s_waitcnt lgkmcnt(0)
	s_sub_i32 s24, s37, s17
	s_delay_alu instid0(SALU_CYCLE_1) | instskip(NEXT) | instid1(SALU_CYCLE_1)
	s_ashr_i32 s25, s24, 31
	s_lshl_b64 s[22:23], s[24:25], 2
	s_delay_alu instid0(SALU_CYCLE_1)
	s_add_u32 s26, s4, s22
	s_addc_u32 s27, s5, s23
	s_load_b32 s25, s[26:27], 0x0
	s_waitcnt lgkmcnt(0)
	s_cmp_eq_u32 s25, -1
	s_cbranch_scc1 .LBB30_79
; %bb.11:                               ;   in Loop: Header=BB30_10 Depth=1
	s_add_u32 s26, s12, s22
	s_addc_u32 s27, s13, s23
	s_mul_i32 s21, s20, s29
	s_load_b32 s38, s[26:27], 0x0
	s_and_saveexec_b32 s39, s0
	s_cbranch_execz .LBB30_24
; %bb.12:                               ;   in Loop: Header=BB30_10 Depth=1
	v_dual_mov_b32 v5, v17 :: v_dual_mov_b32 v6, v12
	s_mov_b32 s40, 0
	s_branch .LBB30_14
.LBB30_13:                              ;   in Loop: Header=BB30_14 Depth=2
	s_or_b32 exec_lo, exec_lo, s26
	v_add_nc_u32_e32 v6, 2, v6
	v_mov_b32_e32 v2, v1
	s_waitcnt vmcnt(0)
	ds_store_b64 v5, v[3:4] offset:8448
	ds_store_b64 v5, v[1:2]
	v_add_nc_u32_e32 v5, 16, v5
	v_cmp_le_i32_e32 vcc_lo, s29, v6
	s_or_b32 s40, vcc_lo, s40
	s_delay_alu instid0(SALU_CYCLE_1)
	s_and_not1_b32 exec_lo, exec_lo, s40
	s_cbranch_execz .LBB30_24
.LBB30_14:                              ;   Parent Loop BB30_10 Depth=1
                                        ; =>  This Inner Loop Header: Depth=2
	s_and_b32 vcc_lo, exec_lo, s33
	s_cbranch_vccz .LBB30_18
; %bb.15:                               ;   in Loop: Header=BB30_14 Depth=2
	s_mov_b32 s42, 0
	s_mov_b32 s41, 0
                                        ; implicit-def: $vgpr2
	s_and_saveexec_b32 s26, s1
	s_delay_alu instid0(SALU_CYCLE_1)
	s_xor_b32 s26, exec_lo, s26
; %bb.16:                               ;   in Loop: Header=BB30_14 Depth=2
	v_add_nc_u32_e32 v4, s21, v6
	s_mov_b32 s41, exec_lo
	s_delay_alu instid0(VALU_DEP_1)
	v_mad_u64_u32 v[2:3], null, v4, s29, v[0:1]
; %bb.17:                               ;   in Loop: Header=BB30_14 Depth=2
	s_or_b32 exec_lo, exec_lo, s26
	s_mov_b64 s[26:27], 0
	s_and_b32 vcc_lo, exec_lo, s42
	s_cbranch_vccnz .LBB30_19
	s_branch .LBB30_22
.LBB30_18:                              ;   in Loop: Header=BB30_14 Depth=2
	s_mov_b32 s41, 0
                                        ; implicit-def: $vgpr2
                                        ; implicit-def: $sgpr26_sgpr27
	s_cbranch_execz .LBB30_22
.LBB30_19:                              ;   in Loop: Header=BB30_14 Depth=2
                                        ; implicit-def: $vgpr2
	s_and_saveexec_b32 s26, s1
; %bb.20:                               ;   in Loop: Header=BB30_14 Depth=2
	v_add_nc_u32_e32 v2, v20, v6
	s_or_b32 s41, s41, exec_lo
; %bb.21:                               ;   in Loop: Header=BB30_14 Depth=2
	s_or_b32 exec_lo, exec_lo, s26
	s_mov_b64 s[26:27], 0
.LBB30_22:                              ;   in Loop: Header=BB30_14 Depth=2
	s_delay_alu instid0(SALU_CYCLE_1)
	v_dual_mov_b32 v3, s26 :: v_dual_mov_b32 v4, s27
	s_and_saveexec_b32 s26, s41
	s_cbranch_execz .LBB30_13
; %bb.23:                               ;   in Loop: Header=BB30_14 Depth=2
	v_ashrrev_i32_e32 v3, 31, v2
	s_delay_alu instid0(VALU_DEP_1) | instskip(NEXT) | instid1(VALU_DEP_1)
	v_lshlrev_b64 v[2:3], 3, v[2:3]
	v_add_co_u32 v2, vcc_lo, s18, v2
	s_delay_alu instid0(VALU_DEP_2)
	v_add_co_ci_u32_e32 v3, vcc_lo, s19, v3, vcc_lo
	global_load_b64 v[3:4], v[2:3], off
	s_branch .LBB30_13
.LBB30_24:                              ;   in Loop: Header=BB30_10 Depth=1
	s_or_b32 exec_lo, exec_lo, s39
; %bb.25:                               ;   in Loop: Header=BB30_10 Depth=1
	ds_load_b32 v2, v1 offset:25600
	s_waitcnt lgkmcnt(0)
	s_sub_i32 s26, s38, s17
	s_delay_alu instid0(SALU_CYCLE_1) | instskip(SKIP_3) | instid1(SALU_CYCLE_1)
	s_cmp_le_i32 s26, s25
	s_cselect_b32 s27, -1, 0
	v_cmp_ge_i32_e32 vcc_lo, s24, v2
	s_and_b32 s27, s27, vcc_lo
	s_and_not1_b32 vcc_lo, exec_lo, s27
	s_mov_b32 s27, 0
	s_cbranch_vccnz .LBB30_37
; %bb.26:                               ;   in Loop: Header=BB30_10 Depth=1
	s_mov_b32 s38, 0
	s_mov_b32 s39, 0
.LBB30_27:                              ;   Parent Loop BB30_10 Depth=1
                                        ; =>  This Inner Loop Header: Depth=2
	s_ashr_i32 s27, s26, 31
	s_mov_b32 s43, -1
	s_lshl_b64 s[40:41], s[26:27], 2
                                        ; implicit-def: $sgpr42
	s_delay_alu instid0(SALU_CYCLE_1) | instskip(SKIP_2) | instid1(SALU_CYCLE_1)
	s_add_u32 s40, s14, s40
	s_addc_u32 s41, s15, s41
	s_lshl_b32 s27, s39, 2
	v_mov_b32_e32 v2, s27
	s_load_b32 s27, s[40:41], 0x0
                                        ; implicit-def: $sgpr41
	ds_load_b32 v2, v2 offset:25600
	s_waitcnt lgkmcnt(0)
	s_sub_i32 s44, s27, s17
                                        ; implicit-def: $sgpr27
	s_delay_alu instid0(SALU_CYCLE_1)
	v_cmp_ge_i32_e32 vcc_lo, s44, v2
	v_readfirstlane_b32 s40, v2
	s_cbranch_vccz .LBB30_33
; %bb.28:                               ;   in Loop: Header=BB30_27 Depth=2
	s_delay_alu instid0(VALU_DEP_1)
	s_cmp_le_i32 s44, s40
                                        ; implicit-def: $sgpr27
                                        ; implicit-def: $sgpr42
                                        ; implicit-def: $sgpr41
	s_cbranch_scc0 .LBB30_30
; %bb.29:                               ;   in Loop: Header=BB30_27 Depth=2
	s_add_i32 s27, s39, s3
	s_lshl_b32 s41, s38, 2
	s_mul_i32 s27, s27, s35
	s_mul_i32 s42, s26, s35
	s_delay_alu instid0(SALU_CYCLE_1)
	v_dual_mov_b32 v2, s27 :: v_dual_mov_b32 v3, s42
	v_add_nc_u32_e64 v4, 0x6000, s41
	s_add_i32 s41, s39, 1
	s_add_i32 s42, s26, 1
	;; [unrolled: 1-line block ×3, first 2 shown]
	s_mov_b32 s43, 0
	ds_store_2addr_b32 v4, v3, v2 offset0:192 offset1:224
.LBB30_30:                              ;   in Loop: Header=BB30_27 Depth=2
	s_and_not1_b32 vcc_lo, exec_lo, s43
	s_cbranch_vccnz .LBB30_32
; %bb.31:                               ;   in Loop: Header=BB30_27 Depth=2
	s_add_i32 s41, s39, 1
	s_mov_b32 s27, s38
	s_mov_b32 s42, s26
.LBB30_32:                              ;   in Loop: Header=BB30_27 Depth=2
	s_mov_b32 s43, 0
.LBB30_33:                              ;   in Loop: Header=BB30_27 Depth=2
	s_delay_alu instid0(SALU_CYCLE_1)
	s_and_not1_b32 vcc_lo, exec_lo, s43
	s_cbranch_vccnz .LBB30_35
; %bb.34:                               ;   in Loop: Header=BB30_27 Depth=2
	s_add_i32 s42, s26, 1
	s_mov_b32 s41, s39
	s_mov_b32 s27, s38
.LBB30_35:                              ;   in Loop: Header=BB30_27 Depth=2
	s_cmp_le_i32 s42, s25
	s_cselect_b32 s26, -1, 0
	s_cmp_le_i32 s40, s24
	s_cselect_b32 s38, -1, 0
	s_delay_alu instid0(SALU_CYCLE_1) | instskip(NEXT) | instid1(SALU_CYCLE_1)
	s_and_b32 s26, s26, s38
	s_and_b32 vcc_lo, exec_lo, s26
	s_cbranch_vccz .LBB30_37
; %bb.36:                               ;   in Loop: Header=BB30_27 Depth=2
	s_mov_b32 s38, s27
	s_mov_b32 s26, s42
	;; [unrolled: 1-line block ×3, first 2 shown]
	s_branch .LBB30_27
.LBB30_37:                              ;   in Loop: Header=BB30_10 Depth=1
	s_add_u32 s22, s6, s22
	s_addc_u32 s23, s7, s23
	s_waitcnt lgkmcnt(0)
	buffer_gl0_inv
.LBB30_38:                              ;   Parent Loop BB30_10 Depth=1
                                        ; =>  This Inner Loop Header: Depth=2
	global_load_b32 v2, v1, s[22:23] glc
	s_waitcnt vmcnt(0)
	v_cmp_eq_u32_e32 vcc_lo, 0, v2
	s_cbranch_vccnz .LBB30_38
; %bb.39:                               ;   in Loop: Header=BB30_10 Depth=1
	s_cmp_lt_i32 s27, 2
	buffer_gl1_inv
	buffer_gl0_inv
	s_cbranch_scc1 .LBB30_55
; %bb.40:                               ;   in Loop: Header=BB30_10 Depth=1
	s_add_i32 s22, s27, -2
	s_mov_b32 s23, 0
	s_branch .LBB30_42
.LBB30_41:                              ;   in Loop: Header=BB30_42 Depth=2
	s_or_b32 exec_lo, exec_lo, s24
	s_add_i32 s24, s23, 1
	s_cmp_eq_u32 s23, s22
	s_mov_b32 s23, s24
	s_cbranch_scc1 .LBB30_55
.LBB30_42:                              ;   Parent Loop BB30_10 Depth=1
                                        ; =>  This Loop Header: Depth=2
                                        ;       Child Loop BB30_45 Depth 3
	s_and_saveexec_b32 s24, s0
	s_cbranch_execz .LBB30_41
; %bb.43:                               ;   in Loop: Header=BB30_42 Depth=2
	s_lshl_b32 s26, s23, 2
	v_mov_b32_e32 v28, v12
	v_add_nc_u32_e64 v2, 0x6000, s26
	s_mov_b32 s26, 0
	ds_load_2addr_b32 v[2:3], v2 offset0:192 offset1:224
	s_waitcnt lgkmcnt(0)
	v_add_nc_u32_e32 v24, v3, v16
	v_add_nc_u32_e32 v25, v0, v3
	;; [unrolled: 1-line block ×4, first 2 shown]
	s_branch .LBB30_45
.LBB30_44:                              ;   in Loop: Header=BB30_45 Depth=3
	v_lshlrev_b32_e32 v2, 3, v28
	v_add_nc_u32_e32 v28, 2, v28
	v_add_nc_u32_e32 v26, 2, v26
	;; [unrolled: 1-line block ×3, first 2 shown]
	s_delay_alu instid0(VALU_DEP_4) | instskip(NEXT) | instid1(VALU_DEP_4)
	v_mad_u32_u24 v4, 0x108, v0, v2
	v_cmp_le_i32_e32 vcc_lo, s29, v28
	ds_load_b64 v[2:3], v4
	s_or_b32 s26, vcc_lo, s26
	s_waitcnt lgkmcnt(0)
	v_add_f64 v[2:3], v[8:9], v[2:3]
	ds_store_b64 v4, v[2:3]
	s_and_not1_b32 exec_lo, exec_lo, s26
	s_cbranch_execz .LBB30_41
.LBB30_45:                              ;   Parent Loop BB30_10 Depth=1
                                        ;     Parent Loop BB30_42 Depth=2
                                        ; =>    This Inner Loop Header: Depth=3
	v_mov_b32_e32 v6, 0
	s_delay_alu instid0(VALU_DEP_3)
	v_dual_mov_b32 v7, 0 :: v_dual_mov_b32 v2, v26
	v_mov_b32_e32 v4, v25
	s_mov_b32 s27, 0
	s_and_b32 vcc_lo, exec_lo, s33
	s_cbranch_vccz .LBB30_49
.LBB30_46:                              ;   in Loop: Header=BB30_45 Depth=3
	v_ashrrev_i32_e32 v3, 31, v2
	v_mov_b32_e32 v10, 0
	v_mov_b32_e32 v11, 0
	s_delay_alu instid0(VALU_DEP_3) | instskip(NEXT) | instid1(VALU_DEP_1)
	v_lshlrev_b64 v[8:9], 3, v[2:3]
	v_add_co_u32 v8, vcc_lo, s18, v8
	s_delay_alu instid0(VALU_DEP_2)
	v_add_co_ci_u32_e32 v9, vcc_lo, s19, v9, vcc_lo
	global_load_b64 v[8:9], v[8:9], off
	s_and_saveexec_b32 s38, s1
	s_cbranch_execz .LBB30_48
; %bb.47:                               ;   in Loop: Header=BB30_45 Depth=3
	v_ashrrev_i32_e32 v5, 31, v4
	s_delay_alu instid0(VALU_DEP_1) | instskip(NEXT) | instid1(VALU_DEP_1)
	v_lshlrev_b64 v[10:11], 3, v[4:5]
	v_add_co_u32 v10, vcc_lo, s18, v10
	s_delay_alu instid0(VALU_DEP_2)
	v_add_co_ci_u32_e32 v11, vcc_lo, s19, v11, vcc_lo
	global_load_b64 v[10:11], v[10:11], off
.LBB30_48:                              ;   in Loop: Header=BB30_45 Depth=3
	s_or_b32 exec_lo, exec_lo, s38
	s_waitcnt vmcnt(0)
	v_fma_f64 v[8:9], v[8:9], v[10:11], v[6:7]
	s_branch .LBB30_53
.LBB30_49:                              ;   in Loop: Header=BB30_45 Depth=3
                                        ; implicit-def: $vgpr8_vgpr9
	s_cbranch_execz .LBB30_53
; %bb.50:                               ;   in Loop: Header=BB30_45 Depth=3
	v_add_nc_u32_e32 v8, s27, v27
	v_mov_b32_e32 v10, 0
	v_mov_b32_e32 v11, 0
	s_delay_alu instid0(VALU_DEP_3) | instskip(NEXT) | instid1(VALU_DEP_1)
	v_ashrrev_i32_e32 v9, 31, v8
	v_lshlrev_b64 v[8:9], 3, v[8:9]
	s_delay_alu instid0(VALU_DEP_1) | instskip(NEXT) | instid1(VALU_DEP_2)
	v_add_co_u32 v8, vcc_lo, s18, v8
	v_add_co_ci_u32_e32 v9, vcc_lo, s19, v9, vcc_lo
	global_load_b64 v[8:9], v[8:9], off
	s_and_saveexec_b32 s38, s1
	s_cbranch_execz .LBB30_52
; %bb.51:                               ;   in Loop: Header=BB30_45 Depth=3
	v_add_nc_u32_e32 v10, s27, v24
	s_delay_alu instid0(VALU_DEP_1) | instskip(NEXT) | instid1(VALU_DEP_1)
	v_ashrrev_i32_e32 v11, 31, v10
	v_lshlrev_b64 v[10:11], 3, v[10:11]
	s_delay_alu instid0(VALU_DEP_1) | instskip(NEXT) | instid1(VALU_DEP_2)
	v_add_co_u32 v10, vcc_lo, s18, v10
	v_add_co_ci_u32_e32 v11, vcc_lo, s19, v11, vcc_lo
	global_load_b64 v[10:11], v[10:11], off
.LBB30_52:                              ;   in Loop: Header=BB30_45 Depth=3
	s_or_b32 exec_lo, exec_lo, s38
	s_waitcnt vmcnt(0)
	v_fma_f64 v[8:9], v[8:9], v[10:11], v[6:7]
.LBB30_53:                              ;   in Loop: Header=BB30_45 Depth=3
	v_add_nc_u32_e32 v4, s29, v4
	v_add_nc_u32_e32 v2, s29, v2
	s_add_i32 s27, s27, 1
	s_delay_alu instid0(SALU_CYCLE_1)
	s_cmp_eq_u32 s29, s27
	s_cbranch_scc1 .LBB30_44
; %bb.54:                               ;   in Loop: Header=BB30_45 Depth=3
	s_delay_alu instid0(VALU_DEP_3)
	v_dual_mov_b32 v6, v8 :: v_dual_mov_b32 v7, v9
	s_and_b32 vcc_lo, exec_lo, s33
	s_cbranch_vccz .LBB30_49
	s_branch .LBB30_46
.LBB30_55:                              ;   in Loop: Header=BB30_10 Depth=1
	s_and_not1_b32 vcc_lo, exec_lo, s34
	s_waitcnt lgkmcnt(0)
	buffer_gl0_inv
	s_cbranch_vccnz .LBB30_70
; %bb.56:                               ;   in Loop: Header=BB30_10 Depth=1
	v_mov_b32_e32 v8, v21
	s_mul_i32 s24, s35, s25
	s_mov_b32 s25, 0
	s_mov_b32 s26, s24
	s_branch .LBB30_58
.LBB30_57:                              ;   in Loop: Header=BB30_58 Depth=2
	s_or_b32 exec_lo, exec_lo, s22
	v_add_nc_u32_e32 v8, 8, v8
	s_add_i32 s25, s25, 1
	s_add_i32 s26, s26, 1
	s_cmp_eq_u32 s25, s29
	s_waitcnt lgkmcnt(0)
	buffer_gl0_inv
	s_cbranch_scc1 .LBB30_70
.LBB30_58:                              ;   Parent Loop BB30_10 Depth=1
                                        ; =>  This Loop Header: Depth=2
                                        ;       Child Loop BB30_65 Depth 3
                                        ;       Child Loop BB30_69 Depth 3
	s_mul_i32 s27, s25, s29
	v_lshl_add_u32 v9, s25, 3, v13
	s_add_i32 s27, s27, s24
	s_delay_alu instid0(SALU_CYCLE_1) | instskip(SKIP_2) | instid1(SALU_CYCLE_1)
	s_add_i32 s22, s27, s25
	ds_load_b64 v[2:3], v9 offset:8448
	s_ashr_i32 s23, s22, 31
	s_lshl_b64 s[22:23], s[22:23], 3
	s_delay_alu instid0(SALU_CYCLE_1)
	s_add_u32 s22, s18, s22
	s_addc_u32 s23, s19, s23
	global_load_b64 v[4:5], v1, s[22:23]
	s_waitcnt vmcnt(0)
	v_cmp_neq_f64_e32 vcc_lo, 0, v[4:5]
	v_cndmask_b32_e32 v5, 0x3ff00000, v5, vcc_lo
	v_cndmask_b32_e32 v4, 0, v4, vcc_lo
	s_or_b32 s22, vcc_lo, s2
	s_delay_alu instid0(SALU_CYCLE_1) | instskip(NEXT) | instid1(SALU_CYCLE_1)
	s_xor_b32 s23, s22, -1
	s_and_saveexec_b32 s22, s23
	s_cbranch_execz .LBB30_62
; %bb.59:                               ;   in Loop: Header=BB30_58 Depth=2
	v_mbcnt_lo_u32_b32 v4, exec_lo, 0
	s_mov_b32 s23, exec_lo
	s_delay_alu instid0(VALU_DEP_1)
	v_cmpx_eq_u32_e32 0, v4
	s_cbranch_execz .LBB30_61
; %bb.60:                               ;   in Loop: Header=BB30_58 Depth=2
	v_mov_b32_e32 v4, s37
	global_atomic_min_i32 v1, v4, s[10:11]
.LBB30_61:                              ;   in Loop: Header=BB30_58 Depth=2
	s_or_b32 exec_lo, exec_lo, s23
	v_mov_b32_e32 v4, 0
	v_mov_b32_e32 v5, 0x3ff00000
.LBB30_62:                              ;   in Loop: Header=BB30_58 Depth=2
	s_or_b32 exec_lo, exec_lo, s22
	ds_load_b64 v[6:7], v9
	s_cmp_eq_u32 s25, 0
	s_cbranch_scc1 .LBB30_67
; %bb.63:                               ;   in Loop: Header=BB30_58 Depth=2
	v_mov_b32_e32 v10, v19
	s_mov_b32 s38, 0
	s_mov_b32 s39, s26
	s_branch .LBB30_65
	.p2align	6
.LBB30_64:                              ;   in Loop: Header=BB30_65 Depth=3
	s_ashr_i32 s23, s22, 31
	ds_load_b64 v[26:27], v10
	s_lshl_b64 s[22:23], s[22:23], 3
	v_add_nc_u32_e32 v10, 8, v10
	s_add_u32 s22, s18, s22
	s_addc_u32 s23, s19, s23
	s_add_i32 s38, s38, 1
	global_load_b64 v[24:25], v1, s[22:23]
	s_add_i32 s39, s39, s29
	s_cmp_ge_u32 s38, s25
	s_waitcnt vmcnt(0) lgkmcnt(0)
	v_fma_f64 v[6:7], v[24:25], v[26:27], v[6:7]
	s_cbranch_scc1 .LBB30_67
.LBB30_65:                              ;   Parent Loop BB30_10 Depth=1
                                        ;     Parent Loop BB30_58 Depth=2
                                        ; =>    This Inner Loop Header: Depth=3
	s_and_not1_b32 vcc_lo, exec_lo, s31
	s_mov_b32 s22, s39
	s_cbranch_vccnz .LBB30_64
; %bb.66:                               ;   in Loop: Header=BB30_65 Depth=3
	s_add_i32 s22, s38, s27
	s_branch .LBB30_64
.LBB30_67:                              ;   in Loop: Header=BB30_58 Depth=2
	s_waitcnt lgkmcnt(0)
	s_delay_alu instid0(VALU_DEP_1) | instskip(SKIP_1) | instid1(VALU_DEP_2)
	v_add_f64 v[2:3], v[2:3], -v[6:7]
	v_add_nc_u32_e32 v9, 0x2100, v9
	v_div_scale_f64 v[6:7], null, v[4:5], v[4:5], v[2:3]
	v_div_scale_f64 v[26:27], vcc_lo, v[2:3], v[4:5], v[2:3]
	s_delay_alu instid0(VALU_DEP_2) | instskip(SKIP_2) | instid1(VALU_DEP_1)
	v_rcp_f64_e32 v[10:11], v[6:7]
	s_waitcnt_depctr 0xfff
	v_fma_f64 v[24:25], -v[6:7], v[10:11], 1.0
	v_fma_f64 v[10:11], v[10:11], v[24:25], v[10:11]
	s_delay_alu instid0(VALU_DEP_1) | instskip(NEXT) | instid1(VALU_DEP_1)
	v_fma_f64 v[24:25], -v[6:7], v[10:11], 1.0
	v_fma_f64 v[10:11], v[10:11], v[24:25], v[10:11]
	s_delay_alu instid0(VALU_DEP_1) | instskip(NEXT) | instid1(VALU_DEP_1)
	v_mul_f64 v[24:25], v[26:27], v[10:11]
	v_fma_f64 v[6:7], -v[6:7], v[24:25], v[26:27]
	s_delay_alu instid0(VALU_DEP_1) | instskip(NEXT) | instid1(VALU_DEP_1)
	v_div_fmas_f64 v[6:7], v[6:7], v[10:11], v[24:25]
	v_div_fixup_f64 v[2:3], v[6:7], v[4:5], v[2:3]
	ds_store_b64 v9, v[2:3]
	s_waitcnt lgkmcnt(0)
	s_waitcnt_vscnt null, 0x0
	buffer_gl0_inv
	s_and_saveexec_b32 s22, s0
	s_cbranch_execz .LBB30_57
; %bb.68:                               ;   in Loop: Header=BB30_58 Depth=2
	v_dual_mov_b32 v4, v22 :: v_dual_mov_b32 v5, v8
	v_mov_b32_e32 v6, v12
	s_mov_b32 s23, 0
	.p2align	6
.LBB30_69:                              ;   Parent Loop BB30_10 Depth=1
                                        ;     Parent Loop BB30_58 Depth=2
                                        ; =>    This Inner Loop Header: Depth=3
	ds_load_b64 v[9:10], v5
	ds_load_b64 v[24:25], v4
	v_add_nc_u32_e32 v6, 2, v6
	v_add_nc_u32_e32 v5, 0x210, v5
	s_delay_alu instid0(VALU_DEP_2)
	v_cmp_le_i32_e32 vcc_lo, s29, v6
	s_or_b32 s23, vcc_lo, s23
	s_waitcnt lgkmcnt(0)
	v_fma_f64 v[9:10], v[2:3], v[9:10], v[24:25]
	ds_store_b64 v4, v[9:10]
	v_add_nc_u32_e32 v4, 16, v4
	s_and_not1_b32 exec_lo, exec_lo, s23
	s_cbranch_execnz .LBB30_69
	s_branch .LBB30_57
.LBB30_70:                              ;   in Loop: Header=BB30_10 Depth=1
	s_and_saveexec_b32 s22, s0
	s_cbranch_execz .LBB30_9
; %bb.71:                               ;   in Loop: Header=BB30_10 Depth=1
	v_dual_mov_b32 v6, v23 :: v_dual_mov_b32 v7, v12
	s_mov_b32 s23, 0
	s_set_inst_prefetch_distance 0x1
	s_branch .LBB30_74
	.p2align	6
.LBB30_72:                              ;   in Loop: Header=BB30_74 Depth=2
	s_delay_alu instid0(VALU_DEP_1) | instskip(NEXT) | instid1(VALU_DEP_1)
	v_ashrrev_i32_e32 v5, 31, v4
	v_lshlrev_b64 v[4:5], 3, v[4:5]
	s_delay_alu instid0(VALU_DEP_1) | instskip(NEXT) | instid1(VALU_DEP_2)
	v_add_co_u32 v4, vcc_lo, s18, v4
	v_add_co_ci_u32_e32 v5, vcc_lo, s19, v5, vcc_lo
	s_waitcnt lgkmcnt(0)
	global_store_b64 v[4:5], v[2:3], off
.LBB30_73:                              ;   in Loop: Header=BB30_74 Depth=2
	s_or_b32 exec_lo, exec_lo, s24
	v_add_nc_u32_e32 v7, 2, v7
	v_add_nc_u32_e32 v6, 16, v6
	s_delay_alu instid0(VALU_DEP_2) | instskip(SKIP_1) | instid1(SALU_CYCLE_1)
	v_cmp_le_i32_e32 vcc_lo, s29, v7
	s_or_b32 s23, vcc_lo, s23
	s_and_not1_b32 exec_lo, exec_lo, s23
	s_cbranch_execz .LBB30_9
.LBB30_74:                              ;   Parent Loop BB30_10 Depth=1
                                        ; =>  This Inner Loop Header: Depth=2
	s_and_saveexec_b32 s24, s1
	s_cbranch_execz .LBB30_73
; %bb.75:                               ;   in Loop: Header=BB30_74 Depth=2
	ds_load_b64 v[2:3], v6
	s_and_b32 vcc_lo, exec_lo, s33
	s_cbranch_vccz .LBB30_77
; %bb.76:                               ;   in Loop: Header=BB30_74 Depth=2
	v_add_nc_u32_e32 v8, s21, v7
	s_delay_alu instid0(VALU_DEP_1)
	v_mad_u64_u32 v[4:5], null, v8, s29, v[0:1]
	s_cbranch_execnz .LBB30_72
	s_branch .LBB30_78
	.p2align	6
.LBB30_77:                              ;   in Loop: Header=BB30_74 Depth=2
                                        ; implicit-def: $vgpr4
.LBB30_78:                              ;   in Loop: Header=BB30_74 Depth=2
	v_add_nc_u32_e32 v4, v20, v7
	s_branch .LBB30_72
.LBB30_79:                              ;   in Loop: Header=BB30_10 Depth=1
                                        ; implicit-def: $sgpr20
                                        ; implicit-def: $vgpr20
	s_cbranch_execz .LBB30_10
.LBB30_80:
	v_cmp_gt_i32_e64 s0, s29, v12
	s_delay_alu instid0(VALU_DEP_1)
	s_and_saveexec_b32 s4, s0
	s_cbranch_execz .LBB30_93
; %bb.81:
	s_mul_i32 s5, s28, s29
	v_cmp_gt_i32_e64 s1, s29, v0
	v_dual_mov_b32 v6, v12 :: v_dual_add_nc_u32 v1, s5, v0
	v_add3_u32 v5, v13, v14, 0x2100
	s_cmp_lg_u32 s30, 0
	s_mov_b32 s12, 0
	s_delay_alu instid0(VALU_DEP_2)
	v_mul_lo_u32 v4, v1, s29
	s_cselect_b32 s13, -1, 0
	s_branch .LBB30_83
.LBB30_82:                              ;   in Loop: Header=BB30_83 Depth=1
	s_or_b32 exec_lo, exec_lo, s2
	v_add_nc_u32_e32 v6, 2, v6
	s_waitcnt vmcnt(0)
	ds_store_b64 v5, v[2:3]
	v_add_nc_u32_e32 v5, 16, v5
	v_cmp_le_i32_e32 vcc_lo, s29, v6
	s_or_b32 s12, vcc_lo, s12
	s_delay_alu instid0(SALU_CYCLE_1)
	s_and_not1_b32 exec_lo, exec_lo, s12
	s_cbranch_execz .LBB30_93
.LBB30_83:                              ; =>This Inner Loop Header: Depth=1
	s_and_b32 vcc_lo, exec_lo, s13
	s_cbranch_vccz .LBB30_88
; %bb.84:                               ;   in Loop: Header=BB30_83 Depth=1
	s_mov_b32 s15, 0
	s_mov_b32 s14, 0
                                        ; implicit-def: $vgpr1
	s_and_saveexec_b32 s2, s1
	s_delay_alu instid0(SALU_CYCLE_1)
	s_xor_b32 s2, exec_lo, s2
; %bb.85:                               ;   in Loop: Header=BB30_83 Depth=1
	v_add_nc_u32_e32 v3, s5, v6
	s_mov_b32 s14, exec_lo
	s_delay_alu instid0(VALU_DEP_1)
	v_mad_u64_u32 v[1:2], null, v3, s29, v[0:1]
; %bb.86:                               ;   in Loop: Header=BB30_83 Depth=1
	s_or_b32 exec_lo, exec_lo, s2
	s_mov_b64 s[2:3], 0
	s_and_b32 vcc_lo, exec_lo, s15
	s_cbranch_vccnz .LBB30_89
.LBB30_87:                              ;   in Loop: Header=BB30_83 Depth=1
	v_dual_mov_b32 v2, s2 :: v_dual_mov_b32 v3, s3
	s_and_saveexec_b32 s2, s14
	s_cbranch_execz .LBB30_82
	s_branch .LBB30_92
.LBB30_88:                              ;   in Loop: Header=BB30_83 Depth=1
	s_mov_b32 s14, 0
                                        ; implicit-def: $vgpr1
                                        ; implicit-def: $sgpr2_sgpr3
	s_cbranch_execz .LBB30_87
.LBB30_89:                              ;   in Loop: Header=BB30_83 Depth=1
                                        ; implicit-def: $vgpr1
	s_and_saveexec_b32 s2, s1
; %bb.90:                               ;   in Loop: Header=BB30_83 Depth=1
	v_add_nc_u32_e32 v1, v4, v6
	s_or_b32 s14, s14, exec_lo
; %bb.91:                               ;   in Loop: Header=BB30_83 Depth=1
	s_or_b32 exec_lo, exec_lo, s2
	s_mov_b64 s[2:3], 0
	s_delay_alu instid0(SALU_CYCLE_1)
	v_dual_mov_b32 v2, s2 :: v_dual_mov_b32 v3, s3
	s_and_saveexec_b32 s2, s14
	s_cbranch_execz .LBB30_82
.LBB30_92:                              ;   in Loop: Header=BB30_83 Depth=1
	v_ashrrev_i32_e32 v2, 31, v1
	s_delay_alu instid0(VALU_DEP_1) | instskip(NEXT) | instid1(VALU_DEP_1)
	v_lshlrev_b64 v[1:2], 3, v[1:2]
	v_add_co_u32 v1, vcc_lo, s18, v1
	s_delay_alu instid0(VALU_DEP_2)
	v_add_co_ci_u32_e32 v2, vcc_lo, s19, v2, vcc_lo
	global_load_b64 v[2:3], v[1:2], off
	s_branch .LBB30_82
.LBB30_93:
	s_or_b32 exec_lo, exec_lo, s4
; %bb.94:
	s_cmp_lt_i32 s29, 1
	s_waitcnt lgkmcnt(0)
	buffer_gl0_inv
	s_cbranch_scc1 .LBB30_107
; %bb.95:
	v_or_b32_e32 v1, v12, v0
	v_mad_u32_u24 v2, 0x108, v0, v15
	s_movk_i32 s2, 0x2100
	v_add3_u32 v8, v13, v14, 0x4200
	v_mad_u32_u24 v7, 0x108, v12, s2
	v_cmp_ne_u32_e64 s1, 0, v1
	v_add_nc_u32_e32 v5, 0x2100, v2
	v_dual_mov_b32 v9, 0 :: v_dual_add_nc_u32 v6, 0x4200, v2
	s_mov_b32 s2, 0
	s_add_i32 s3, s16, s17
	s_branch .LBB30_97
.LBB30_96:                              ;   in Loop: Header=BB30_97 Depth=1
	s_or_b32 exec_lo, exec_lo, s4
	v_add_nc_u32_e32 v7, 8, v7
	s_add_i32 s2, s2, 1
	s_waitcnt lgkmcnt(0)
	s_waitcnt_vscnt null, 0x0
	buffer_gl0_inv
	s_cmp_eq_u32 s2, s29
	s_cbranch_scc1 .LBB30_107
.LBB30_97:                              ; =>This Loop Header: Depth=1
                                        ;     Child Loop BB30_106 Depth 2
	s_mov_b32 s4, exec_lo
	v_cmpx_eq_u32_e64 s2, v0
	s_cbranch_execz .LBB30_99
; %bb.98:                               ;   in Loop: Header=BB30_97 Depth=1
	ds_load_b64 v[1:2], v5
	ds_load_b64 v[3:4], v6
	s_waitcnt lgkmcnt(0)
	v_add_f64 v[1:2], v[1:2], -v[3:4]
	s_delay_alu instid0(VALU_DEP_1) | instskip(SKIP_1) | instid1(VALU_DEP_1)
	v_cmp_gt_f64_e32 vcc_lo, 0, v[1:2]
	v_xor_b32_e32 v3, 0x80000000, v2
	v_dual_cndmask_b32 v2, v2, v3 :: v_dual_cndmask_b32 v1, v1, v1
	s_delay_alu instid0(VALU_DEP_1) | instskip(SKIP_1) | instid1(VALU_DEP_1)
	v_cmp_gt_f64_e32 vcc_lo, 0x10000000, v[1:2]
	v_cndmask_b32_e64 v3, 0, 1, vcc_lo
	v_lshlrev_b32_e32 v3, 8, v3
	s_delay_alu instid0(VALU_DEP_1) | instskip(NEXT) | instid1(VALU_DEP_1)
	v_ldexp_f64 v[1:2], v[1:2], v3
	v_rsq_f64_e32 v[3:4], v[1:2]
	s_waitcnt_depctr 0xfff
	v_mul_f64 v[10:11], v[1:2], v[3:4]
	v_mul_f64 v[3:4], v[3:4], 0.5
	s_delay_alu instid0(VALU_DEP_1) | instskip(NEXT) | instid1(VALU_DEP_1)
	v_fma_f64 v[15:16], -v[3:4], v[10:11], 0.5
	v_fma_f64 v[10:11], v[10:11], v[15:16], v[10:11]
	v_fma_f64 v[3:4], v[3:4], v[15:16], v[3:4]
	s_delay_alu instid0(VALU_DEP_2) | instskip(NEXT) | instid1(VALU_DEP_1)
	v_fma_f64 v[15:16], -v[10:11], v[10:11], v[1:2]
	v_fma_f64 v[10:11], v[15:16], v[3:4], v[10:11]
	s_delay_alu instid0(VALU_DEP_1) | instskip(NEXT) | instid1(VALU_DEP_1)
	v_fma_f64 v[15:16], -v[10:11], v[10:11], v[1:2]
	v_fma_f64 v[3:4], v[15:16], v[3:4], v[10:11]
	v_cndmask_b32_e64 v10, 0, 0xffffff80, vcc_lo
	v_cmp_class_f64_e64 vcc_lo, v[1:2], 0x260
	s_delay_alu instid0(VALU_DEP_2) | instskip(NEXT) | instid1(VALU_DEP_1)
	v_ldexp_f64 v[3:4], v[3:4], v10
	v_dual_cndmask_b32 v2, v4, v2 :: v_dual_cndmask_b32 v1, v3, v1
	ds_store_b64 v5, v[1:2]
.LBB30_99:                              ;   in Loop: Header=BB30_97 Depth=1
	s_or_b32 exec_lo, exec_lo, s4
	s_lshl_b32 s4, s2, 3
	s_mul_i32 s5, s2, 0x108
	s_waitcnt lgkmcnt(0)
	buffer_gl0_inv
	s_add_i32 s5, s5, s4
	v_mad_u32_u24 v10, 0x108, v0, s4
	v_mov_b32_e32 v1, s5
	ds_load_b64 v[3:4], v1 offset:8448
	ds_load_b64 v[1:2], v10 offset:8448
	s_waitcnt lgkmcnt(1)
	v_cmp_neq_f64_e32 vcc_lo, 0, v[3:4]
	v_cndmask_b32_e32 v4, 0x3ff00000, v4, vcc_lo
	v_cndmask_b32_e32 v3, 0, v3, vcc_lo
	s_or_b32 s4, vcc_lo, s1
	s_delay_alu instid0(SALU_CYCLE_1) | instskip(NEXT) | instid1(SALU_CYCLE_1)
	s_xor_b32 s5, s4, -1
	s_and_saveexec_b32 s4, s5
	s_cbranch_execz .LBB30_103
; %bb.100:                              ;   in Loop: Header=BB30_97 Depth=1
	v_mbcnt_lo_u32_b32 v3, exec_lo, 0
	s_mov_b32 s5, exec_lo
	s_delay_alu instid0(VALU_DEP_1)
	v_cmpx_eq_u32_e32 0, v3
	s_cbranch_execz .LBB30_102
; %bb.101:                              ;   in Loop: Header=BB30_97 Depth=1
	v_mov_b32_e32 v3, s3
	global_atomic_min_i32 v9, v3, s[10:11]
.LBB30_102:                             ;   in Loop: Header=BB30_97 Depth=1
	s_or_b32 exec_lo, exec_lo, s5
	v_mov_b32_e32 v3, 0
	v_mov_b32_e32 v4, 0x3ff00000
.LBB30_103:                             ;   in Loop: Header=BB30_97 Depth=1
	s_or_b32 exec_lo, exec_lo, s4
	s_delay_alu instid0(SALU_CYCLE_1)
	s_mov_b32 s4, exec_lo
	v_cmpx_lt_u32_e64 s2, v0
	s_cbranch_execz .LBB30_96
; %bb.104:                              ;   in Loop: Header=BB30_97 Depth=1
	v_lshl_add_u32 v11, s2, 3, v13
	ds_load_b64 v[15:16], v11 offset:16896
	s_waitcnt lgkmcnt(0)
	v_add_f64 v[1:2], v[1:2], -v[15:16]
	s_delay_alu instid0(VALU_DEP_1) | instskip(SKIP_1) | instid1(VALU_DEP_2)
	v_div_scale_f64 v[15:16], null, v[3:4], v[3:4], v[1:2]
	v_div_scale_f64 v[21:22], vcc_lo, v[1:2], v[3:4], v[1:2]
	v_rcp_f64_e32 v[17:18], v[15:16]
	s_waitcnt_depctr 0xfff
	v_fma_f64 v[19:20], -v[15:16], v[17:18], 1.0
	s_delay_alu instid0(VALU_DEP_1) | instskip(NEXT) | instid1(VALU_DEP_1)
	v_fma_f64 v[17:18], v[17:18], v[19:20], v[17:18]
	v_fma_f64 v[19:20], -v[15:16], v[17:18], 1.0
	s_delay_alu instid0(VALU_DEP_1) | instskip(NEXT) | instid1(VALU_DEP_1)
	v_fma_f64 v[17:18], v[17:18], v[19:20], v[17:18]
	v_mul_f64 v[19:20], v[21:22], v[17:18]
	s_delay_alu instid0(VALU_DEP_1) | instskip(NEXT) | instid1(VALU_DEP_1)
	v_fma_f64 v[15:16], -v[15:16], v[19:20], v[21:22]
	v_div_fmas_f64 v[15:16], v[15:16], v[17:18], v[19:20]
	s_delay_alu instid0(VALU_DEP_1)
	v_div_fixup_f64 v[1:2], v[15:16], v[3:4], v[1:2]
	v_add_nc_u32_e32 v3, 0x2100, v10
	ds_store_b64 v3, v[1:2]
	s_waitcnt lgkmcnt(0)
	s_waitcnt_vscnt null, 0x0
	buffer_gl0_inv
	s_and_b32 exec_lo, exec_lo, s0
	s_cbranch_execz .LBB30_96
; %bb.105:                              ;   in Loop: Header=BB30_97 Depth=1
	v_dual_mov_b32 v3, v8 :: v_dual_mov_b32 v4, v7
	v_mov_b32_e32 v10, v12
	s_mov_b32 s5, 0
	.p2align	6
.LBB30_106:                             ;   Parent Loop BB30_97 Depth=1
                                        ; =>  This Inner Loop Header: Depth=2
	ds_load_b64 v[15:16], v4
	ds_load_b64 v[17:18], v3
	v_add_nc_u32_e32 v10, 2, v10
	v_add_nc_u32_e32 v4, 0x210, v4
	s_delay_alu instid0(VALU_DEP_2)
	v_cmp_le_i32_e32 vcc_lo, s29, v10
	s_or_b32 s5, vcc_lo, s5
	s_waitcnt lgkmcnt(0)
	v_fma_f64 v[15:16], v[1:2], v[15:16], v[17:18]
	ds_store_b64 v3, v[15:16]
	v_add_nc_u32_e32 v3, 16, v3
	s_and_not1_b32 exec_lo, exec_lo, s5
	s_cbranch_execnz .LBB30_106
	s_branch .LBB30_96
.LBB30_107:
	s_and_saveexec_b32 s1, s0
	s_cbranch_execz .LBB30_116
; %bb.108:
	s_mul_i32 s28, s28, s29
	v_cmp_gt_i32_e64 s0, s29, v0
	v_add_nc_u32_e32 v1, s28, v0
	v_add3_u32 v6, v13, v14, 0x2100
	v_mov_b32_e32 v7, v12
	s_cmp_lg_u32 s30, 0
	s_mov_b32 s2, 0
	v_mul_lo_u32 v5, v1, s29
	s_cselect_b32 s3, -1, 0
	s_set_inst_prefetch_distance 0x1
	s_branch .LBB30_111
	.p2align	6
.LBB30_109:                             ;   in Loop: Header=BB30_111 Depth=1
	s_delay_alu instid0(VALU_DEP_1) | instskip(NEXT) | instid1(VALU_DEP_1)
	v_ashrrev_i32_e32 v4, 31, v3
	v_lshlrev_b64 v[3:4], 3, v[3:4]
	s_delay_alu instid0(VALU_DEP_1) | instskip(NEXT) | instid1(VALU_DEP_2)
	v_add_co_u32 v3, vcc_lo, s18, v3
	v_add_co_ci_u32_e32 v4, vcc_lo, s19, v4, vcc_lo
	s_waitcnt lgkmcnt(0)
	global_store_b64 v[3:4], v[1:2], off
.LBB30_110:                             ;   in Loop: Header=BB30_111 Depth=1
	s_or_b32 exec_lo, exec_lo, s4
	v_add_nc_u32_e32 v7, 2, v7
	v_add_nc_u32_e32 v6, 16, v6
	s_delay_alu instid0(VALU_DEP_2) | instskip(SKIP_1) | instid1(SALU_CYCLE_1)
	v_cmp_le_i32_e32 vcc_lo, s29, v7
	s_or_b32 s2, vcc_lo, s2
	s_and_not1_b32 exec_lo, exec_lo, s2
	s_cbranch_execz .LBB30_116
.LBB30_111:                             ; =>This Inner Loop Header: Depth=1
	s_and_saveexec_b32 s4, s0
	s_cbranch_execz .LBB30_110
; %bb.112:                              ;   in Loop: Header=BB30_111 Depth=1
	ds_load_b64 v[1:2], v6
	s_and_b32 vcc_lo, exec_lo, s3
	s_cbranch_vccz .LBB30_114
; %bb.113:                              ;   in Loop: Header=BB30_111 Depth=1
	v_add_nc_u32_e32 v8, s28, v7
	s_waitcnt lgkmcnt(0)
	s_delay_alu instid0(VALU_DEP_1)
	v_mad_u64_u32 v[3:4], null, v8, s29, v[0:1]
	s_cbranch_execnz .LBB30_109
	s_branch .LBB30_115
.LBB30_114:                             ;   in Loop: Header=BB30_111 Depth=1
                                        ; implicit-def: $vgpr3
.LBB30_115:                             ;   in Loop: Header=BB30_111 Depth=1
	v_add_nc_u32_e32 v3, v5, v7
	s_branch .LBB30_109
.LBB30_116:
	s_set_inst_prefetch_distance 0x2
	s_or_b32 exec_lo, exec_lo, s1
	v_or_b32_e32 v1, v12, v0
	s_delay_alu instid0(VALU_DEP_1)
	v_cmp_eq_u32_e64 s3, 0, v1
.LBB30_117:
	s_delay_alu instid0(VALU_DEP_1)
	s_and_saveexec_b32 s0, s3
	s_cbranch_execnz .LBB30_125
.LBB30_118:
	s_nop 0
	s_sendmsg sendmsg(MSG_DEALLOC_VGPRS)
	s_endpgm
.LBB30_119:
	s_cbranch_execz .LBB30_117
; %bb.120:
	v_or_b32_e32 v0, v12, v0
	s_mov_b32 s0, exec_lo
	s_delay_alu instid0(VALU_DEP_1)
	v_cmpx_eq_u32_e32 0, v0
	s_cbranch_execz .LBB30_124
; %bb.121:
	v_mbcnt_lo_u32_b32 v0, exec_lo, 0
	s_mov_b32 s1, exec_lo
	s_delay_alu instid0(VALU_DEP_1)
	v_cmpx_eq_u32_e32 0, v0
	s_cbranch_execz .LBB30_123
; %bb.122:
	s_add_i32 s2, s16, s17
	s_delay_alu instid0(SALU_CYCLE_1)
	v_dual_mov_b32 v0, 0 :: v_dual_mov_b32 v1, s2
	global_atomic_min_i32 v0, v1, s[10:11]
.LBB30_123:
	s_or_b32 exec_lo, exec_lo, s1
	s_delay_alu instid0(SALU_CYCLE_1)
	s_or_b32 s3, s3, exec_lo
.LBB30_124:
	s_or_b32 exec_lo, exec_lo, s0
	s_and_saveexec_b32 s0, s3
	s_cbranch_execz .LBB30_118
.LBB30_125:
	v_dual_mov_b32 v0, 0 :: v_dual_mov_b32 v1, 1
	s_add_u32 s0, s6, s8
	s_addc_u32 s1, s7, s9
	s_waitcnt_vscnt null, 0x0
	global_store_b32 v0, v1, s[0:1]
	s_nop 0
	s_sendmsg sendmsg(MSG_DEALLOC_VGPRS)
	s_endpgm
	.section	.rodata,"a",@progbits
	.p2align	6, 0x0
	.amdhsa_kernel _ZN9rocsparseL19bsric0_17_32_kernelILi64ELi32ELi32EdEEv20rocsparse_direction_iiPKiS3_PT2_S3_PiS3_S6_21rocsparse_index_base_
		.amdhsa_group_segment_fixed_size 25728
		.amdhsa_private_segment_fixed_size 0
		.amdhsa_kernarg_size 76
		.amdhsa_user_sgpr_count 15
		.amdhsa_user_sgpr_dispatch_ptr 0
		.amdhsa_user_sgpr_queue_ptr 0
		.amdhsa_user_sgpr_kernarg_segment_ptr 1
		.amdhsa_user_sgpr_dispatch_id 0
		.amdhsa_user_sgpr_private_segment_size 0
		.amdhsa_wavefront_size32 1
		.amdhsa_uses_dynamic_stack 0
		.amdhsa_enable_private_segment 0
		.amdhsa_system_sgpr_workgroup_id_x 1
		.amdhsa_system_sgpr_workgroup_id_y 0
		.amdhsa_system_sgpr_workgroup_id_z 0
		.amdhsa_system_sgpr_workgroup_info 0
		.amdhsa_system_vgpr_workitem_id 1
		.amdhsa_next_free_vgpr 29
		.amdhsa_next_free_sgpr 45
		.amdhsa_reserve_vcc 1
		.amdhsa_float_round_mode_32 0
		.amdhsa_float_round_mode_16_64 0
		.amdhsa_float_denorm_mode_32 3
		.amdhsa_float_denorm_mode_16_64 3
		.amdhsa_dx10_clamp 1
		.amdhsa_ieee_mode 1
		.amdhsa_fp16_overflow 0
		.amdhsa_workgroup_processor_mode 1
		.amdhsa_memory_ordered 1
		.amdhsa_forward_progress 0
		.amdhsa_shared_vgpr_count 0
		.amdhsa_exception_fp_ieee_invalid_op 0
		.amdhsa_exception_fp_denorm_src 0
		.amdhsa_exception_fp_ieee_div_zero 0
		.amdhsa_exception_fp_ieee_overflow 0
		.amdhsa_exception_fp_ieee_underflow 0
		.amdhsa_exception_fp_ieee_inexact 0
		.amdhsa_exception_int_div_zero 0
	.end_amdhsa_kernel
	.section	.text._ZN9rocsparseL19bsric0_17_32_kernelILi64ELi32ELi32EdEEv20rocsparse_direction_iiPKiS3_PT2_S3_PiS3_S6_21rocsparse_index_base_,"axG",@progbits,_ZN9rocsparseL19bsric0_17_32_kernelILi64ELi32ELi32EdEEv20rocsparse_direction_iiPKiS3_PT2_S3_PiS3_S6_21rocsparse_index_base_,comdat
.Lfunc_end30:
	.size	_ZN9rocsparseL19bsric0_17_32_kernelILi64ELi32ELi32EdEEv20rocsparse_direction_iiPKiS3_PT2_S3_PiS3_S6_21rocsparse_index_base_, .Lfunc_end30-_ZN9rocsparseL19bsric0_17_32_kernelILi64ELi32ELi32EdEEv20rocsparse_direction_iiPKiS3_PT2_S3_PiS3_S6_21rocsparse_index_base_
                                        ; -- End function
	.section	.AMDGPU.csdata,"",@progbits
; Kernel info:
; codeLenInByte = 4148
; NumSgprs: 47
; NumVgprs: 29
; ScratchSize: 0
; MemoryBound: 0
; FloatMode: 240
; IeeeMode: 1
; LDSByteSize: 25728 bytes/workgroup (compile time only)
; SGPRBlocks: 5
; VGPRBlocks: 3
; NumSGPRsForWavesPerEU: 47
; NumVGPRsForWavesPerEU: 29
; Occupancy: 3
; WaveLimiterHint : 1
; COMPUTE_PGM_RSRC2:SCRATCH_EN: 0
; COMPUTE_PGM_RSRC2:USER_SGPR: 15
; COMPUTE_PGM_RSRC2:TRAP_HANDLER: 0
; COMPUTE_PGM_RSRC2:TGID_X_EN: 1
; COMPUTE_PGM_RSRC2:TGID_Y_EN: 0
; COMPUTE_PGM_RSRC2:TGID_Z_EN: 0
; COMPUTE_PGM_RSRC2:TIDIG_COMP_CNT: 1
	.section	.text._ZN9rocsparseL23bsric0_binsearch_kernelILj64ELj64ELb0EdEEv20rocsparse_direction_iiPKiS3_PT2_S3_PiS3_S6_21rocsparse_index_base_,"axG",@progbits,_ZN9rocsparseL23bsric0_binsearch_kernelILj64ELj64ELb0EdEEv20rocsparse_direction_iiPKiS3_PT2_S3_PiS3_S6_21rocsparse_index_base_,comdat
	.globl	_ZN9rocsparseL23bsric0_binsearch_kernelILj64ELj64ELb0EdEEv20rocsparse_direction_iiPKiS3_PT2_S3_PiS3_S6_21rocsparse_index_base_ ; -- Begin function _ZN9rocsparseL23bsric0_binsearch_kernelILj64ELj64ELb0EdEEv20rocsparse_direction_iiPKiS3_PT2_S3_PiS3_S6_21rocsparse_index_base_
	.p2align	8
	.type	_ZN9rocsparseL23bsric0_binsearch_kernelILj64ELj64ELb0EdEEv20rocsparse_direction_iiPKiS3_PT2_S3_PiS3_S6_21rocsparse_index_base_,@function
_ZN9rocsparseL23bsric0_binsearch_kernelILj64ELj64ELb0EdEEv20rocsparse_direction_iiPKiS3_PT2_S3_PiS3_S6_21rocsparse_index_base_: ; @_ZN9rocsparseL23bsric0_binsearch_kernelILj64ELj64ELb0EdEEv20rocsparse_direction_iiPKiS3_PT2_S3_PiS3_S6_21rocsparse_index_base_
; %bb.0:
	s_mov_b32 s2, s15
	s_load_b256 s[8:15], s[0:1], 0x28
	s_ashr_i32 s3, s2, 31
	s_delay_alu instid0(SALU_CYCLE_1)
	s_lshl_b64 s[2:3], s[2:3], 2
	s_waitcnt lgkmcnt(0)
	s_add_u32 s2, s12, s2
	s_addc_u32 s3, s13, s3
	s_load_b32 s12, s[2:3], 0x0
	s_waitcnt lgkmcnt(0)
	s_ashr_i32 s13, s12, 31
	s_delay_alu instid0(SALU_CYCLE_1) | instskip(SKIP_1) | instid1(SALU_CYCLE_1)
	v_dual_mov_b32 v2, s12 :: v_dual_mov_b32 v3, s13
	s_lshl_b64 s[2:3], s[12:13], 2
	s_add_u32 s2, s8, s2
	s_addc_u32 s3, s9, s3
	s_load_b32 s25, s[2:3], 0x0
	s_load_b32 s23, s[0:1], 0x48
	s_mov_b32 s2, 0
	s_waitcnt lgkmcnt(0)
	s_cmp_lg_u32 s25, -1
	s_cselect_b32 s3, -1, 0
	s_delay_alu instid0(SALU_CYCLE_1) | instskip(NEXT) | instid1(SALU_CYCLE_1)
	s_and_saveexec_b32 s4, s3
	s_xor_b32 s24, exec_lo, s4
	s_cbranch_execnz .LBB31_4
; %bb.1:
	s_and_not1_saveexec_b32 s0, s24
	s_cbranch_execnz .LBB31_70
.LBB31_2:
	s_or_b32 exec_lo, exec_lo, s0
	s_and_saveexec_b32 s0, s2
	s_cbranch_execnz .LBB31_77
.LBB31_3:
	s_nop 0
	s_sendmsg sendmsg(MSG_DEALLOC_VGPRS)
	s_endpgm
.LBB31_4:
	s_load_b32 s26, s[0:1], 0x8
	s_mov_b32 s27, exec_lo
	s_waitcnt lgkmcnt(0)
	v_cmpx_gt_i32_e64 s26, v0
	s_cbranch_execz .LBB31_69
; %bb.5:
	s_clause 0x1
	s_load_b128 s[16:19], s[0:1], 0x10
	s_load_b32 s5, s[0:1], 0x0
	v_lshlrev_b64 v[3:4], 2, s[12:13]
	s_load_b64 s[20:21], s[0:1], 0x20
	v_dual_mov_b32 v28, v0 :: v_dual_add_nc_u32 v23, s23, v2
	s_mul_i32 s28, s26, s26
	v_cmp_ne_u32_e64 s0, 0, v0
	v_mul_lo_u32 v26, s25, s28
	s_mov_b32 s29, 0
	v_mov_b32_e32 v24, 0
	s_waitcnt lgkmcnt(0)
	v_add_co_u32 v3, vcc_lo, s16, v3
	v_add_co_ci_u32_e32 v4, vcc_lo, s17, v4, vcc_lo
	s_cmp_eq_u32 s5, 0
	s_cselect_b32 s1, -1, 0
	global_load_b64 v[3:4], v[3:4], off
	s_cmp_lg_u32 s5, 0
	s_cselect_b32 s30, -1, 0
	s_waitcnt vmcnt(0)
	v_subrev_nc_u32_e32 v21, s23, v3
	v_xad_u32 v22, s23, -1, v4
	s_delay_alu instid0(VALU_DEP_2) | instskip(NEXT) | instid1(VALU_DEP_2)
	v_mul_lo_u32 v25, s28, v21
	v_add_nc_u32_e32 v1, v22, v21
	v_cmp_gt_i32_e64 s2, s25, v21
	v_cmp_le_i32_e64 s3, s25, v21
	v_cmp_lt_i32_e64 s4, v21, v22
	s_delay_alu instid0(VALU_DEP_4) | instskip(SKIP_1) | instid1(VALU_DEP_2)
	v_ashrrev_i32_e32 v1, 1, v1
	v_add_nc_u32_e32 v27, v25, v0
	v_ashrrev_i32_e32 v2, 31, v1
	s_delay_alu instid0(VALU_DEP_1) | instskip(NEXT) | instid1(VALU_DEP_1)
	v_lshlrev_b64 v[2:3], 2, v[1:2]
	v_add_co_u32 v2, vcc_lo, s18, v2
	s_delay_alu instid0(VALU_DEP_2)
	v_add_co_ci_u32_e32 v3, vcc_lo, s19, v3, vcc_lo
	s_branch .LBB31_7
.LBB31_6:                               ;   in Loop: Header=BB31_7 Depth=1
	v_add_nc_u32_e32 v28, 64, v28
	v_add_nc_u32_e32 v27, 64, v27
	s_delay_alu instid0(VALU_DEP_2) | instskip(SKIP_1) | instid1(SALU_CYCLE_1)
	v_cmp_le_i32_e32 vcc_lo, s26, v28
	s_or_b32 s29, vcc_lo, s29
	s_and_not1_b32 exec_lo, exec_lo, s29
	s_cbranch_execz .LBB31_69
.LBB31_7:                               ; =>This Loop Header: Depth=1
                                        ;     Child Loop BB31_12 Depth 2
                                        ;       Child Loop BB31_15 Depth 3
                                        ;       Child Loop BB31_19 Depth 3
                                        ;         Child Loop BB31_21 Depth 4
                                        ;         Child Loop BB31_28 Depth 4
                                        ;           Child Loop BB31_30 Depth 5
                                        ;           Child Loop BB31_36 Depth 5
                                        ;     Child Loop BB31_43 Depth 2
                                        ;       Child Loop BB31_47 Depth 3
                                        ;       Child Loop BB31_55 Depth 3
                                        ;         Child Loop BB31_57 Depth 4
                                        ;       Child Loop BB31_65 Depth 3
	v_mul_lo_u32 v29, v28, s26
                                        ; implicit-def: $sgpr6_sgpr7
	s_and_saveexec_b32 s5, s3
	s_delay_alu instid0(SALU_CYCLE_1)
	s_xor_b32 s5, exec_lo, s5
; %bb.8:                                ;   in Loop: Header=BB31_7 Depth=1
	v_mul_lo_u32 v29, v28, s26
	s_mov_b64 s[6:7], 0
; %bb.9:                                ;   in Loop: Header=BB31_7 Depth=1
	s_or_saveexec_b32 s31, s5
	v_dual_mov_b32 v4, s6 :: v_dual_mov_b32 v5, s7
	s_xor_b32 exec_lo, exec_lo, s31
	s_cbranch_execz .LBB31_40
; %bb.10:                               ;   in Loop: Header=BB31_7 Depth=1
	v_mov_b32_e32 v4, 0
	v_dual_mov_b32 v5, 0 :: v_dual_mov_b32 v6, v21
	s_mov_b32 s7, 0
	s_branch .LBB31_12
.LBB31_11:                              ;   in Loop: Header=BB31_12 Depth=2
	s_or_b32 exec_lo, exec_lo, s33
	v_add_nc_u32_e32 v6, 1, v6
	s_xor_b32 s5, s5, -1
	s_delay_alu instid0(VALU_DEP_1) | instskip(SKIP_1) | instid1(SALU_CYCLE_1)
	v_cmp_le_i32_e32 vcc_lo, s25, v6
	s_or_b32 s5, s5, vcc_lo
	s_and_b32 s5, exec_lo, s5
	s_delay_alu instid0(SALU_CYCLE_1) | instskip(NEXT) | instid1(SALU_CYCLE_1)
	s_or_b32 s7, s5, s7
	s_and_not1_b32 exec_lo, exec_lo, s7
	s_cbranch_execz .LBB31_39
.LBB31_12:                              ;   Parent Loop BB31_7 Depth=1
                                        ; =>  This Loop Header: Depth=2
                                        ;       Child Loop BB31_15 Depth 3
                                        ;       Child Loop BB31_19 Depth 3
                                        ;         Child Loop BB31_21 Depth 4
                                        ;         Child Loop BB31_28 Depth 4
                                        ;           Child Loop BB31_30 Depth 5
                                        ;           Child Loop BB31_36 Depth 5
	s_delay_alu instid0(VALU_DEP_1) | instskip(NEXT) | instid1(VALU_DEP_1)
	v_ashrrev_i32_e32 v7, 31, v6
	v_lshlrev_b64 v[7:8], 2, v[6:7]
	s_delay_alu instid0(VALU_DEP_1) | instskip(NEXT) | instid1(VALU_DEP_2)
	v_add_co_u32 v7, vcc_lo, s18, v7
	v_add_co_ci_u32_e32 v8, vcc_lo, s19, v8, vcc_lo
	global_load_b32 v30, v[7:8], off
	s_waitcnt vmcnt(0)
	v_subrev_nc_u32_e32 v7, s23, v30
	s_delay_alu instid0(VALU_DEP_1) | instskip(NEXT) | instid1(VALU_DEP_1)
	v_ashrrev_i32_e32 v8, 31, v7
	v_lshlrev_b64 v[8:9], 2, v[7:8]
	s_delay_alu instid0(VALU_DEP_1) | instskip(NEXT) | instid1(VALU_DEP_2)
	v_add_co_u32 v10, vcc_lo, s8, v8
	v_add_co_ci_u32_e32 v11, vcc_lo, s9, v9, vcc_lo
	global_load_b32 v31, v[10:11], off
	s_waitcnt vmcnt(0)
	v_cmp_ne_u32_e64 s5, -1, v31
	s_delay_alu instid0(VALU_DEP_1)
	s_and_saveexec_b32 s33, s5
	s_cbranch_execz .LBB31_11
; %bb.13:                               ;   in Loop: Header=BB31_12 Depth=2
	v_add_co_u32 v10, vcc_lo, s16, v8
	v_add_co_ci_u32_e32 v11, vcc_lo, s17, v9, vcc_lo
	v_add_co_u32 v8, vcc_lo, s10, v8
	v_add_co_ci_u32_e32 v9, vcc_lo, s11, v9, vcc_lo
	s_mov_b32 s6, exec_lo
	global_load_b32 v10, v[10:11], off
	global_load_b32 v11, v[8:9], off glc
	s_waitcnt vmcnt(0)
	v_cmpx_eq_u32_e32 0, v11
	s_cbranch_execz .LBB31_16
; %bb.14:                               ;   in Loop: Header=BB31_12 Depth=2
	s_mov_b32 s22, 0
.LBB31_15:                              ;   Parent Loop BB31_7 Depth=1
                                        ;     Parent Loop BB31_12 Depth=2
                                        ; =>    This Inner Loop Header: Depth=3
	global_load_b32 v11, v[8:9], off glc
	s_waitcnt vmcnt(0)
	v_cmp_ne_u32_e32 vcc_lo, 0, v11
	s_or_b32 s22, vcc_lo, s22
	s_delay_alu instid0(SALU_CYCLE_1)
	s_and_not1_b32 exec_lo, exec_lo, s22
	s_cbranch_execnz .LBB31_15
.LBB31_16:                              ;   in Loop: Header=BB31_12 Depth=2
	s_or_b32 exec_lo, exec_lo, s6
	v_mul_lo_u32 v8, v6, s28
	v_subrev_nc_u32_e32 v32, s23, v10
	v_mul_lo_u32 v33, v7, s26
	v_mul_lo_u32 v34, v31, s28
	s_mov_b32 s34, 0
	buffer_gl1_inv
	buffer_gl0_inv
	v_mul_lo_u32 v35, s28, v32
	v_cmp_le_i32_e64 s6, v32, v31
	v_add_nc_u32_e32 v36, v8, v28
	v_add_nc_u32_e32 v37, v8, v29
	s_branch .LBB31_19
.LBB31_17:                              ;   in Loop: Header=BB31_19 Depth=3
	s_or_b32 exec_lo, exec_lo, s36
.LBB31_18:                              ;   in Loop: Header=BB31_19 Depth=3
	s_delay_alu instid0(SALU_CYCLE_1) | instskip(SKIP_4) | instid1(SALU_CYCLE_1)
	s_or_b32 exec_lo, exec_lo, s35
	s_waitcnt vmcnt(0)
	v_add_f64 v[11:12], v[11:12], -v[13:14]
	v_add_nc_u32_e32 v35, 1, v35
	s_add_i32 s34, s34, 1
	s_cmp_eq_u32 s34, s26
	s_delay_alu instid0(VALU_DEP_2) | instskip(NEXT) | instid1(VALU_DEP_1)
	v_div_scale_f64 v[13:14], null, v[7:8], v[7:8], v[11:12]
	v_rcp_f64_e32 v[15:16], v[13:14]
	s_waitcnt_depctr 0xfff
	v_fma_f64 v[17:18], -v[13:14], v[15:16], 1.0
	s_delay_alu instid0(VALU_DEP_1) | instskip(NEXT) | instid1(VALU_DEP_1)
	v_fma_f64 v[15:16], v[15:16], v[17:18], v[15:16]
	v_fma_f64 v[17:18], -v[13:14], v[15:16], 1.0
	s_delay_alu instid0(VALU_DEP_1) | instskip(SKIP_1) | instid1(VALU_DEP_1)
	v_fma_f64 v[15:16], v[15:16], v[17:18], v[15:16]
	v_div_scale_f64 v[17:18], vcc_lo, v[11:12], v[7:8], v[11:12]
	v_mul_f64 v[19:20], v[17:18], v[15:16]
	s_delay_alu instid0(VALU_DEP_1) | instskip(NEXT) | instid1(VALU_DEP_1)
	v_fma_f64 v[13:14], -v[13:14], v[19:20], v[17:18]
	v_div_fmas_f64 v[13:14], v[13:14], v[15:16], v[19:20]
	s_delay_alu instid0(VALU_DEP_1) | instskip(NEXT) | instid1(VALU_DEP_1)
	v_div_fixup_f64 v[7:8], v[13:14], v[7:8], v[11:12]
	v_fma_f64 v[4:5], v[7:8], v[7:8], v[4:5]
	global_store_b64 v[9:10], v[7:8], off
	s_cbranch_scc1 .LBB31_11
.LBB31_19:                              ;   Parent Loop BB31_7 Depth=1
                                        ;     Parent Loop BB31_12 Depth=2
                                        ; =>    This Loop Header: Depth=3
                                        ;         Child Loop BB31_21 Depth 4
                                        ;         Child Loop BB31_28 Depth 4
                                        ;           Child Loop BB31_30 Depth 5
                                        ;           Child Loop BB31_36 Depth 5
	s_mul_i32 s22, s34, s26
	s_delay_alu instid0(SALU_CYCLE_1) | instskip(NEXT) | instid1(VALU_DEP_1)
	v_add3_u32 v7, s22, s34, v34
	v_ashrrev_i32_e32 v8, 31, v7
	s_delay_alu instid0(VALU_DEP_1) | instskip(NEXT) | instid1(VALU_DEP_1)
	v_lshlrev_b64 v[7:8], 3, v[7:8]
	v_add_co_u32 v7, vcc_lo, s20, v7
	s_delay_alu instid0(VALU_DEP_2)
	v_add_co_ci_u32_e32 v8, vcc_lo, s21, v8, vcc_lo
	global_load_b64 v[7:8], v[7:8], off
	s_waitcnt vmcnt(0)
	v_cmp_neq_f64_e32 vcc_lo, 0, v[7:8]
	v_cndmask_b32_e32 v8, 0x3ff00000, v8, vcc_lo
	v_cndmask_b32_e32 v7, 0, v7, vcc_lo
	s_or_b32 s35, vcc_lo, s0
	s_delay_alu instid0(SALU_CYCLE_1) | instskip(NEXT) | instid1(SALU_CYCLE_1)
	s_xor_b32 s36, s35, -1
	s_and_saveexec_b32 s35, s36
	s_cbranch_execz .LBB31_25
; %bb.20:                               ;   in Loop: Header=BB31_19 Depth=3
	s_mov_b32 s37, exec_lo
	s_brev_b32 s36, -2
.LBB31_21:                              ;   Parent Loop BB31_7 Depth=1
                                        ;     Parent Loop BB31_12 Depth=2
                                        ;       Parent Loop BB31_19 Depth=3
                                        ; =>      This Inner Loop Header: Depth=4
	s_ctz_i32_b32 s38, s37
	s_delay_alu instid0(SALU_CYCLE_1) | instskip(SKIP_1) | instid1(SALU_CYCLE_1)
	v_readlane_b32 s39, v30, s38
	s_lshl_b32 s38, 1, s38
	s_and_not1_b32 s37, s37, s38
	s_delay_alu instid0(VALU_DEP_1)
	s_min_i32 s36, s36, s39
	s_cmp_lg_u32 s37, 0
	s_cbranch_scc1 .LBB31_21
; %bb.22:                               ;   in Loop: Header=BB31_19 Depth=3
	v_mbcnt_lo_u32_b32 v7, exec_lo, 0
	s_mov_b32 s37, exec_lo
	s_delay_alu instid0(VALU_DEP_1)
	v_cmpx_eq_u32_e32 0, v7
	s_xor_b32 s37, exec_lo, s37
	s_cbranch_execz .LBB31_24
; %bb.23:                               ;   in Loop: Header=BB31_19 Depth=3
	v_mov_b32_e32 v7, s36
	global_atomic_min_i32 v24, v7, s[14:15]
.LBB31_24:                              ;   in Loop: Header=BB31_19 Depth=3
	s_or_b32 exec_lo, exec_lo, s37
	v_mov_b32_e32 v7, 0
	v_mov_b32_e32 v8, 0x3ff00000
.LBB31_25:                              ;   in Loop: Header=BB31_19 Depth=3
	s_or_b32 exec_lo, exec_lo, s35
	v_add_nc_u32_e32 v9, s22, v36
	v_dual_mov_b32 v13, 0 :: v_dual_add_nc_u32 v10, s34, v37
	v_mov_b32_e32 v14, 0
	s_delay_alu instid0(VALU_DEP_2) | instskip(NEXT) | instid1(VALU_DEP_1)
	v_cndmask_b32_e64 v9, v9, v10, s1
	v_ashrrev_i32_e32 v10, 31, v9
	s_delay_alu instid0(VALU_DEP_1) | instskip(NEXT) | instid1(VALU_DEP_1)
	v_lshlrev_b64 v[9:10], 3, v[9:10]
	v_add_co_u32 v9, vcc_lo, s20, v9
	s_delay_alu instid0(VALU_DEP_2)
	v_add_co_ci_u32_e32 v10, vcc_lo, s21, v10, vcc_lo
	global_load_b64 v[11:12], v[9:10], off
	s_and_saveexec_b32 s35, s6
	s_cbranch_execz .LBB31_18
; %bb.26:                               ;   in Loop: Header=BB31_19 Depth=3
	global_load_b32 v38, v[2:3], off
	v_dual_mov_b32 v13, 0 :: v_dual_mov_b32 v40, v35
	v_dual_mov_b32 v14, 0 :: v_dual_add_nc_u32 v39, s34, v33
	v_mov_b32_e32 v15, v32
	s_mov_b32 s36, 0
	s_branch .LBB31_28
.LBB31_27:                              ;   in Loop: Header=BB31_28 Depth=4
	s_set_inst_prefetch_distance 0x2
	s_or_b32 exec_lo, exec_lo, s37
	v_add_nc_u32_e32 v16, 1, v15
	v_cmp_ge_i32_e32 vcc_lo, v15, v31
	s_delay_alu instid0(VALU_DEP_2) | instskip(SKIP_1) | instid1(SALU_CYCLE_1)
	v_dual_mov_b32 v15, v16 :: v_dual_add_nc_u32 v40, s28, v40
	s_or_b32 s36, vcc_lo, s36
	s_and_not1_b32 exec_lo, exec_lo, s36
	s_cbranch_execz .LBB31_17
.LBB31_28:                              ;   Parent Loop BB31_7 Depth=1
                                        ;     Parent Loop BB31_12 Depth=2
                                        ;       Parent Loop BB31_19 Depth=3
                                        ; =>      This Loop Header: Depth=4
                                        ;           Child Loop BB31_30 Depth 5
                                        ;           Child Loop BB31_36 Depth 5
	s_delay_alu instid0(VALU_DEP_1) | instskip(NEXT) | instid1(VALU_DEP_1)
	v_ashrrev_i32_e32 v16, 31, v15
	v_lshlrev_b64 v[16:17], 2, v[15:16]
	s_delay_alu instid0(VALU_DEP_1) | instskip(NEXT) | instid1(VALU_DEP_2)
	v_add_co_u32 v16, vcc_lo, s18, v16
	v_add_co_ci_u32_e32 v17, vcc_lo, s19, v17, vcc_lo
	global_load_b32 v18, v[16:17], off
	s_waitcnt vmcnt(1)
	v_dual_mov_b32 v17, v38 :: v_dual_mov_b32 v16, v1
	s_and_saveexec_b32 s37, s4
	s_cbranch_execz .LBB31_32
; %bb.29:                               ;   in Loop: Header=BB31_28 Depth=4
	v_dual_mov_b32 v17, v38 :: v_dual_mov_b32 v16, v1
	v_dual_mov_b32 v19, v22 :: v_dual_mov_b32 v20, v21
	s_mov_b32 s38, 0
	.p2align	6
.LBB31_30:                              ;   Parent Loop BB31_7 Depth=1
                                        ;     Parent Loop BB31_12 Depth=2
                                        ;       Parent Loop BB31_19 Depth=3
                                        ;         Parent Loop BB31_28 Depth=4
                                        ; =>        This Inner Loop Header: Depth=5
	s_delay_alu instid0(VALU_DEP_2) | instskip(SKIP_2) | instid1(VALU_DEP_2)
	v_add_nc_u32_e32 v41, 1, v16
	s_waitcnt vmcnt(0)
	v_cmp_lt_i32_e32 vcc_lo, v17, v18
	v_cndmask_b32_e32 v20, v20, v41, vcc_lo
	v_cndmask_b32_e32 v19, v16, v19, vcc_lo
	s_delay_alu instid0(VALU_DEP_1) | instskip(NEXT) | instid1(VALU_DEP_1)
	v_add_nc_u32_e32 v16, v19, v20
	v_ashrrev_i32_e32 v16, 1, v16
	s_delay_alu instid0(VALU_DEP_1) | instskip(NEXT) | instid1(VALU_DEP_1)
	v_ashrrev_i32_e32 v17, 31, v16
	v_lshlrev_b64 v[41:42], 2, v[16:17]
	s_delay_alu instid0(VALU_DEP_1) | instskip(NEXT) | instid1(VALU_DEP_2)
	v_add_co_u32 v41, vcc_lo, s18, v41
	v_add_co_ci_u32_e32 v42, vcc_lo, s19, v42, vcc_lo
	v_cmp_ge_i32_e32 vcc_lo, v20, v19
	global_load_b32 v17, v[41:42], off
	s_or_b32 s38, vcc_lo, s38
	s_delay_alu instid0(SALU_CYCLE_1)
	s_and_not1_b32 exec_lo, exec_lo, s38
	s_cbranch_execnz .LBB31_30
; %bb.31:                               ;   in Loop: Header=BB31_28 Depth=4
	s_or_b32 exec_lo, exec_lo, s38
.LBB31_32:                              ;   in Loop: Header=BB31_28 Depth=4
	s_delay_alu instid0(SALU_CYCLE_1) | instskip(NEXT) | instid1(SALU_CYCLE_1)
	s_or_b32 exec_lo, exec_lo, s37
	s_mov_b32 s37, exec_lo
	s_waitcnt vmcnt(0)
	v_cmpx_eq_u32_e64 v17, v18
	s_cbranch_execz .LBB31_27
; %bb.33:                               ;   in Loop: Header=BB31_28 Depth=4
	v_mul_lo_u32 v19, v16, s28
	v_subrev_nc_u32_e32 v18, s23, v18
	v_mad_u64_u32 v[16:17], null, v15, s28, s[22:23]
	v_mov_b32_e32 v44, v40
	s_mov_b32 s38, 0
	s_delay_alu instid0(VALU_DEP_3)
	v_mul_lo_u32 v41, v18, s26
	v_add_nc_u32_e32 v42, v19, v29
	v_add_nc_u32_e32 v43, v28, v19
	s_set_inst_prefetch_distance 0x1
	s_branch .LBB31_36
	.p2align	6
.LBB31_34:                              ;   in Loop: Header=BB31_36 Depth=5
	s_delay_alu instid0(VALU_DEP_1) | instskip(NEXT) | instid1(VALU_DEP_2)
	v_ashrrev_i32_e32 v20, 31, v19
	v_ashrrev_i32_e32 v18, 31, v17
	s_delay_alu instid0(VALU_DEP_2) | instskip(NEXT) | instid1(VALU_DEP_2)
	v_lshlrev_b64 v[19:20], 3, v[19:20]
	v_lshlrev_b64 v[17:18], 3, v[17:18]
	s_delay_alu instid0(VALU_DEP_2) | instskip(NEXT) | instid1(VALU_DEP_3)
	v_add_co_u32 v19, vcc_lo, s20, v19
	v_add_co_ci_u32_e32 v20, vcc_lo, s21, v20, vcc_lo
	s_delay_alu instid0(VALU_DEP_3) | instskip(NEXT) | instid1(VALU_DEP_4)
	v_add_co_u32 v17, vcc_lo, s20, v17
	v_add_co_ci_u32_e32 v18, vcc_lo, s21, v18, vcc_lo
	s_clause 0x1
	global_load_b64 v[19:20], v[19:20], off
	global_load_b64 v[17:18], v[17:18], off
	s_waitcnt vmcnt(0)
	v_fma_f64 v[13:14], v[19:20], v[17:18], v[13:14]
.LBB31_35:                              ;   in Loop: Header=BB31_36 Depth=5
	s_or_b32 exec_lo, exec_lo, s39
	v_add_nc_u32_e32 v43, s26, v43
	v_add_nc_u32_e32 v44, s26, v44
	s_add_i32 s38, s38, 1
	s_delay_alu instid0(SALU_CYCLE_1)
	s_cmp_lg_u32 s26, s38
	s_cbranch_scc0 .LBB31_27
.LBB31_36:                              ;   Parent Loop BB31_7 Depth=1
                                        ;     Parent Loop BB31_12 Depth=2
                                        ;       Parent Loop BB31_19 Depth=3
                                        ;         Parent Loop BB31_28 Depth=4
                                        ; =>        This Inner Loop Header: Depth=5
	s_delay_alu instid0(VALU_DEP_3) | instskip(SKIP_1) | instid1(VALU_DEP_1)
	v_add_nc_u32_e32 v17, s38, v41
	s_mov_b32 s39, exec_lo
	v_cmpx_lt_i32_e64 v17, v39
	s_cbranch_execz .LBB31_35
; %bb.37:                               ;   in Loop: Header=BB31_36 Depth=5
	v_mov_b32_e32 v17, v43
	v_mov_b32_e32 v19, v44
	s_and_not1_b32 vcc_lo, exec_lo, s1
	s_cbranch_vccnz .LBB31_34
; %bb.38:                               ;   in Loop: Header=BB31_36 Depth=5
	v_add_nc_u32_e32 v19, s38, v16
	v_add_nc_u32_e32 v17, s38, v42
	s_branch .LBB31_34
.LBB31_39:                              ;   in Loop: Header=BB31_7 Depth=1
	s_or_b32 exec_lo, exec_lo, s7
.LBB31_40:                              ;   in Loop: Header=BB31_7 Depth=1
	s_delay_alu instid0(SALU_CYCLE_1) | instskip(NEXT) | instid1(VALU_DEP_2)
	s_or_b32 exec_lo, exec_lo, s31
	v_add_nc_u32_e32 v18, v29, v26
	v_mov_b32_e32 v19, v25
	s_mov_b32 s5, 0
	s_branch .LBB31_43
.LBB31_41:                              ;   in Loop: Header=BB31_43 Depth=2
	s_set_inst_prefetch_distance 0x2
	s_waitcnt vmcnt(0)
	s_delay_alu instid0(VALU_DEP_1) | instskip(NEXT) | instid1(VALU_DEP_1)
	v_add_f64 v[10:11], v[10:11], -v[12:13]
	v_div_scale_f64 v[12:13], null, v[6:7], v[6:7], v[10:11]
	s_delay_alu instid0(VALU_DEP_1) | instskip(SKIP_2) | instid1(VALU_DEP_1)
	v_rcp_f64_e32 v[14:15], v[12:13]
	s_waitcnt_depctr 0xfff
	v_fma_f64 v[16:17], -v[12:13], v[14:15], 1.0
	v_fma_f64 v[14:15], v[14:15], v[16:17], v[14:15]
	s_delay_alu instid0(VALU_DEP_1) | instskip(NEXT) | instid1(VALU_DEP_1)
	v_fma_f64 v[16:17], -v[12:13], v[14:15], 1.0
	v_fma_f64 v[14:15], v[14:15], v[16:17], v[14:15]
	v_div_scale_f64 v[16:17], vcc_lo, v[10:11], v[6:7], v[10:11]
	s_delay_alu instid0(VALU_DEP_1) | instskip(NEXT) | instid1(VALU_DEP_1)
	v_mul_f64 v[30:31], v[16:17], v[14:15]
	v_fma_f64 v[12:13], -v[12:13], v[30:31], v[16:17]
	s_delay_alu instid0(VALU_DEP_1) | instskip(NEXT) | instid1(VALU_DEP_1)
	v_div_fmas_f64 v[12:13], v[12:13], v[14:15], v[30:31]
	v_div_fixup_f64 v[6:7], v[12:13], v[6:7], v[10:11]
	s_delay_alu instid0(VALU_DEP_1)
	v_fma_f64 v[4:5], v[6:7], v[6:7], v[4:5]
	global_store_b64 v[8:9], v[6:7], off
.LBB31_42:                              ;   in Loop: Header=BB31_43 Depth=2
	s_or_b32 exec_lo, exec_lo, s7
	v_add_nc_u32_e32 v19, 1, v19
	s_add_i32 s5, s5, 1
	s_waitcnt_vscnt null, 0x0
	buffer_gl1_inv
	buffer_gl0_inv
	s_cmp_eq_u32 s5, s26
	s_cbranch_scc1 .LBB31_6
.LBB31_43:                              ;   Parent Loop BB31_7 Depth=1
                                        ; =>  This Loop Header: Depth=2
                                        ;       Child Loop BB31_47 Depth 3
                                        ;       Child Loop BB31_55 Depth 3
                                        ;         Child Loop BB31_57 Depth 4
                                        ;       Child Loop BB31_65 Depth 3
	s_mul_i32 s6, s5, s26
	s_mov_b32 s7, exec_lo
	v_add_nc_u32_e32 v20, s6, v26
	s_delay_alu instid0(VALU_DEP_1) | instskip(NEXT) | instid1(VALU_DEP_1)
	v_add_nc_u32_e32 v6, s5, v20
	v_ashrrev_i32_e32 v7, 31, v6
	s_delay_alu instid0(VALU_DEP_1)
	v_lshlrev_b64 v[6:7], 3, v[6:7]
	v_cmpx_eq_u32_e64 s5, v28
	s_cbranch_execz .LBB31_45
; %bb.44:                               ;   in Loop: Header=BB31_43 Depth=2
	s_delay_alu instid0(VALU_DEP_2) | instskip(NEXT) | instid1(VALU_DEP_3)
	v_add_co_u32 v8, vcc_lo, s20, v6
	v_add_co_ci_u32_e32 v9, vcc_lo, s21, v7, vcc_lo
	global_load_b64 v[10:11], v[8:9], off
	s_waitcnt vmcnt(0)
	v_add_f64 v[10:11], v[10:11], -v[4:5]
	s_delay_alu instid0(VALU_DEP_1) | instskip(SKIP_1) | instid1(VALU_DEP_1)
	v_cmp_gt_f64_e32 vcc_lo, 0, v[10:11]
	v_xor_b32_e32 v12, 0x80000000, v11
	v_dual_cndmask_b32 v11, v11, v12 :: v_dual_cndmask_b32 v10, v10, v10
	s_delay_alu instid0(VALU_DEP_1) | instskip(SKIP_1) | instid1(VALU_DEP_1)
	v_cmp_gt_f64_e32 vcc_lo, 0x10000000, v[10:11]
	v_cndmask_b32_e64 v12, 0, 1, vcc_lo
	v_lshlrev_b32_e32 v12, 8, v12
	s_delay_alu instid0(VALU_DEP_1) | instskip(NEXT) | instid1(VALU_DEP_1)
	v_ldexp_f64 v[10:11], v[10:11], v12
	v_rsq_f64_e32 v[12:13], v[10:11]
	s_waitcnt_depctr 0xfff
	v_mul_f64 v[14:15], v[10:11], v[12:13]
	v_mul_f64 v[12:13], v[12:13], 0.5
	s_delay_alu instid0(VALU_DEP_1) | instskip(NEXT) | instid1(VALU_DEP_1)
	v_fma_f64 v[16:17], -v[12:13], v[14:15], 0.5
	v_fma_f64 v[14:15], v[14:15], v[16:17], v[14:15]
	v_fma_f64 v[12:13], v[12:13], v[16:17], v[12:13]
	s_delay_alu instid0(VALU_DEP_2) | instskip(NEXT) | instid1(VALU_DEP_1)
	v_fma_f64 v[16:17], -v[14:15], v[14:15], v[10:11]
	v_fma_f64 v[14:15], v[16:17], v[12:13], v[14:15]
	s_delay_alu instid0(VALU_DEP_1) | instskip(NEXT) | instid1(VALU_DEP_1)
	v_fma_f64 v[16:17], -v[14:15], v[14:15], v[10:11]
	v_fma_f64 v[12:13], v[16:17], v[12:13], v[14:15]
	v_cndmask_b32_e64 v14, 0, 0xffffff80, vcc_lo
	v_cmp_class_f64_e64 vcc_lo, v[10:11], 0x260
	s_delay_alu instid0(VALU_DEP_2) | instskip(NEXT) | instid1(VALU_DEP_1)
	v_ldexp_f64 v[12:13], v[12:13], v14
	v_dual_cndmask_b32 v11, v13, v11 :: v_dual_cndmask_b32 v10, v12, v10
	global_store_b64 v[8:9], v[10:11], off
.LBB31_45:                              ;   in Loop: Header=BB31_43 Depth=2
	s_or_b32 exec_lo, exec_lo, s7
	s_delay_alu instid0(VALU_DEP_2) | instskip(NEXT) | instid1(VALU_DEP_3)
	v_add_co_u32 v6, vcc_lo, s20, v6
	v_add_co_ci_u32_e32 v7, vcc_lo, s21, v7, vcc_lo
	s_waitcnt_vscnt null, 0x0
	buffer_gl1_inv
	buffer_gl0_inv
	global_load_b64 v[6:7], v[6:7], off
	s_waitcnt vmcnt(0)
	v_cmp_neq_f64_e32 vcc_lo, 0, v[6:7]
	v_cndmask_b32_e32 v7, 0x3ff00000, v7, vcc_lo
	v_cndmask_b32_e32 v6, 0, v6, vcc_lo
	s_or_b32 s7, vcc_lo, s0
	s_delay_alu instid0(SALU_CYCLE_1) | instskip(NEXT) | instid1(SALU_CYCLE_1)
	s_xor_b32 s22, s7, -1
	s_and_saveexec_b32 s7, s22
	s_cbranch_execz .LBB31_51
; %bb.46:                               ;   in Loop: Header=BB31_43 Depth=2
	s_mov_b32 s31, exec_lo
	s_brev_b32 s22, -2
.LBB31_47:                              ;   Parent Loop BB31_7 Depth=1
                                        ;     Parent Loop BB31_43 Depth=2
                                        ; =>    This Inner Loop Header: Depth=3
	s_ctz_i32_b32 s33, s31
	s_delay_alu instid0(SALU_CYCLE_1) | instskip(SKIP_1) | instid1(SALU_CYCLE_1)
	v_readlane_b32 s34, v23, s33
	s_lshl_b32 s33, 1, s33
	s_and_not1_b32 s31, s31, s33
	s_delay_alu instid0(VALU_DEP_1)
	s_min_i32 s22, s22, s34
	s_cmp_lg_u32 s31, 0
	s_cbranch_scc1 .LBB31_47
; %bb.48:                               ;   in Loop: Header=BB31_43 Depth=2
	v_mbcnt_lo_u32_b32 v6, exec_lo, 0
	s_mov_b32 s31, exec_lo
	s_delay_alu instid0(VALU_DEP_1)
	v_cmpx_eq_u32_e32 0, v6
	s_xor_b32 s31, exec_lo, s31
	s_cbranch_execz .LBB31_50
; %bb.49:                               ;   in Loop: Header=BB31_43 Depth=2
	v_mov_b32_e32 v6, s22
	global_atomic_min_i32 v24, v6, s[14:15]
.LBB31_50:                              ;   in Loop: Header=BB31_43 Depth=2
	s_or_b32 exec_lo, exec_lo, s31
	v_mov_b32_e32 v6, 0
	v_mov_b32_e32 v7, 0x3ff00000
.LBB31_51:                              ;   in Loop: Header=BB31_43 Depth=2
	s_or_b32 exec_lo, exec_lo, s7
	s_delay_alu instid0(SALU_CYCLE_1)
	s_mov_b32 s7, exec_lo
	v_cmpx_lt_i32_e64 s5, v28
	s_cbranch_execz .LBB31_42
; %bb.52:                               ;   in Loop: Header=BB31_43 Depth=2
	v_add_nc_u32_e32 v8, v20, v28
	v_dual_mov_b32 v12, 0 :: v_dual_add_nc_u32 v9, s5, v18
	v_mov_b32_e32 v13, 0
	s_delay_alu instid0(VALU_DEP_2) | instskip(NEXT) | instid1(VALU_DEP_1)
	v_cndmask_b32_e64 v8, v8, v9, s1
	v_ashrrev_i32_e32 v9, 31, v8
	s_delay_alu instid0(VALU_DEP_1) | instskip(NEXT) | instid1(VALU_DEP_1)
	v_lshlrev_b64 v[8:9], 3, v[8:9]
	v_add_co_u32 v8, vcc_lo, s20, v8
	s_delay_alu instid0(VALU_DEP_2)
	v_add_co_ci_u32_e32 v9, vcc_lo, s21, v9, vcc_lo
	global_load_b64 v[10:11], v[8:9], off
	s_and_saveexec_b32 s22, s2
	s_cbranch_execz .LBB31_62
; %bb.53:                               ;   in Loop: Header=BB31_43 Depth=2
	v_dual_mov_b32 v12, 0 :: v_dual_mov_b32 v31, v27
	v_dual_mov_b32 v13, 0 :: v_dual_mov_b32 v30, v19
	v_mov_b32_e32 v32, v21
	s_mov_b32 s31, 0
	s_branch .LBB31_55
.LBB31_54:                              ;   in Loop: Header=BB31_55 Depth=3
	s_set_inst_prefetch_distance 0x2
	v_add_nc_u32_e32 v32, 1, v32
	v_add_nc_u32_e32 v31, s28, v31
	;; [unrolled: 1-line block ×3, first 2 shown]
	s_delay_alu instid0(VALU_DEP_3) | instskip(SKIP_1) | instid1(SALU_CYCLE_1)
	v_cmp_le_i32_e32 vcc_lo, s25, v32
	s_or_b32 s31, vcc_lo, s31
	s_and_not1_b32 exec_lo, exec_lo, s31
	s_cbranch_execz .LBB31_61
.LBB31_55:                              ;   Parent Loop BB31_7 Depth=1
                                        ;     Parent Loop BB31_43 Depth=2
                                        ; =>    This Loop Header: Depth=3
                                        ;         Child Loop BB31_57 Depth 4
	s_delay_alu instid0(VALU_DEP_1) | instskip(SKIP_3) | instid1(VALU_DEP_1)
	v_mul_lo_u32 v14, v32, s28
	s_mov_b32 s33, s26
	s_mov_b32 s34, 0
	;; [unrolled: 1-line block ×3, first 2 shown]
	v_add_nc_u32_e32 v33, s6, v14
	v_add_nc_u32_e32 v34, v14, v29
	s_set_inst_prefetch_distance 0x1
	s_branch .LBB31_57
	.p2align	6
.LBB31_56:                              ;   in Loop: Header=BB31_57 Depth=4
	s_delay_alu instid0(VALU_DEP_2) | instskip(NEXT) | instid1(VALU_DEP_2)
	v_ashrrev_i32_e32 v15, 31, v14
	v_ashrrev_i32_e32 v17, 31, v16
	s_add_i32 s33, s33, -1
	s_add_i32 s35, s35, 1
	s_add_i32 s34, s34, s26
	v_lshlrev_b64 v[14:15], 3, v[14:15]
	v_lshlrev_b64 v[16:17], 3, v[16:17]
	s_cmp_eq_u32 s33, 0
	s_delay_alu instid0(VALU_DEP_2) | instskip(NEXT) | instid1(VALU_DEP_3)
	v_add_co_u32 v14, vcc_lo, s20, v14
	v_add_co_ci_u32_e32 v15, vcc_lo, s21, v15, vcc_lo
	s_delay_alu instid0(VALU_DEP_3) | instskip(NEXT) | instid1(VALU_DEP_4)
	v_add_co_u32 v16, vcc_lo, s20, v16
	v_add_co_ci_u32_e32 v17, vcc_lo, s21, v17, vcc_lo
	s_clause 0x1
	global_load_b64 v[14:15], v[14:15], off
	global_load_b64 v[16:17], v[16:17], off
	s_waitcnt vmcnt(0)
	v_fma_f64 v[12:13], v[14:15], v[16:17], v[12:13]
	s_cbranch_scc1 .LBB31_54
.LBB31_57:                              ;   Parent Loop BB31_7 Depth=1
                                        ;     Parent Loop BB31_43 Depth=2
                                        ;       Parent Loop BB31_55 Depth=3
                                        ; =>      This Inner Loop Header: Depth=4
	s_and_b32 vcc_lo, exec_lo, s30
	s_cbranch_vccz .LBB31_59
; %bb.58:                               ;   in Loop: Header=BB31_57 Depth=4
	v_add_nc_u32_e32 v14, s34, v30
	v_add_nc_u32_e32 v16, s34, v31
	s_cbranch_execnz .LBB31_56
	s_branch .LBB31_60
	.p2align	6
.LBB31_59:                              ;   in Loop: Header=BB31_57 Depth=4
                                        ; implicit-def: $vgpr14
                                        ; implicit-def: $vgpr16
.LBB31_60:                              ;   in Loop: Header=BB31_57 Depth=4
	v_add_nc_u32_e32 v14, s35, v33
	v_add_nc_u32_e32 v16, s35, v34
	s_branch .LBB31_56
.LBB31_61:                              ;   in Loop: Header=BB31_43 Depth=2
	s_or_b32 exec_lo, exec_lo, s31
.LBB31_62:                              ;   in Loop: Header=BB31_43 Depth=2
	s_delay_alu instid0(SALU_CYCLE_1)
	s_or_b32 exec_lo, exec_lo, s22
	s_cmp_eq_u32 s5, 0
	s_cbranch_scc1 .LBB31_41
; %bb.63:                               ;   in Loop: Header=BB31_43 Depth=2
	v_mov_b32_e32 v30, v26
	s_mov_b32 s6, 0
	s_set_inst_prefetch_distance 0x1
	s_branch .LBB31_65
	.p2align	6
.LBB31_64:                              ;   in Loop: Header=BB31_65 Depth=3
	s_delay_alu instid0(VALU_DEP_2) | instskip(NEXT) | instid1(VALU_DEP_2)
	v_ashrrev_i32_e32 v15, 31, v14
	v_ashrrev_i32_e32 v17, 31, v16
	v_add_nc_u32_e32 v30, s26, v30
	s_add_i32 s6, s6, 1
	s_delay_alu instid0(SALU_CYCLE_1) | instskip(SKIP_2) | instid1(VALU_DEP_2)
	s_cmp_ge_u32 s6, s5
	v_lshlrev_b64 v[14:15], 3, v[14:15]
	v_lshlrev_b64 v[16:17], 3, v[16:17]
	v_add_co_u32 v14, vcc_lo, s20, v14
	s_delay_alu instid0(VALU_DEP_3) | instskip(NEXT) | instid1(VALU_DEP_3)
	v_add_co_ci_u32_e32 v15, vcc_lo, s21, v15, vcc_lo
	v_add_co_u32 v16, vcc_lo, s20, v16
	s_delay_alu instid0(VALU_DEP_4)
	v_add_co_ci_u32_e32 v17, vcc_lo, s21, v17, vcc_lo
	s_clause 0x1
	global_load_b64 v[14:15], v[14:15], off
	global_load_b64 v[16:17], v[16:17], off
	s_waitcnt vmcnt(0)
	v_fma_f64 v[12:13], v[14:15], v[16:17], v[12:13]
	s_cbranch_scc1 .LBB31_41
.LBB31_65:                              ;   Parent Loop BB31_7 Depth=1
                                        ;     Parent Loop BB31_43 Depth=2
                                        ; =>    This Inner Loop Header: Depth=3
	s_and_b32 vcc_lo, exec_lo, s30
	s_cbranch_vccz .LBB31_67
; %bb.66:                               ;   in Loop: Header=BB31_65 Depth=3
	v_add_nc_u32_e32 v14, s5, v30
	v_add_nc_u32_e32 v16, v28, v30
	s_cbranch_execnz .LBB31_64
	s_branch .LBB31_68
	.p2align	6
.LBB31_67:                              ;   in Loop: Header=BB31_65 Depth=3
                                        ; implicit-def: $vgpr14
                                        ; implicit-def: $vgpr16
.LBB31_68:                              ;   in Loop: Header=BB31_65 Depth=3
	v_add_nc_u32_e32 v14, s6, v20
	v_add_nc_u32_e32 v16, s6, v18
	s_branch .LBB31_64
.LBB31_69:
	s_or_b32 exec_lo, exec_lo, s27
	v_cmp_eq_u32_e32 vcc_lo, 63, v0
                                        ; implicit-def: $vgpr0
                                        ; implicit-def: $vgpr2_vgpr3
	s_and_b32 s2, vcc_lo, exec_lo
	s_and_not1_saveexec_b32 s0, s24
	s_cbranch_execz .LBB31_2
.LBB31_70:
	s_mov_b32 s3, s2
	s_mov_b32 s1, exec_lo
	v_cmpx_eq_u32_e32 63, v0
	s_cbranch_execz .LBB31_76
; %bb.71:
	v_add_nc_u32_e32 v0, s23, v2
	s_mov_b32 s4, exec_lo
	s_brev_b32 s3, -2
.LBB31_72:                              ; =>This Inner Loop Header: Depth=1
	s_ctz_i32_b32 s5, s4
	s_delay_alu instid0(VALU_DEP_1) | instid1(SALU_CYCLE_1)
	v_readlane_b32 s6, v0, s5
	s_lshl_b32 s5, 1, s5
	s_delay_alu instid0(SALU_CYCLE_1) | instskip(NEXT) | instid1(VALU_DEP_1)
	s_and_not1_b32 s4, s4, s5
	s_min_i32 s3, s3, s6
	s_cmp_lg_u32 s4, 0
	s_cbranch_scc1 .LBB31_72
; %bb.73:
	v_mbcnt_lo_u32_b32 v0, exec_lo, 0
	s_mov_b32 s4, exec_lo
	s_delay_alu instid0(VALU_DEP_1)
	v_cmpx_eq_u32_e32 0, v0
	s_xor_b32 s4, exec_lo, s4
	s_cbranch_execz .LBB31_75
; %bb.74:
	v_dual_mov_b32 v0, 0 :: v_dual_mov_b32 v1, s3
	global_atomic_min_i32 v0, v1, s[14:15]
.LBB31_75:
	s_or_b32 exec_lo, exec_lo, s4
	s_delay_alu instid0(SALU_CYCLE_1)
	s_or_b32 s3, s2, exec_lo
.LBB31_76:
	s_or_b32 exec_lo, exec_lo, s1
	s_delay_alu instid0(SALU_CYCLE_1) | instskip(SKIP_1) | instid1(SALU_CYCLE_1)
	s_and_not1_b32 s1, s2, exec_lo
	s_and_b32 s2, s3, exec_lo
	s_or_b32 s2, s1, s2
	s_or_b32 exec_lo, exec_lo, s0
	s_and_saveexec_b32 s0, s2
	s_cbranch_execz .LBB31_3
.LBB31_77:
	v_lshlrev_b64 v[0:1], 2, s[12:13]
	v_mov_b32_e32 v2, 1
	s_delay_alu instid0(VALU_DEP_2) | instskip(NEXT) | instid1(VALU_DEP_3)
	v_add_co_u32 v0, vcc_lo, s10, v0
	v_add_co_ci_u32_e32 v1, vcc_lo, s11, v1, vcc_lo
	s_waitcnt_vscnt null, 0x0
	global_store_b32 v[0:1], v2, off
	s_nop 0
	s_sendmsg sendmsg(MSG_DEALLOC_VGPRS)
	s_endpgm
	.section	.rodata,"a",@progbits
	.p2align	6, 0x0
	.amdhsa_kernel _ZN9rocsparseL23bsric0_binsearch_kernelILj64ELj64ELb0EdEEv20rocsparse_direction_iiPKiS3_PT2_S3_PiS3_S6_21rocsparse_index_base_
		.amdhsa_group_segment_fixed_size 0
		.amdhsa_private_segment_fixed_size 0
		.amdhsa_kernarg_size 76
		.amdhsa_user_sgpr_count 15
		.amdhsa_user_sgpr_dispatch_ptr 0
		.amdhsa_user_sgpr_queue_ptr 0
		.amdhsa_user_sgpr_kernarg_segment_ptr 1
		.amdhsa_user_sgpr_dispatch_id 0
		.amdhsa_user_sgpr_private_segment_size 0
		.amdhsa_wavefront_size32 1
		.amdhsa_uses_dynamic_stack 0
		.amdhsa_enable_private_segment 0
		.amdhsa_system_sgpr_workgroup_id_x 1
		.amdhsa_system_sgpr_workgroup_id_y 0
		.amdhsa_system_sgpr_workgroup_id_z 0
		.amdhsa_system_sgpr_workgroup_info 0
		.amdhsa_system_vgpr_workitem_id 0
		.amdhsa_next_free_vgpr 45
		.amdhsa_next_free_sgpr 40
		.amdhsa_reserve_vcc 1
		.amdhsa_float_round_mode_32 0
		.amdhsa_float_round_mode_16_64 0
		.amdhsa_float_denorm_mode_32 3
		.amdhsa_float_denorm_mode_16_64 3
		.amdhsa_dx10_clamp 1
		.amdhsa_ieee_mode 1
		.amdhsa_fp16_overflow 0
		.amdhsa_workgroup_processor_mode 1
		.amdhsa_memory_ordered 1
		.amdhsa_forward_progress 0
		.amdhsa_shared_vgpr_count 0
		.amdhsa_exception_fp_ieee_invalid_op 0
		.amdhsa_exception_fp_denorm_src 0
		.amdhsa_exception_fp_ieee_div_zero 0
		.amdhsa_exception_fp_ieee_overflow 0
		.amdhsa_exception_fp_ieee_underflow 0
		.amdhsa_exception_fp_ieee_inexact 0
		.amdhsa_exception_int_div_zero 0
	.end_amdhsa_kernel
	.section	.text._ZN9rocsparseL23bsric0_binsearch_kernelILj64ELj64ELb0EdEEv20rocsparse_direction_iiPKiS3_PT2_S3_PiS3_S6_21rocsparse_index_base_,"axG",@progbits,_ZN9rocsparseL23bsric0_binsearch_kernelILj64ELj64ELb0EdEEv20rocsparse_direction_iiPKiS3_PT2_S3_PiS3_S6_21rocsparse_index_base_,comdat
.Lfunc_end31:
	.size	_ZN9rocsparseL23bsric0_binsearch_kernelILj64ELj64ELb0EdEEv20rocsparse_direction_iiPKiS3_PT2_S3_PiS3_S6_21rocsparse_index_base_, .Lfunc_end31-_ZN9rocsparseL23bsric0_binsearch_kernelILj64ELj64ELb0EdEEv20rocsparse_direction_iiPKiS3_PT2_S3_PiS3_S6_21rocsparse_index_base_
                                        ; -- End function
	.section	.AMDGPU.csdata,"",@progbits
; Kernel info:
; codeLenInByte = 3244
; NumSgprs: 42
; NumVgprs: 45
; ScratchSize: 0
; MemoryBound: 0
; FloatMode: 240
; IeeeMode: 1
; LDSByteSize: 0 bytes/workgroup (compile time only)
; SGPRBlocks: 5
; VGPRBlocks: 5
; NumSGPRsForWavesPerEU: 42
; NumVGPRsForWavesPerEU: 45
; Occupancy: 16
; WaveLimiterHint : 1
; COMPUTE_PGM_RSRC2:SCRATCH_EN: 0
; COMPUTE_PGM_RSRC2:USER_SGPR: 15
; COMPUTE_PGM_RSRC2:TRAP_HANDLER: 0
; COMPUTE_PGM_RSRC2:TGID_X_EN: 1
; COMPUTE_PGM_RSRC2:TGID_Y_EN: 0
; COMPUTE_PGM_RSRC2:TGID_Z_EN: 0
; COMPUTE_PGM_RSRC2:TIDIG_COMP_CNT: 0
	.section	.text._ZN9rocsparseL17bsric0_2_8_kernelILi64ELi64ELi8EdEEv20rocsparse_direction_iiPKiS3_PT2_S3_PiS3_S6_21rocsparse_index_base_,"axG",@progbits,_ZN9rocsparseL17bsric0_2_8_kernelILi64ELi64ELi8EdEEv20rocsparse_direction_iiPKiS3_PT2_S3_PiS3_S6_21rocsparse_index_base_,comdat
	.globl	_ZN9rocsparseL17bsric0_2_8_kernelILi64ELi64ELi8EdEEv20rocsparse_direction_iiPKiS3_PT2_S3_PiS3_S6_21rocsparse_index_base_ ; -- Begin function _ZN9rocsparseL17bsric0_2_8_kernelILi64ELi64ELi8EdEEv20rocsparse_direction_iiPKiS3_PT2_S3_PiS3_S6_21rocsparse_index_base_
	.p2align	8
	.type	_ZN9rocsparseL17bsric0_2_8_kernelILi64ELi64ELi8EdEEv20rocsparse_direction_iiPKiS3_PT2_S3_PiS3_S6_21rocsparse_index_base_,@function
_ZN9rocsparseL17bsric0_2_8_kernelILi64ELi64ELi8EdEEv20rocsparse_direction_iiPKiS3_PT2_S3_PiS3_S6_21rocsparse_index_base_: ; @_ZN9rocsparseL17bsric0_2_8_kernelILi64ELi64ELi8EdEEv20rocsparse_direction_iiPKiS3_PT2_S3_PiS3_S6_21rocsparse_index_base_
; %bb.0:
	s_load_b256 s[4:11], s[0:1], 0x28
	s_mov_b32 s2, s15
	s_mov_b32 s3, 0
	v_and_b32_e32 v13, 0x3ff, v0
	s_lshl_b64 s[12:13], s[2:3], 2
	v_bfe_u32 v14, v0, 10, 10
	s_waitcnt lgkmcnt(0)
	s_add_u32 s8, s8, s12
	s_addc_u32 s9, s9, s13
	s_load_b32 s16, s[8:9], 0x0
	s_waitcnt lgkmcnt(0)
	s_ashr_i32 s17, s16, 31
	s_delay_alu instid0(SALU_CYCLE_1) | instskip(NEXT) | instid1(SALU_CYCLE_1)
	s_lshl_b64 s[8:9], s[16:17], 2
	s_add_u32 s12, s4, s8
	s_addc_u32 s13, s5, s9
	s_load_b32 s28, s[12:13], 0x0
	s_load_b32 s17, s[0:1], 0x48
	s_waitcnt lgkmcnt(0)
	s_cmp_lg_u32 s28, -1
	s_cbranch_scc0 .LBB32_92
; %bb.1:
	s_clause 0x1
	s_load_b128 s[12:15], s[0:1], 0x10
	s_load_b64 s[18:19], s[0:1], 0x20
	v_lshlrev_b32_e32 v17, 3, v14
	s_waitcnt lgkmcnt(0)
	s_add_u32 s2, s12, s8
	s_addc_u32 s3, s13, s9
	s_load_b32 s2, s[2:3], 0x0
	s_mov_b32 s3, exec_lo
	s_waitcnt lgkmcnt(0)
	s_sub_i32 s29, s2, s17
	s_delay_alu instid0(SALU_CYCLE_1) | instskip(NEXT) | instid1(VALU_DEP_1)
	v_add3_u32 v0, v17, v13, s29
	v_cmpx_ge_i32_e64 s28, v0
	s_cbranch_execz .LBB32_4
; %bb.2:
	v_ashrrev_i32_e32 v1, 31, v0
	v_lshlrev_b32_e32 v3, 5, v14
	v_lshlrev_b32_e32 v4, 2, v13
	s_mov_b32 s20, 0
	s_delay_alu instid0(VALU_DEP_3) | instskip(NEXT) | instid1(VALU_DEP_2)
	v_lshlrev_b64 v[1:2], 2, v[0:1]
	v_add3_u32 v3, v3, v4, 0xb00
	s_delay_alu instid0(VALU_DEP_2) | instskip(NEXT) | instid1(VALU_DEP_3)
	v_add_co_u32 v1, vcc_lo, s14, v1
	v_add_co_ci_u32_e32 v2, vcc_lo, s15, v2, vcc_lo
	.p2align	6
.LBB32_3:                               ; =>This Inner Loop Header: Depth=1
	global_load_b32 v4, v[1:2], off
	v_add_nc_u32_e32 v0, 64, v0
	v_add_co_u32 v1, vcc_lo, 0x100, v1
	v_add_co_ci_u32_e32 v2, vcc_lo, 0, v2, vcc_lo
	s_delay_alu instid0(VALU_DEP_3) | instskip(NEXT) | instid1(VALU_DEP_1)
	v_cmp_lt_i32_e64 s2, s28, v0
	s_or_b32 s20, s2, s20
	s_waitcnt vmcnt(0)
	v_subrev_nc_u32_e32 v4, s17, v4
	ds_store_b32 v3, v4
	v_add_nc_u32_e32 v3, 0x100, v3
	s_and_not1_b32 exec_lo, exec_lo, s20
	s_cbranch_execnz .LBB32_3
.LBB32_4:
	s_or_b32 exec_lo, exec_lo, s3
	s_clause 0x1
	s_load_b32 s30, s[0:1], 0x0
	s_load_b32 s3, s[0:1], 0x8
	v_mov_b32_e32 v0, 0
	v_lshlrev_b32_e32 v2, 3, v13
	s_cmp_ge_i32 s29, s28
	s_delay_alu instid0(VALU_DEP_2) | instskip(NEXT) | instid1(VALU_DEP_2)
	v_mov_b32_e32 v1, v0
	v_mad_u32_u24 v15, 0x48, v14, v2
	s_delay_alu instid0(VALU_DEP_1)
	v_add_nc_u32_e32 v16, 0x6c0, v15
	ds_store_b64 v15, v[0:1] offset:1728
	s_waitcnt lgkmcnt(0)
	buffer_gl0_inv
	s_cbranch_scc1 .LBB32_74
; %bb.5:
	v_cmp_gt_i32_e64 s0, s3, v13
	v_cmp_gt_i32_e64 s1, s3, v14
	s_cmp_eq_u32 s30, 0
	s_movk_i32 s2, 0x480
	s_cselect_b32 vcc_lo, -1, 0
	s_cmp_lg_u32 s30, 0
	v_mad_u32_u24 v18, 0x48, v14, s2
	s_cselect_b32 s31, -1, 0
	s_and_b32 s33, s0, s1
	v_or_b32_e32 v1, v13, v14
	s_cmp_gt_i32 s3, 0
	v_mul_lo_u32 v20, v13, s3
	v_mul_lo_u32 v21, v14, s3
	s_cselect_b32 s34, -1, 0
	s_cmp_lg_u32 s3, 1
	v_add_nc_u32_e32 v19, v18, v2
	v_add_nc_u32_e32 v22, 0x240, v15
	v_cmp_ne_u32_e64 s2, 0, v1
	v_dual_cndmask_b32 v1, v14, v13 :: v_dual_cndmask_b32 v2, v13, v14
	s_cselect_b32 s35, -1, 0
	s_and_b32 s36, s3, 0x7ffffffe
	s_bitcmp1_b32 s3, 0
	s_mul_i32 s37, s3, s3
	s_cselect_b32 s38, -1, 0
	s_mov_b32 s20, s29
	s_branch .LBB32_8
.LBB32_6:                               ;   in Loop: Header=BB32_8 Depth=1
	s_or_b32 exec_lo, exec_lo, s21
	s_add_i32 s20, s20, 1
	s_waitcnt_vscnt null, 0x0
	buffer_gl1_inv
	buffer_gl0_inv
	s_cmp_ge_i32 s20, s28
	s_cselect_b32 s26, -1, 0
.LBB32_7:                               ;   in Loop: Header=BB32_8 Depth=1
	s_delay_alu instid0(SALU_CYCLE_1)
	s_and_b32 vcc_lo, exec_lo, s26
	s_cbranch_vccnz .LBB32_74
.LBB32_8:                               ; =>This Loop Header: Depth=1
                                        ;     Child Loop BB32_13 Depth 2
                                        ;     Child Loop BB32_24 Depth 2
	;; [unrolled: 1-line block ×3, first 2 shown]
                                        ;       Child Loop BB32_55 Depth 3
                                        ;       Child Loop BB32_61 Depth 3
                                        ;     Child Loop BB32_70 Depth 2
	s_ashr_i32 s21, s20, 31
	s_delay_alu instid0(SALU_CYCLE_1) | instskip(NEXT) | instid1(SALU_CYCLE_1)
	s_lshl_b64 s[22:23], s[20:21], 2
	s_add_u32 s22, s14, s22
	s_addc_u32 s23, s15, s23
	s_load_b32 s21, s[22:23], 0x0
	s_waitcnt lgkmcnt(0)
	s_sub_i32 s24, s21, s17
	s_delay_alu instid0(SALU_CYCLE_1) | instskip(NEXT) | instid1(SALU_CYCLE_1)
	s_ashr_i32 s25, s24, 31
	s_lshl_b64 s[22:23], s[24:25], 2
	s_delay_alu instid0(SALU_CYCLE_1)
	s_add_u32 s26, s4, s22
	s_addc_u32 s27, s5, s23
	s_load_b32 s25, s[26:27], 0x0
	s_mov_b32 s26, -1
	s_waitcnt lgkmcnt(0)
	s_cmp_eq_u32 s25, -1
	s_cbranch_scc1 .LBB32_7
; %bb.9:                                ;   in Loop: Header=BB32_8 Depth=1
	v_mov_b32_e32 v3, 0
	v_mov_b32_e32 v4, 0
	s_add_u32 s26, s12, s22
	s_addc_u32 s27, s13, s23
	s_and_saveexec_b32 s39, s33
	s_cbranch_execz .LBB32_11
; %bb.10:                               ;   in Loop: Header=BB32_8 Depth=1
	v_mad_u64_u32 v[3:4], null, s20, s3, v[2:3]
	s_delay_alu instid0(VALU_DEP_1) | instskip(NEXT) | instid1(VALU_DEP_1)
	v_mad_u64_u32 v[4:5], null, v3, s3, v[1:2]
	v_ashrrev_i32_e32 v5, 31, v4
	s_delay_alu instid0(VALU_DEP_1) | instskip(NEXT) | instid1(VALU_DEP_1)
	v_lshlrev_b64 v[3:4], 3, v[4:5]
	v_add_co_u32 v3, vcc_lo, s18, v3
	s_delay_alu instid0(VALU_DEP_2)
	v_add_co_ci_u32_e32 v4, vcc_lo, s19, v4, vcc_lo
	global_load_b64 v[3:4], v[3:4], off
.LBB32_11:                              ;   in Loop: Header=BB32_8 Depth=1
	s_or_b32 exec_lo, exec_lo, s39
	s_load_b32 s26, s[26:27], 0x0
	ds_load_b32 v5, v0 offset:2816
	s_waitcnt vmcnt(0)
	ds_store_b64 v19, v[3:4]
	s_waitcnt lgkmcnt(0)
	s_sub_i32 s26, s26, s17
	v_cmp_ge_i32_e32 vcc_lo, s24, v5
	s_cmp_le_i32 s26, s25
	s_cselect_b32 s27, -1, 0
	s_delay_alu instid0(SALU_CYCLE_1) | instskip(NEXT) | instid1(SALU_CYCLE_1)
	s_and_b32 s27, s27, vcc_lo
	s_and_not1_b32 vcc_lo, exec_lo, s27
	s_mov_b32 s27, 0
	s_cbranch_vccnz .LBB32_23
; %bb.12:                               ;   in Loop: Header=BB32_8 Depth=1
	s_mov_b32 s39, 0
	s_mov_b32 s40, 0
.LBB32_13:                              ;   Parent Loop BB32_8 Depth=1
                                        ; =>  This Inner Loop Header: Depth=2
	s_ashr_i32 s27, s26, 31
	s_mov_b32 s44, -1
	s_lshl_b64 s[42:43], s[26:27], 2
	s_delay_alu instid0(SALU_CYCLE_1) | instskip(SKIP_2) | instid1(SALU_CYCLE_1)
	s_add_u32 s42, s14, s42
	s_addc_u32 s43, s15, s43
	s_lshl_b32 s27, s40, 2
	v_mov_b32_e32 v3, s27
	s_load_b32 s27, s[42:43], 0x0
                                        ; implicit-def: $sgpr43
                                        ; implicit-def: $sgpr42
	ds_load_b32 v3, v3 offset:2816
	s_waitcnt lgkmcnt(0)
	s_sub_i32 s45, s27, s17
                                        ; implicit-def: $sgpr27
	s_delay_alu instid0(SALU_CYCLE_1)
	v_cmp_ge_i32_e32 vcc_lo, s45, v3
	v_readfirstlane_b32 s41, v3
	s_cbranch_vccz .LBB32_19
; %bb.14:                               ;   in Loop: Header=BB32_13 Depth=2
	s_delay_alu instid0(VALU_DEP_1)
	s_cmp_le_i32 s45, s41
                                        ; implicit-def: $sgpr27
                                        ; implicit-def: $sgpr43
                                        ; implicit-def: $sgpr42
	s_cbranch_scc0 .LBB32_16
; %bb.15:                               ;   in Loop: Header=BB32_13 Depth=2
	s_add_i32 s27, s40, s29
	s_lshl_b32 s42, s39, 2
	s_mul_i32 s27, s27, s37
	s_delay_alu instid0(SALU_CYCLE_1)
	v_dual_mov_b32 v3, s42 :: v_dual_mov_b32 v4, s27
	s_mul_i32 s42, s26, s37
	s_add_i32 s43, s26, 1
	v_mov_b32_e32 v5, s42
	s_add_i32 s42, s40, 1
	s_add_i32 s27, s39, 1
	s_mov_b32 s44, 0
	ds_store_2addr_stride64_b32 v3, v5, v4 offset0:9 offset1:10
.LBB32_16:                              ;   in Loop: Header=BB32_13 Depth=2
	s_and_not1_b32 vcc_lo, exec_lo, s44
	s_cbranch_vccnz .LBB32_18
; %bb.17:                               ;   in Loop: Header=BB32_13 Depth=2
	s_add_i32 s42, s40, 1
	s_mov_b32 s27, s39
	s_mov_b32 s43, s26
.LBB32_18:                              ;   in Loop: Header=BB32_13 Depth=2
	s_mov_b32 s44, 0
.LBB32_19:                              ;   in Loop: Header=BB32_13 Depth=2
	s_delay_alu instid0(SALU_CYCLE_1)
	s_and_not1_b32 vcc_lo, exec_lo, s44
	s_cbranch_vccnz .LBB32_21
; %bb.20:                               ;   in Loop: Header=BB32_13 Depth=2
	s_add_i32 s43, s26, 1
	s_mov_b32 s42, s40
	s_mov_b32 s27, s39
.LBB32_21:                              ;   in Loop: Header=BB32_13 Depth=2
	s_cmp_le_i32 s43, s25
	s_cselect_b32 s26, -1, 0
	s_cmp_le_i32 s41, s24
	s_cselect_b32 s39, -1, 0
	s_delay_alu instid0(SALU_CYCLE_1) | instskip(NEXT) | instid1(SALU_CYCLE_1)
	s_and_b32 s26, s26, s39
	s_and_b32 vcc_lo, exec_lo, s26
	s_cbranch_vccz .LBB32_23
; %bb.22:                               ;   in Loop: Header=BB32_13 Depth=2
	s_mov_b32 s39, s27
	s_mov_b32 s26, s43
	s_mov_b32 s40, s42
	s_branch .LBB32_13
.LBB32_23:                              ;   in Loop: Header=BB32_8 Depth=1
	s_add_u32 s22, s6, s22
	s_addc_u32 s23, s7, s23
	s_waitcnt lgkmcnt(0)
	buffer_gl0_inv
.LBB32_24:                              ;   Parent Loop BB32_8 Depth=1
                                        ; =>  This Inner Loop Header: Depth=2
	global_load_b32 v3, v0, s[22:23] glc
	s_waitcnt vmcnt(0)
	v_cmp_eq_u32_e32 vcc_lo, 0, v3
	s_cbranch_vccnz .LBB32_24
; %bb.25:                               ;   in Loop: Header=BB32_8 Depth=1
	v_mov_b32_e32 v8, 0
	v_mov_b32_e32 v9, 0
	s_delay_alu instid0(VALU_DEP_2)
	v_mov_b32_e32 v3, v8
	buffer_gl1_inv
	buffer_gl0_inv
	v_mov_b32_e32 v4, v9
	s_and_saveexec_b32 s22, s33
	s_cbranch_execz .LBB32_27
; %bb.26:                               ;   in Loop: Header=BB32_8 Depth=1
	v_mad_u64_u32 v[3:4], null, s25, s3, v[2:3]
	s_delay_alu instid0(VALU_DEP_1) | instskip(NEXT) | instid1(VALU_DEP_1)
	v_mad_u64_u32 v[4:5], null, v3, s3, v[1:2]
	v_ashrrev_i32_e32 v5, 31, v4
	s_delay_alu instid0(VALU_DEP_1) | instskip(NEXT) | instid1(VALU_DEP_1)
	v_lshlrev_b64 v[3:4], 3, v[4:5]
	v_add_co_u32 v3, vcc_lo, s18, v3
	s_delay_alu instid0(VALU_DEP_2)
	v_add_co_ci_u32_e32 v4, vcc_lo, s19, v4, vcc_lo
	global_load_b64 v[3:4], v[3:4], off
.LBB32_27:                              ;   in Loop: Header=BB32_8 Depth=1
	s_or_b32 exec_lo, exec_lo, s22
	s_cmp_lt_i32 s27, 2
	s_waitcnt vmcnt(0)
	ds_store_b64 v15, v[3:4]
	s_waitcnt lgkmcnt(0)
	buffer_gl0_inv
	s_cbranch_scc1 .LBB32_46
; %bb.28:                               ;   in Loop: Header=BB32_8 Depth=1
	v_mov_b32_e32 v3, 0
	v_mov_b32_e32 v4, 0
	s_add_i32 s22, s27, -2
	s_mov_b32 s23, 0
	s_and_not1_b32 vcc_lo, exec_lo, s34
	s_cbranch_vccnz .LBB32_43
.LBB32_29:                              ;   in Loop: Header=BB32_8 Depth=1
	s_lshl_b32 s24, s23, 2
	s_delay_alu instid0(SALU_CYCLE_1)
	v_mov_b32_e32 v5, s24
	s_mov_b32 s24, 0
	ds_load_2addr_stride64_b32 v[6:7], v5 offset0:9 offset1:10
	s_waitcnt lgkmcnt(0)
	v_add_nc_u32_e32 v24, v7, v21
	v_add_nc_u32_e32 v23, v6, v20
	;; [unrolled: 1-line block ×4, first 2 shown]
	s_and_b32 vcc_lo, exec_lo, s31
	s_cbranch_vccz .LBB32_35
.LBB32_30:                              ;   in Loop: Header=BB32_8 Depth=1
	v_mov_b32_e32 v9, 0
	v_mov_b32_e32 v10, 0
	s_delay_alu instid0(VALU_DEP_1)
	v_dual_mov_b32 v12, v10 :: v_dual_mov_b32 v11, v9
	s_and_saveexec_b32 s25, s0
	s_cbranch_execz .LBB32_32
; %bb.31:                               ;   in Loop: Header=BB32_8 Depth=1
	v_ashrrev_i32_e32 v8, 31, v7
	s_delay_alu instid0(VALU_DEP_1) | instskip(NEXT) | instid1(VALU_DEP_1)
	v_lshlrev_b64 v[11:12], 3, v[7:8]
	v_add_co_u32 v11, vcc_lo, s18, v11
	s_delay_alu instid0(VALU_DEP_2)
	v_add_co_ci_u32_e32 v12, vcc_lo, s19, v12, vcc_lo
	global_load_b64 v[11:12], v[11:12], off
.LBB32_32:                              ;   in Loop: Header=BB32_8 Depth=1
	s_or_b32 exec_lo, exec_lo, s25
	s_and_saveexec_b32 s25, s1
	s_cbranch_execz .LBB32_34
; %bb.33:                               ;   in Loop: Header=BB32_8 Depth=1
	v_ashrrev_i32_e32 v6, 31, v5
	s_delay_alu instid0(VALU_DEP_1) | instskip(NEXT) | instid1(VALU_DEP_1)
	v_lshlrev_b64 v[8:9], 3, v[5:6]
	v_add_co_u32 v8, vcc_lo, s18, v8
	s_delay_alu instid0(VALU_DEP_2)
	v_add_co_ci_u32_e32 v9, vcc_lo, s19, v9, vcc_lo
	global_load_b64 v[9:10], v[8:9], off
.LBB32_34:                              ;   in Loop: Header=BB32_8 Depth=1
	s_or_b32 exec_lo, exec_lo, s25
	s_waitcnt vmcnt(0)
	v_fma_f64 v[8:9], v[11:12], v[9:10], v[3:4]
	s_branch .LBB32_41
.LBB32_35:                              ;   in Loop: Header=BB32_8 Depth=1
                                        ; implicit-def: $vgpr8_vgpr9
	s_cbranch_execz .LBB32_41
; %bb.36:                               ;   in Loop: Header=BB32_8 Depth=1
	v_mov_b32_e32 v8, 0
	v_mov_b32_e32 v9, 0
	s_delay_alu instid0(VALU_DEP_1)
	v_dual_mov_b32 v11, v9 :: v_dual_mov_b32 v10, v8
	s_and_saveexec_b32 s25, s0
	s_cbranch_execz .LBB32_38
; %bb.37:                               ;   in Loop: Header=BB32_8 Depth=1
	v_add_nc_u32_e32 v10, s24, v23
	s_delay_alu instid0(VALU_DEP_1) | instskip(NEXT) | instid1(VALU_DEP_1)
	v_ashrrev_i32_e32 v11, 31, v10
	v_lshlrev_b64 v[10:11], 3, v[10:11]
	s_delay_alu instid0(VALU_DEP_1) | instskip(NEXT) | instid1(VALU_DEP_2)
	v_add_co_u32 v10, vcc_lo, s18, v10
	v_add_co_ci_u32_e32 v11, vcc_lo, s19, v11, vcc_lo
	global_load_b64 v[10:11], v[10:11], off
.LBB32_38:                              ;   in Loop: Header=BB32_8 Depth=1
	s_or_b32 exec_lo, exec_lo, s25
	s_and_saveexec_b32 s25, s1
	s_cbranch_execz .LBB32_40
; %bb.39:                               ;   in Loop: Header=BB32_8 Depth=1
	v_add_nc_u32_e32 v8, s24, v24
	s_delay_alu instid0(VALU_DEP_1) | instskip(NEXT) | instid1(VALU_DEP_1)
	v_ashrrev_i32_e32 v9, 31, v8
	v_lshlrev_b64 v[8:9], 3, v[8:9]
	s_delay_alu instid0(VALU_DEP_1) | instskip(NEXT) | instid1(VALU_DEP_2)
	v_add_co_u32 v8, vcc_lo, s18, v8
	v_add_co_ci_u32_e32 v9, vcc_lo, s19, v9, vcc_lo
	global_load_b64 v[8:9], v[8:9], off
.LBB32_40:                              ;   in Loop: Header=BB32_8 Depth=1
	s_or_b32 exec_lo, exec_lo, s25
	s_waitcnt vmcnt(0)
	v_fma_f64 v[8:9], v[10:11], v[8:9], v[3:4]
.LBB32_41:                              ;   in Loop: Header=BB32_8 Depth=1
	v_add_nc_u32_e32 v5, s3, v5
	v_add_nc_u32_e32 v7, s3, v7
	s_add_i32 s24, s24, 1
	s_delay_alu instid0(SALU_CYCLE_1)
	s_cmp_eq_u32 s3, s24
	s_cbranch_scc1 .LBB32_44
; %bb.42:                               ;   in Loop: Header=BB32_8 Depth=1
	s_delay_alu instid0(VALU_DEP_3)
	v_dual_mov_b32 v3, v8 :: v_dual_mov_b32 v4, v9
	s_and_b32 vcc_lo, exec_lo, s31
	s_cbranch_vccz .LBB32_35
	s_branch .LBB32_30
.LBB32_43:                              ;   in Loop: Header=BB32_8 Depth=1
	v_dual_mov_b32 v9, v4 :: v_dual_mov_b32 v8, v3
.LBB32_44:                              ;   in Loop: Header=BB32_8 Depth=1
	s_add_i32 s24, s23, 1
	s_cmp_eq_u32 s23, s22
	s_cbranch_scc1 .LBB32_46
; %bb.45:                               ;   in Loop: Header=BB32_8 Depth=1
	s_delay_alu instid0(VALU_DEP_1)
	v_dual_mov_b32 v3, v8 :: v_dual_mov_b32 v4, v9
	s_mov_b32 s23, s24
	s_and_not1_b32 vcc_lo, exec_lo, s34
	s_cbranch_vccz .LBB32_29
	s_branch .LBB32_43
.LBB32_46:                              ;   in Loop: Header=BB32_8 Depth=1
	s_and_not1_b32 vcc_lo, exec_lo, s34
	ds_store_b64 v22, v[8:9]
	s_waitcnt lgkmcnt(0)
	buffer_gl0_inv
	s_cbranch_vccnz .LBB32_72
; %bb.47:                               ;   in Loop: Header=BB32_8 Depth=1
	s_and_not1_b32 vcc_lo, exec_lo, s35
	s_mov_b32 s24, 0
	s_cbranch_vccnz .LBB32_63
; %bb.48:                               ;   in Loop: Header=BB32_8 Depth=1
	s_mov_b32 s22, 0
	s_mov_b32 s23, 0
.LBB32_49:                              ;   Parent Loop BB32_8 Depth=1
                                        ; =>  This Loop Header: Depth=2
                                        ;       Child Loop BB32_55 Depth 3
                                        ;       Child Loop BB32_61 Depth 3
	s_delay_alu instid0(SALU_CYCLE_1) | instskip(SKIP_3) | instid1(SALU_CYCLE_1)
	s_lshl_b32 s25, s23, 3
	s_mul_i32 s24, s23, 0x48
	v_mad_u32_u24 v9, 0x48, v14, s25
	s_add_i32 s24, s25, s24
	v_mov_b32_e32 v3, s24
	ds_load_b64 v[5:6], v3
	ds_load_b64 v[3:4], v9 offset:1152
	s_waitcnt lgkmcnt(1)
	v_cmp_neq_f64_e32 vcc_lo, 0, v[5:6]
	v_cndmask_b32_e32 v6, 0x3ff00000, v6, vcc_lo
	v_cndmask_b32_e32 v5, 0, v5, vcc_lo
	s_or_b32 s25, vcc_lo, s2
	s_delay_alu instid0(SALU_CYCLE_1) | instskip(NEXT) | instid1(SALU_CYCLE_1)
	s_xor_b32 s26, s25, -1
	s_and_saveexec_b32 s25, s26
	s_cbranch_execz .LBB32_53
; %bb.50:                               ;   in Loop: Header=BB32_49 Depth=2
	v_mbcnt_lo_u32_b32 v5, exec_lo, 0
	s_mov_b32 s26, exec_lo
	s_delay_alu instid0(VALU_DEP_1)
	v_cmpx_eq_u32_e32 0, v5
	s_cbranch_execz .LBB32_52
; %bb.51:                               ;   in Loop: Header=BB32_49 Depth=2
	v_mov_b32_e32 v5, s21
	global_atomic_min_i32 v0, v5, s[10:11]
.LBB32_52:                              ;   in Loop: Header=BB32_49 Depth=2
	s_or_b32 exec_lo, exec_lo, s26
	v_mov_b32_e32 v5, 0
	v_mov_b32_e32 v6, 0x3ff00000
.LBB32_53:                              ;   in Loop: Header=BB32_49 Depth=2
	s_or_b32 exec_lo, exec_lo, s25
	v_mul_u32_u24_e32 v7, 0x48, v14
	s_cmp_eq_u32 s23, 0
	s_delay_alu instid0(VALU_DEP_1)
	v_lshl_add_u32 v10, s23, 3, v7
	ds_load_b64 v[7:8], v10 offset:576
	s_cbranch_scc1 .LBB32_56
; %bb.54:                               ;   in Loop: Header=BB32_49 Depth=2
	v_mov_b32_e32 v11, v18
	s_mov_b32 s25, 0
	s_mov_b32 s26, s22
.LBB32_55:                              ;   Parent Loop BB32_8 Depth=1
                                        ;     Parent Loop BB32_49 Depth=2
                                        ; =>    This Inner Loop Header: Depth=3
	s_delay_alu instid0(SALU_CYCLE_1)
	v_mov_b32_e32 v12, s26
	s_add_i32 s25, s25, 1
	s_add_i32 s26, s26, 8
	s_cmp_ge_u32 s25, s23
	ds_load_b64 v[23:24], v11
	ds_load_b64 v[25:26], v12
	v_add_nc_u32_e32 v11, 8, v11
	s_waitcnt lgkmcnt(0)
	v_fma_f64 v[7:8], v[25:26], v[23:24], v[7:8]
	s_cbranch_scc0 .LBB32_55
.LBB32_56:                              ;   in Loop: Header=BB32_49 Depth=2
	s_waitcnt lgkmcnt(0)
	s_delay_alu instid0(VALU_DEP_1) | instskip(SKIP_2) | instid1(VALU_DEP_3)
	v_add_f64 v[3:4], v[3:4], -v[7:8]
	v_add_nc_u32_e32 v9, 0x480, v9
	v_add_nc_u32_e32 v10, 0x240, v10
	v_div_scale_f64 v[7:8], null, v[5:6], v[5:6], v[3:4]
	v_div_scale_f64 v[25:26], vcc_lo, v[3:4], v[5:6], v[3:4]
	s_delay_alu instid0(VALU_DEP_2) | instskip(SKIP_2) | instid1(VALU_DEP_1)
	v_rcp_f64_e32 v[11:12], v[7:8]
	s_waitcnt_depctr 0xfff
	v_fma_f64 v[23:24], -v[7:8], v[11:12], 1.0
	v_fma_f64 v[11:12], v[11:12], v[23:24], v[11:12]
	s_delay_alu instid0(VALU_DEP_1) | instskip(NEXT) | instid1(VALU_DEP_1)
	v_fma_f64 v[23:24], -v[7:8], v[11:12], 1.0
	v_fma_f64 v[11:12], v[11:12], v[23:24], v[11:12]
	s_delay_alu instid0(VALU_DEP_1) | instskip(NEXT) | instid1(VALU_DEP_1)
	v_mul_f64 v[23:24], v[25:26], v[11:12]
	v_fma_f64 v[7:8], -v[7:8], v[23:24], v[25:26]
	s_delay_alu instid0(VALU_DEP_1) | instskip(NEXT) | instid1(VALU_DEP_1)
	v_div_fmas_f64 v[7:8], v[7:8], v[11:12], v[23:24]
	v_div_fixup_f64 v[3:4], v[7:8], v[5:6], v[3:4]
	v_mul_u32_u24_e32 v5, 0x48, v13
	s_delay_alu instid0(VALU_DEP_1)
	v_lshl_add_u32 v11, s23, 3, v5
	ds_store_b64 v9, v[3:4]
	s_waitcnt lgkmcnt(0)
	s_waitcnt_vscnt null, 0x0
	buffer_gl0_inv
	ds_load_b64 v[5:6], v11 offset:1152
	ds_load_b64 v[7:8], v16
	s_waitcnt lgkmcnt(0)
	v_fma_f64 v[3:4], v[3:4], v[5:6], v[7:8]
	v_mov_b32_e32 v5, s24
	ds_store_b64 v16, v[3:4]
	s_waitcnt lgkmcnt(0)
	buffer_gl0_inv
	ds_load_b64 v[5:6], v5 offset:80
	ds_load_b64 v[3:4], v9 offset:8
	s_waitcnt lgkmcnt(1)
	v_cmp_neq_f64_e32 vcc_lo, 0, v[5:6]
	v_cndmask_b32_e32 v6, 0x3ff00000, v6, vcc_lo
	v_cndmask_b32_e32 v5, 0, v5, vcc_lo
	s_or_b32 s24, vcc_lo, s2
	s_delay_alu instid0(SALU_CYCLE_1) | instskip(NEXT) | instid1(SALU_CYCLE_1)
	s_xor_b32 s25, s24, -1
	s_and_saveexec_b32 s24, s25
	s_cbranch_execz .LBB32_60
; %bb.57:                               ;   in Loop: Header=BB32_49 Depth=2
	v_mbcnt_lo_u32_b32 v5, exec_lo, 0
	s_mov_b32 s25, exec_lo
	s_delay_alu instid0(VALU_DEP_1)
	v_cmpx_eq_u32_e32 0, v5
	s_cbranch_execz .LBB32_59
; %bb.58:                               ;   in Loop: Header=BB32_49 Depth=2
	v_mov_b32_e32 v5, s21
	global_atomic_min_i32 v0, v5, s[10:11]
.LBB32_59:                              ;   in Loop: Header=BB32_49 Depth=2
	s_or_b32 exec_lo, exec_lo, s25
	v_mov_b32_e32 v5, 0
	v_mov_b32_e32 v6, 0x3ff00000
.LBB32_60:                              ;   in Loop: Header=BB32_49 Depth=2
	s_or_b32 exec_lo, exec_lo, s24
	ds_load_b64 v[7:8], v10 offset:8
	v_add_nc_u32_e32 v10, 0x480, v11
	s_mov_b32 s24, 0
	s_mov_b32 s25, -1
.LBB32_61:                              ;   Parent Loop BB32_8 Depth=1
                                        ;     Parent Loop BB32_49 Depth=2
                                        ; =>    This Inner Loop Header: Depth=3
	s_add_i32 s26, s22, s24
	v_add_nc_u32_e32 v11, s24, v18
	v_mov_b32_e32 v23, s26
	s_add_i32 s25, s25, 1
	s_add_i32 s24, s24, 8
	s_cmp_lt_u32 s25, s23
	ds_load_b64 v[11:12], v11
	ds_load_b64 v[23:24], v23 offset:72
	s_waitcnt lgkmcnt(0)
	v_fma_f64 v[7:8], v[23:24], v[11:12], v[7:8]
	s_cbranch_scc1 .LBB32_61
; %bb.62:                               ;   in Loop: Header=BB32_49 Depth=2
	s_delay_alu instid0(VALU_DEP_1) | instskip(SKIP_4) | instid1(VALU_DEP_1)
	v_add_f64 v[3:4], v[3:4], -v[7:8]
	s_add_i32 s23, s23, 2
	s_addk_i32 s22, 0x90
	s_mov_b32 s24, s36
	s_cmp_eq_u32 s23, s36
	v_div_scale_f64 v[7:8], null, v[5:6], v[5:6], v[3:4]
	v_div_scale_f64 v[25:26], vcc_lo, v[3:4], v[5:6], v[3:4]
	s_delay_alu instid0(VALU_DEP_2) | instskip(SKIP_2) | instid1(VALU_DEP_1)
	v_rcp_f64_e32 v[11:12], v[7:8]
	s_waitcnt_depctr 0xfff
	v_fma_f64 v[23:24], -v[7:8], v[11:12], 1.0
	v_fma_f64 v[11:12], v[11:12], v[23:24], v[11:12]
	s_delay_alu instid0(VALU_DEP_1) | instskip(NEXT) | instid1(VALU_DEP_1)
	v_fma_f64 v[23:24], -v[7:8], v[11:12], 1.0
	v_fma_f64 v[11:12], v[11:12], v[23:24], v[11:12]
	s_delay_alu instid0(VALU_DEP_1) | instskip(NEXT) | instid1(VALU_DEP_1)
	v_mul_f64 v[23:24], v[25:26], v[11:12]
	v_fma_f64 v[7:8], -v[7:8], v[23:24], v[25:26]
	s_delay_alu instid0(VALU_DEP_1) | instskip(NEXT) | instid1(VALU_DEP_1)
	v_div_fmas_f64 v[7:8], v[7:8], v[11:12], v[23:24]
	v_div_fixup_f64 v[3:4], v[7:8], v[5:6], v[3:4]
	ds_store_b64 v9, v[3:4] offset:8
	s_waitcnt lgkmcnt(0)
	s_waitcnt_vscnt null, 0x0
	buffer_gl0_inv
	ds_load_b64 v[5:6], v10 offset:8
	ds_load_b64 v[7:8], v16
	s_waitcnt lgkmcnt(0)
	v_fma_f64 v[3:4], v[3:4], v[5:6], v[7:8]
	ds_store_b64 v16, v[3:4]
	s_waitcnt lgkmcnt(0)
	buffer_gl0_inv
	s_cbranch_scc0 .LBB32_49
.LBB32_63:                              ;   in Loop: Header=BB32_8 Depth=1
	s_and_not1_b32 vcc_lo, exec_lo, s38
	s_cbranch_vccnz .LBB32_72
; %bb.64:                               ;   in Loop: Header=BB32_8 Depth=1
	s_lshl_b32 s23, s24, 3
	s_mul_i32 s22, s24, 0x48
	v_mad_u32_u24 v9, 0x48, v14, s23
	s_add_i32 s25, s23, s22
	s_delay_alu instid0(SALU_CYCLE_1)
	v_mov_b32_e32 v3, s25
	ds_load_b64 v[5:6], v3
	ds_load_b64 v[3:4], v9 offset:1152
	s_waitcnt lgkmcnt(1)
	v_cmp_neq_f64_e32 vcc_lo, 0, v[5:6]
	v_cndmask_b32_e32 v6, 0x3ff00000, v6, vcc_lo
	v_cndmask_b32_e32 v5, 0, v5, vcc_lo
	s_or_b32 s23, vcc_lo, s2
	s_delay_alu instid0(SALU_CYCLE_1) | instskip(NEXT) | instid1(SALU_CYCLE_1)
	s_xor_b32 s25, s23, -1
	s_and_saveexec_b32 s23, s25
	s_cbranch_execz .LBB32_68
; %bb.65:                               ;   in Loop: Header=BB32_8 Depth=1
	v_mbcnt_lo_u32_b32 v5, exec_lo, 0
	s_mov_b32 s25, exec_lo
	s_delay_alu instid0(VALU_DEP_1)
	v_cmpx_eq_u32_e32 0, v5
	s_cbranch_execz .LBB32_67
; %bb.66:                               ;   in Loop: Header=BB32_8 Depth=1
	v_mov_b32_e32 v5, s21
	global_atomic_min_i32 v0, v5, s[10:11]
.LBB32_67:                              ;   in Loop: Header=BB32_8 Depth=1
	s_or_b32 exec_lo, exec_lo, s25
	v_mov_b32_e32 v5, 0
	v_mov_b32_e32 v6, 0x3ff00000
.LBB32_68:                              ;   in Loop: Header=BB32_8 Depth=1
	s_or_b32 exec_lo, exec_lo, s23
	v_mul_u32_u24_e32 v7, 0x48, v14
	s_cmp_eq_u32 s24, 0
	s_delay_alu instid0(VALU_DEP_1)
	v_lshl_add_u32 v7, s24, 3, v7
	ds_load_b64 v[7:8], v7 offset:576
	s_cbranch_scc1 .LBB32_71
; %bb.69:                               ;   in Loop: Header=BB32_8 Depth=1
	v_mov_b32_e32 v10, v18
	s_mov_b32 s21, 0
.LBB32_70:                              ;   Parent Loop BB32_8 Depth=1
                                        ; =>  This Inner Loop Header: Depth=2
	v_mov_b32_e32 v23, s22
	s_add_i32 s21, s21, 1
	s_add_i32 s22, s22, 8
	s_cmp_lt_u32 s21, s24
	ds_load_b64 v[11:12], v10
	ds_load_b64 v[23:24], v23
	v_add_nc_u32_e32 v10, 8, v10
	s_waitcnt lgkmcnt(0)
	v_fma_f64 v[7:8], v[23:24], v[11:12], v[7:8]
	s_cbranch_scc1 .LBB32_70
.LBB32_71:                              ;   in Loop: Header=BB32_8 Depth=1
	s_waitcnt lgkmcnt(0)
	s_delay_alu instid0(VALU_DEP_1) | instskip(SKIP_1) | instid1(VALU_DEP_2)
	v_add_f64 v[3:4], v[3:4], -v[7:8]
	v_add_nc_u32_e32 v9, 0x480, v9
	v_div_scale_f64 v[7:8], null, v[5:6], v[5:6], v[3:4]
	v_div_scale_f64 v[25:26], vcc_lo, v[3:4], v[5:6], v[3:4]
	s_delay_alu instid0(VALU_DEP_2) | instskip(SKIP_2) | instid1(VALU_DEP_1)
	v_rcp_f64_e32 v[10:11], v[7:8]
	s_waitcnt_depctr 0xfff
	v_fma_f64 v[23:24], -v[7:8], v[10:11], 1.0
	v_fma_f64 v[10:11], v[10:11], v[23:24], v[10:11]
	s_delay_alu instid0(VALU_DEP_1) | instskip(NEXT) | instid1(VALU_DEP_1)
	v_fma_f64 v[23:24], -v[7:8], v[10:11], 1.0
	v_fma_f64 v[10:11], v[10:11], v[23:24], v[10:11]
	s_delay_alu instid0(VALU_DEP_1) | instskip(NEXT) | instid1(VALU_DEP_1)
	v_mul_f64 v[23:24], v[25:26], v[10:11]
	v_fma_f64 v[7:8], -v[7:8], v[23:24], v[25:26]
	s_delay_alu instid0(VALU_DEP_1) | instskip(NEXT) | instid1(VALU_DEP_1)
	v_div_fmas_f64 v[7:8], v[7:8], v[10:11], v[23:24]
	v_div_fixup_f64 v[3:4], v[7:8], v[5:6], v[3:4]
	v_mul_u32_u24_e32 v5, 0x48, v13
	s_delay_alu instid0(VALU_DEP_1)
	v_lshl_add_u32 v5, s24, 3, v5
	ds_store_b64 v9, v[3:4]
	s_waitcnt lgkmcnt(0)
	s_waitcnt_vscnt null, 0x0
	buffer_gl0_inv
	ds_load_b64 v[5:6], v5 offset:1152
	ds_load_b64 v[7:8], v16
	s_waitcnt lgkmcnt(0)
	v_fma_f64 v[3:4], v[3:4], v[5:6], v[7:8]
	ds_store_b64 v16, v[3:4]
	s_waitcnt lgkmcnt(0)
	buffer_gl0_inv
.LBB32_72:                              ;   in Loop: Header=BB32_8 Depth=1
	s_and_saveexec_b32 s21, s33
	s_cbranch_execz .LBB32_6
; %bb.73:                               ;   in Loop: Header=BB32_8 Depth=1
	v_mad_u64_u32 v[3:4], null, s20, s3, v[2:3]
	ds_load_b64 v[6:7], v19
	v_mad_u64_u32 v[4:5], null, v3, s3, v[1:2]
	s_delay_alu instid0(VALU_DEP_1) | instskip(NEXT) | instid1(VALU_DEP_1)
	v_ashrrev_i32_e32 v5, 31, v4
	v_lshlrev_b64 v[3:4], 3, v[4:5]
	s_delay_alu instid0(VALU_DEP_1) | instskip(NEXT) | instid1(VALU_DEP_2)
	v_add_co_u32 v3, vcc_lo, s18, v3
	v_add_co_ci_u32_e32 v4, vcc_lo, s19, v4, vcc_lo
	s_waitcnt lgkmcnt(0)
	global_store_b64 v[3:4], v[6:7], off
	s_branch .LBB32_6
.LBB32_74:
	v_max_i32_e32 v2, v13, v14
	v_mov_b32_e32 v0, 0
	v_mov_b32_e32 v1, 0
	s_cmp_eq_u32 s30, 0
	s_cselect_b32 s0, -1, 0
	v_cmp_gt_i32_e64 s1, s3, v2
	s_delay_alu instid0(VALU_DEP_1)
	s_and_saveexec_b32 s2, s1
	s_cbranch_execz .LBB32_76
; %bb.75:
	v_cndmask_b32_e64 v0, v13, v14, s0
	s_delay_alu instid0(VALU_DEP_1) | instskip(SKIP_1) | instid1(VALU_DEP_1)
	v_mad_u64_u32 v[1:2], null, s28, s3, v[0:1]
	v_cndmask_b32_e64 v0, v14, v13, s0
	v_mad_u64_u32 v[2:3], null, v1, s3, v[0:1]
	s_delay_alu instid0(VALU_DEP_1) | instskip(NEXT) | instid1(VALU_DEP_1)
	v_ashrrev_i32_e32 v3, 31, v2
	v_lshlrev_b64 v[0:1], 3, v[2:3]
	s_delay_alu instid0(VALU_DEP_1) | instskip(NEXT) | instid1(VALU_DEP_2)
	v_add_co_u32 v0, vcc_lo, s18, v0
	v_add_co_ci_u32_e32 v1, vcc_lo, s19, v1, vcc_lo
	global_load_b64 v[0:1], v[0:1], off
.LBB32_76:
	s_or_b32 exec_lo, exec_lo, s2
	s_movk_i32 s4, 0x480
	s_cmp_lt_i32 s3, 1
	s_waitcnt vmcnt(0)
	ds_store_b64 v15, v[0:1] offset:1152
	s_waitcnt lgkmcnt(0)
	buffer_gl0_inv
	s_cbranch_scc1 .LBB32_87
; %bb.77:
	v_or_b32_e32 v0, v13, v14
	v_mad_u32_u24 v2, 0x48, v14, s4
	v_mul_u32_u24_e32 v1, 0x48, v14
	v_mad_u32_u24 v5, 0x48, v13, s4
	s_mov_b32 s5, 0
	v_cmp_ne_u32_e64 s2, 0, v0
	v_dual_mov_b32 v6, 0 :: v_dual_add_nc_u32 v3, v2, v17
	v_add3_u32 v4, v1, v17, 0x6c0
	s_add_i32 s12, s16, s17
	s_branch .LBB32_79
.LBB32_78:                              ;   in Loop: Header=BB32_79 Depth=1
	s_or_b32 exec_lo, exec_lo, s13
	v_add_nc_u32_e32 v2, 8, v2
	v_add_nc_u32_e32 v5, 8, v5
	s_add_i32 s5, s5, 1
	s_addk_i32 s4, 0x50
	s_cmp_eq_u32 s3, s5
	s_waitcnt lgkmcnt(0)
	s_waitcnt_vscnt null, 0x0
	buffer_gl0_inv
	s_cbranch_scc1 .LBB32_87
.LBB32_79:                              ; =>This Inner Loop Header: Depth=1
	s_mov_b32 s13, exec_lo
	v_cmpx_eq_u32_e64 s5, v14
	s_cbranch_execz .LBB32_81
; %bb.80:                               ;   in Loop: Header=BB32_79 Depth=1
	ds_load_b64 v[0:1], v3
	ds_load_b64 v[7:8], v4
	s_waitcnt lgkmcnt(0)
	v_add_f64 v[0:1], v[0:1], -v[7:8]
	s_delay_alu instid0(VALU_DEP_1) | instskip(SKIP_1) | instid1(VALU_DEP_1)
	v_cmp_gt_f64_e32 vcc_lo, 0, v[0:1]
	v_xor_b32_e32 v7, 0x80000000, v1
	v_dual_cndmask_b32 v1, v1, v7 :: v_dual_cndmask_b32 v0, v0, v0
	s_delay_alu instid0(VALU_DEP_1) | instskip(SKIP_1) | instid1(VALU_DEP_1)
	v_cmp_gt_f64_e32 vcc_lo, 0x10000000, v[0:1]
	v_cndmask_b32_e64 v7, 0, 1, vcc_lo
	v_lshlrev_b32_e32 v7, 8, v7
	s_delay_alu instid0(VALU_DEP_1) | instskip(NEXT) | instid1(VALU_DEP_1)
	v_ldexp_f64 v[0:1], v[0:1], v7
	v_rsq_f64_e32 v[7:8], v[0:1]
	s_waitcnt_depctr 0xfff
	v_mul_f64 v[9:10], v[0:1], v[7:8]
	v_mul_f64 v[7:8], v[7:8], 0.5
	s_delay_alu instid0(VALU_DEP_1) | instskip(NEXT) | instid1(VALU_DEP_1)
	v_fma_f64 v[11:12], -v[7:8], v[9:10], 0.5
	v_fma_f64 v[9:10], v[9:10], v[11:12], v[9:10]
	v_fma_f64 v[7:8], v[7:8], v[11:12], v[7:8]
	s_delay_alu instid0(VALU_DEP_2) | instskip(NEXT) | instid1(VALU_DEP_1)
	v_fma_f64 v[11:12], -v[9:10], v[9:10], v[0:1]
	v_fma_f64 v[9:10], v[11:12], v[7:8], v[9:10]
	s_delay_alu instid0(VALU_DEP_1) | instskip(NEXT) | instid1(VALU_DEP_1)
	v_fma_f64 v[11:12], -v[9:10], v[9:10], v[0:1]
	v_fma_f64 v[7:8], v[11:12], v[7:8], v[9:10]
	v_cndmask_b32_e64 v9, 0, 0xffffff80, vcc_lo
	v_cmp_class_f64_e64 vcc_lo, v[0:1], 0x260
	s_delay_alu instid0(VALU_DEP_2) | instskip(NEXT) | instid1(VALU_DEP_1)
	v_ldexp_f64 v[7:8], v[7:8], v9
	v_dual_cndmask_b32 v1, v8, v1 :: v_dual_cndmask_b32 v0, v7, v0
	ds_store_b64 v3, v[0:1]
.LBB32_81:                              ;   in Loop: Header=BB32_79 Depth=1
	s_or_b32 exec_lo, exec_lo, s13
	v_mov_b32_e32 v0, s4
	s_waitcnt lgkmcnt(0)
	buffer_gl0_inv
	ds_load_b64 v[0:1], v0
	s_waitcnt lgkmcnt(0)
	v_cmp_neq_f64_e32 vcc_lo, 0, v[0:1]
	v_cndmask_b32_e32 v1, 0x3ff00000, v1, vcc_lo
	v_cndmask_b32_e32 v0, 0, v0, vcc_lo
	s_or_b32 s13, vcc_lo, s2
	s_delay_alu instid0(SALU_CYCLE_1) | instskip(NEXT) | instid1(SALU_CYCLE_1)
	s_xor_b32 s14, s13, -1
	s_and_saveexec_b32 s13, s14
	s_cbranch_execz .LBB32_85
; %bb.82:                               ;   in Loop: Header=BB32_79 Depth=1
	v_mbcnt_lo_u32_b32 v0, exec_lo, 0
	s_mov_b32 s14, exec_lo
	s_delay_alu instid0(VALU_DEP_1)
	v_cmpx_eq_u32_e32 0, v0
	s_cbranch_execz .LBB32_84
; %bb.83:                               ;   in Loop: Header=BB32_79 Depth=1
	v_mov_b32_e32 v0, s12
	global_atomic_min_i32 v6, v0, s[10:11]
.LBB32_84:                              ;   in Loop: Header=BB32_79 Depth=1
	s_or_b32 exec_lo, exec_lo, s14
	v_mov_b32_e32 v0, 0
	v_mov_b32_e32 v1, 0x3ff00000
.LBB32_85:                              ;   in Loop: Header=BB32_79 Depth=1
	s_or_b32 exec_lo, exec_lo, s13
	s_delay_alu instid0(SALU_CYCLE_1)
	s_mov_b32 s13, exec_lo
	v_cmpx_lt_u32_e64 s5, v14
	s_cbranch_execz .LBB32_78
; %bb.86:                               ;   in Loop: Header=BB32_79 Depth=1
	ds_load_2addr_b64 v[7:10], v2 offset1:72
	s_waitcnt lgkmcnt(0)
	v_add_f64 v[7:8], v[7:8], -v[9:10]
	s_delay_alu instid0(VALU_DEP_1) | instskip(SKIP_1) | instid1(VALU_DEP_2)
	v_div_scale_f64 v[9:10], null, v[0:1], v[0:1], v[7:8]
	v_div_scale_f64 v[19:20], vcc_lo, v[7:8], v[0:1], v[7:8]
	v_rcp_f64_e32 v[11:12], v[9:10]
	s_waitcnt_depctr 0xfff
	v_fma_f64 v[17:18], -v[9:10], v[11:12], 1.0
	s_delay_alu instid0(VALU_DEP_1) | instskip(NEXT) | instid1(VALU_DEP_1)
	v_fma_f64 v[11:12], v[11:12], v[17:18], v[11:12]
	v_fma_f64 v[17:18], -v[9:10], v[11:12], 1.0
	s_delay_alu instid0(VALU_DEP_1) | instskip(NEXT) | instid1(VALU_DEP_1)
	v_fma_f64 v[11:12], v[11:12], v[17:18], v[11:12]
	v_mul_f64 v[17:18], v[19:20], v[11:12]
	s_delay_alu instid0(VALU_DEP_1) | instskip(NEXT) | instid1(VALU_DEP_1)
	v_fma_f64 v[9:10], -v[9:10], v[17:18], v[19:20]
	v_div_fmas_f64 v[9:10], v[9:10], v[11:12], v[17:18]
	s_delay_alu instid0(VALU_DEP_1)
	v_div_fixup_f64 v[0:1], v[9:10], v[0:1], v[7:8]
	ds_store_b64 v2, v[0:1]
	s_waitcnt lgkmcnt(0)
	s_waitcnt_vscnt null, 0x0
	buffer_gl0_inv
	ds_load_b64 v[7:8], v5
	ds_load_b64 v[9:10], v16
	s_waitcnt lgkmcnt(0)
	v_fma_f64 v[0:1], v[0:1], v[7:8], v[9:10]
	ds_store_b64 v16, v[0:1]
	s_branch .LBB32_78
.LBB32_87:
	s_and_saveexec_b32 s2, s1
	s_cbranch_execz .LBB32_89
; %bb.88:
	v_cndmask_b32_e64 v0, v13, v14, s0
	s_delay_alu instid0(VALU_DEP_1) | instskip(SKIP_1) | instid1(VALU_DEP_1)
	v_mad_u64_u32 v[1:2], null, s28, s3, v[0:1]
	v_cndmask_b32_e64 v0, v14, v13, s0
	v_mad_u64_u32 v[2:3], null, v1, s3, v[0:1]
	v_add_nc_u32_e32 v0, 0x480, v15
	ds_load_b64 v[0:1], v0
	v_ashrrev_i32_e32 v3, 31, v2
	s_delay_alu instid0(VALU_DEP_1) | instskip(NEXT) | instid1(VALU_DEP_1)
	v_lshlrev_b64 v[2:3], 3, v[2:3]
	v_add_co_u32 v2, vcc_lo, s18, v2
	s_delay_alu instid0(VALU_DEP_2)
	v_add_co_ci_u32_e32 v3, vcc_lo, s19, v3, vcc_lo
	s_waitcnt lgkmcnt(0)
	global_store_b64 v[2:3], v[0:1], off
.LBB32_89:
	s_or_b32 exec_lo, exec_lo, s2
	v_or_b32_e32 v0, v13, v14
	s_delay_alu instid0(VALU_DEP_1)
	v_cmp_eq_u32_e64 s3, 0, v0
.LBB32_90:
	s_delay_alu instid0(VALU_DEP_1)
	s_and_saveexec_b32 s0, s3
	s_cbranch_execnz .LBB32_98
.LBB32_91:
	s_nop 0
	s_sendmsg sendmsg(MSG_DEALLOC_VGPRS)
	s_endpgm
.LBB32_92:
	s_cbranch_execz .LBB32_90
; %bb.93:
	v_or_b32_e32 v0, v13, v14
	s_mov_b32 s0, exec_lo
	s_delay_alu instid0(VALU_DEP_1)
	v_cmpx_eq_u32_e32 0, v0
	s_cbranch_execz .LBB32_97
; %bb.94:
	v_mbcnt_lo_u32_b32 v0, exec_lo, 0
	s_mov_b32 s1, exec_lo
	s_delay_alu instid0(VALU_DEP_1)
	v_cmpx_eq_u32_e32 0, v0
	s_cbranch_execz .LBB32_96
; %bb.95:
	s_add_i32 s2, s16, s17
	s_delay_alu instid0(SALU_CYCLE_1)
	v_dual_mov_b32 v0, 0 :: v_dual_mov_b32 v1, s2
	global_atomic_min_i32 v0, v1, s[10:11]
.LBB32_96:
	s_or_b32 exec_lo, exec_lo, s1
	s_delay_alu instid0(SALU_CYCLE_1)
	s_or_b32 s3, s3, exec_lo
.LBB32_97:
	s_or_b32 exec_lo, exec_lo, s0
	s_and_saveexec_b32 s0, s3
	s_cbranch_execz .LBB32_91
.LBB32_98:
	v_dual_mov_b32 v0, 0 :: v_dual_mov_b32 v1, 1
	s_add_u32 s0, s6, s8
	s_addc_u32 s1, s7, s9
	s_waitcnt_vscnt null, 0x0
	global_store_b32 v0, v1, s[0:1]
	s_nop 0
	s_sendmsg sendmsg(MSG_DEALLOC_VGPRS)
	s_endpgm
	.section	.rodata,"a",@progbits
	.p2align	6, 0x0
	.amdhsa_kernel _ZN9rocsparseL17bsric0_2_8_kernelILi64ELi64ELi8EdEEv20rocsparse_direction_iiPKiS3_PT2_S3_PiS3_S6_21rocsparse_index_base_
		.amdhsa_group_segment_fixed_size 3072
		.amdhsa_private_segment_fixed_size 0
		.amdhsa_kernarg_size 76
		.amdhsa_user_sgpr_count 15
		.amdhsa_user_sgpr_dispatch_ptr 0
		.amdhsa_user_sgpr_queue_ptr 0
		.amdhsa_user_sgpr_kernarg_segment_ptr 1
		.amdhsa_user_sgpr_dispatch_id 0
		.amdhsa_user_sgpr_private_segment_size 0
		.amdhsa_wavefront_size32 1
		.amdhsa_uses_dynamic_stack 0
		.amdhsa_enable_private_segment 0
		.amdhsa_system_sgpr_workgroup_id_x 1
		.amdhsa_system_sgpr_workgroup_id_y 0
		.amdhsa_system_sgpr_workgroup_id_z 0
		.amdhsa_system_sgpr_workgroup_info 0
		.amdhsa_system_vgpr_workitem_id 1
		.amdhsa_next_free_vgpr 27
		.amdhsa_next_free_sgpr 46
		.amdhsa_reserve_vcc 1
		.amdhsa_float_round_mode_32 0
		.amdhsa_float_round_mode_16_64 0
		.amdhsa_float_denorm_mode_32 3
		.amdhsa_float_denorm_mode_16_64 3
		.amdhsa_dx10_clamp 1
		.amdhsa_ieee_mode 1
		.amdhsa_fp16_overflow 0
		.amdhsa_workgroup_processor_mode 1
		.amdhsa_memory_ordered 1
		.amdhsa_forward_progress 0
		.amdhsa_shared_vgpr_count 0
		.amdhsa_exception_fp_ieee_invalid_op 0
		.amdhsa_exception_fp_denorm_src 0
		.amdhsa_exception_fp_ieee_div_zero 0
		.amdhsa_exception_fp_ieee_overflow 0
		.amdhsa_exception_fp_ieee_underflow 0
		.amdhsa_exception_fp_ieee_inexact 0
		.amdhsa_exception_int_div_zero 0
	.end_amdhsa_kernel
	.section	.text._ZN9rocsparseL17bsric0_2_8_kernelILi64ELi64ELi8EdEEv20rocsparse_direction_iiPKiS3_PT2_S3_PiS3_S6_21rocsparse_index_base_,"axG",@progbits,_ZN9rocsparseL17bsric0_2_8_kernelILi64ELi64ELi8EdEEv20rocsparse_direction_iiPKiS3_PT2_S3_PiS3_S6_21rocsparse_index_base_,comdat
.Lfunc_end32:
	.size	_ZN9rocsparseL17bsric0_2_8_kernelILi64ELi64ELi8EdEEv20rocsparse_direction_iiPKiS3_PT2_S3_PiS3_S6_21rocsparse_index_base_, .Lfunc_end32-_ZN9rocsparseL17bsric0_2_8_kernelILi64ELi64ELi8EdEEv20rocsparse_direction_iiPKiS3_PT2_S3_PiS3_S6_21rocsparse_index_base_
                                        ; -- End function
	.section	.AMDGPU.csdata,"",@progbits
; Kernel info:
; codeLenInByte = 4356
; NumSgprs: 48
; NumVgprs: 27
; ScratchSize: 0
; MemoryBound: 0
; FloatMode: 240
; IeeeMode: 1
; LDSByteSize: 3072 bytes/workgroup (compile time only)
; SGPRBlocks: 5
; VGPRBlocks: 3
; NumSGPRsForWavesPerEU: 48
; NumVGPRsForWavesPerEU: 27
; Occupancy: 16
; WaveLimiterHint : 1
; COMPUTE_PGM_RSRC2:SCRATCH_EN: 0
; COMPUTE_PGM_RSRC2:USER_SGPR: 15
; COMPUTE_PGM_RSRC2:TRAP_HANDLER: 0
; COMPUTE_PGM_RSRC2:TGID_X_EN: 1
; COMPUTE_PGM_RSRC2:TGID_Y_EN: 0
; COMPUTE_PGM_RSRC2:TGID_Z_EN: 0
; COMPUTE_PGM_RSRC2:TIDIG_COMP_CNT: 1
	.section	.text._ZN9rocsparseL18bsric0_9_16_kernelILi64ELi64ELi16EdEEv20rocsparse_direction_iiPKiS3_PT2_S3_PiS3_S6_21rocsparse_index_base_,"axG",@progbits,_ZN9rocsparseL18bsric0_9_16_kernelILi64ELi64ELi16EdEEv20rocsparse_direction_iiPKiS3_PT2_S3_PiS3_S6_21rocsparse_index_base_,comdat
	.globl	_ZN9rocsparseL18bsric0_9_16_kernelILi64ELi64ELi16EdEEv20rocsparse_direction_iiPKiS3_PT2_S3_PiS3_S6_21rocsparse_index_base_ ; -- Begin function _ZN9rocsparseL18bsric0_9_16_kernelILi64ELi64ELi16EdEEv20rocsparse_direction_iiPKiS3_PT2_S3_PiS3_S6_21rocsparse_index_base_
	.p2align	8
	.type	_ZN9rocsparseL18bsric0_9_16_kernelILi64ELi64ELi16EdEEv20rocsparse_direction_iiPKiS3_PT2_S3_PiS3_S6_21rocsparse_index_base_,@function
_ZN9rocsparseL18bsric0_9_16_kernelILi64ELi64ELi16EdEEv20rocsparse_direction_iiPKiS3_PT2_S3_PiS3_S6_21rocsparse_index_base_: ; @_ZN9rocsparseL18bsric0_9_16_kernelILi64ELi64ELi16EdEEv20rocsparse_direction_iiPKiS3_PT2_S3_PiS3_S6_21rocsparse_index_base_
; %bb.0:
	s_load_b256 s[4:11], s[0:1], 0x28
	s_mov_b32 s2, s15
	s_mov_b32 s3, 0
	v_and_b32_e32 v12, 0x3ff, v0
	s_lshl_b64 s[12:13], s[2:3], 2
	v_bfe_u32 v0, v0, 10, 10
	s_waitcnt lgkmcnt(0)
	s_add_u32 s8, s8, s12
	s_addc_u32 s9, s9, s13
	s_load_b32 s16, s[8:9], 0x0
	s_waitcnt lgkmcnt(0)
	s_ashr_i32 s17, s16, 31
	s_delay_alu instid0(SALU_CYCLE_1) | instskip(NEXT) | instid1(SALU_CYCLE_1)
	s_lshl_b64 s[8:9], s[16:17], 2
	s_add_u32 s12, s4, s8
	s_addc_u32 s13, s5, s9
	s_load_b32 s28, s[12:13], 0x0
	s_load_b32 s17, s[0:1], 0x48
	s_waitcnt lgkmcnt(0)
	s_cmp_lg_u32 s28, -1
	s_cbranch_scc0 .LBB33_131
; %bb.1:
	s_clause 0x1
	s_load_b128 s[12:15], s[0:1], 0x10
	s_load_b64 s[18:19], s[0:1], 0x20
	v_lshlrev_b32_e32 v1, 2, v0
	s_waitcnt lgkmcnt(0)
	s_add_u32 s2, s12, s8
	s_addc_u32 s3, s13, s9
	s_load_b32 s2, s[2:3], 0x0
	s_waitcnt lgkmcnt(0)
	s_sub_i32 s3, s2, s17
	s_mov_b32 s2, exec_lo
	v_add3_u32 v1, v1, v12, s3
	s_delay_alu instid0(VALU_DEP_1)
	v_cmpx_ge_i32_e64 s28, v1
	s_cbranch_execz .LBB33_4
; %bb.2:
	v_lshlrev_b32_e32 v2, 4, v0
	v_lshlrev_b32_e32 v3, 2, v12
	s_mov_b32 s20, 0
	s_delay_alu instid0(VALU_DEP_1)
	v_add3_u32 v3, v2, v3, 0x2400
	.p2align	6
.LBB33_3:                               ; =>This Inner Loop Header: Depth=1
	v_ashrrev_i32_e32 v2, 31, v1
	s_delay_alu instid0(VALU_DEP_1) | instskip(SKIP_1) | instid1(VALU_DEP_2)
	v_lshlrev_b64 v[4:5], 2, v[1:2]
	v_add_nc_u32_e32 v1, 64, v1
	v_add_co_u32 v4, vcc_lo, s14, v4
	s_delay_alu instid0(VALU_DEP_3) | instskip(NEXT) | instid1(VALU_DEP_3)
	v_add_co_ci_u32_e32 v5, vcc_lo, s15, v5, vcc_lo
	v_cmp_lt_i32_e32 vcc_lo, s28, v1
	global_load_b32 v2, v[4:5], off
	s_or_b32 s20, vcc_lo, s20
	s_waitcnt vmcnt(0)
	v_subrev_nc_u32_e32 v2, s17, v2
	ds_store_b32 v3, v2
	v_add_nc_u32_e32 v3, 0x100, v3
	s_and_not1_b32 exec_lo, exec_lo, s20
	s_cbranch_execnz .LBB33_3
.LBB33_4:
	s_or_b32 exec_lo, exec_lo, s2
	v_mul_u32_u24_e32 v13, 0x88, v0
	v_lshlrev_b32_e32 v14, 3, v12
	s_mov_b32 s2, exec_lo
	v_cmpx_gt_u32_e32 16, v12
	s_cbranch_execz .LBB33_7
; %bb.5:
	v_mov_b32_e32 v1, 0
	v_add_nc_u32_e32 v3, -4, v12
	v_add3_u32 v4, v13, v14, 0x1980
	s_mov_b32 s20, 0
	s_delay_alu instid0(VALU_DEP_3)
	v_mov_b32_e32 v2, v1
.LBB33_6:                               ; =>This Inner Loop Header: Depth=1
	s_delay_alu instid0(VALU_DEP_3) | instskip(SKIP_4) | instid1(SALU_CYCLE_1)
	v_add_nc_u32_e32 v3, 4, v3
	ds_store_b64 v4, v[1:2]
	v_add_nc_u32_e32 v4, 32, v4
	v_cmp_lt_u32_e32 vcc_lo, 11, v3
	s_or_b32 s20, vcc_lo, s20
	s_and_not1_b32 exec_lo, exec_lo, s20
	s_cbranch_execnz .LBB33_6
.LBB33_7:
	s_or_b32 exec_lo, exec_lo, s2
	s_clause 0x1
	s_load_b32 s29, s[0:1], 0x8
	s_load_b32 s30, s[0:1], 0x0
	s_cmp_ge_i32 s3, s28
	s_waitcnt lgkmcnt(0)
	buffer_gl0_inv
	v_cmp_gt_i32_e64 s0, s29, v12
	s_cbranch_scc1 .LBB33_92
; %bb.8:
	v_mad_u64_u32 v[1:2], null, s29, s3, v[0:1]
	v_or_b32_e32 v2, v12, v0
	v_mad_u32_u24 v15, 0x88, v0, v14
	v_mul_lo_u32 v16, v0, s29
	v_mul_lo_u32 v18, v12, s29
	s_movk_i32 s20, 0x1100
	s_cmp_lg_u32 s30, 0
	v_mul_lo_u32 v20, s29, v1
	v_cmp_gt_i32_e64 s1, s29, v0
	v_cmp_ne_u32_e64 s2, 0, v2
	v_add_nc_u32_e32 v17, 0x880, v15
	v_mad_u32_u24 v19, 0x88, v0, s20
	v_mad_u32_u24 v21, 0x88, v12, s20
	v_dual_mov_b32 v1, 0 :: v_dual_add_nc_u32 v22, 0x1980, v15
	v_add_nc_u32_e32 v23, 0x1100, v15
	s_cselect_b32 s31, -1, 0
	s_cmp_gt_i32 s29, 0
	s_mul_i32 s34, s29, s29
	s_cselect_b32 s33, -1, 0
	s_lshl_b32 s35, s29, 2
	s_mov_b32 s20, s3
	s_branch .LBB33_10
.LBB33_9:                               ;   in Loop: Header=BB33_10 Depth=1
	s_set_inst_prefetch_distance 0x2
	s_or_b32 exec_lo, exec_lo, s22
	s_add_i32 s20, s20, 1
	v_add_nc_u32_e32 v20, s34, v20
	s_cmp_ge_i32 s20, s28
	s_waitcnt_vscnt null, 0x0
	buffer_gl1_inv
	buffer_gl0_inv
	s_cselect_b32 s21, -1, 0
	s_delay_alu instid0(SALU_CYCLE_1)
	s_and_b32 vcc_lo, exec_lo, s21
	s_cbranch_vccnz .LBB33_92
.LBB33_10:                              ; =>This Loop Header: Depth=1
                                        ;     Child Loop BB33_14 Depth 2
                                        ;     Child Loop BB33_27 Depth 2
                                        ;     Child Loop BB33_38 Depth 2
                                        ;     Child Loop BB33_42 Depth 2
                                        ;     Child Loop BB33_56 Depth 2
                                        ;       Child Loop BB33_59 Depth 3
                                        ;     Child Loop BB33_72 Depth 2
                                        ;       Child Loop BB33_78 Depth 3
                                        ;       Child Loop BB33_81 Depth 3
                                        ;     Child Loop BB33_86 Depth 2
	s_ashr_i32 s21, s20, 31
	s_delay_alu instid0(SALU_CYCLE_1) | instskip(NEXT) | instid1(SALU_CYCLE_1)
	s_lshl_b64 s[22:23], s[20:21], 2
	s_add_u32 s22, s14, s22
	s_addc_u32 s23, s15, s23
	s_load_b32 s36, s[22:23], 0x0
	s_waitcnt lgkmcnt(0)
	s_sub_i32 s24, s36, s17
	s_delay_alu instid0(SALU_CYCLE_1) | instskip(NEXT) | instid1(SALU_CYCLE_1)
	s_ashr_i32 s25, s24, 31
	s_lshl_b64 s[22:23], s[24:25], 2
	s_delay_alu instid0(SALU_CYCLE_1)
	s_add_u32 s26, s4, s22
	s_addc_u32 s27, s5, s23
	s_load_b32 s25, s[26:27], 0x0
	s_waitcnt lgkmcnt(0)
	s_cmp_eq_u32 s25, -1
	s_cbranch_scc1 .LBB33_91
; %bb.11:                               ;   in Loop: Header=BB33_10 Depth=1
	s_add_u32 s26, s12, s22
	s_addc_u32 s27, s13, s23
	s_mul_i32 s21, s20, s29
	s_load_b32 s37, s[26:27], 0x0
	s_and_saveexec_b32 s38, s0
	s_cbranch_execz .LBB33_24
; %bb.12:                               ;   in Loop: Header=BB33_10 Depth=1
	v_dual_mov_b32 v5, v17 :: v_dual_mov_b32 v6, v12
	s_mov_b32 s39, 0
	s_branch .LBB33_14
.LBB33_13:                              ;   in Loop: Header=BB33_14 Depth=2
	s_or_b32 exec_lo, exec_lo, s26
	v_add_nc_u32_e32 v6, 4, v6
	v_mov_b32_e32 v2, v1
	s_waitcnt vmcnt(0)
	ds_store_b64 v5, v[3:4] offset:2176
	ds_store_b64 v5, v[1:2]
	v_add_nc_u32_e32 v5, 32, v5
	v_cmp_le_i32_e32 vcc_lo, s29, v6
	s_or_b32 s39, vcc_lo, s39
	s_delay_alu instid0(SALU_CYCLE_1)
	s_and_not1_b32 exec_lo, exec_lo, s39
	s_cbranch_execz .LBB33_24
.LBB33_14:                              ;   Parent Loop BB33_10 Depth=1
                                        ; =>  This Inner Loop Header: Depth=2
	s_and_b32 vcc_lo, exec_lo, s31
	s_cbranch_vccz .LBB33_19
; %bb.15:                               ;   in Loop: Header=BB33_14 Depth=2
	s_mov_b32 s41, 0
	s_mov_b32 s40, 0
                                        ; implicit-def: $vgpr2
	s_and_saveexec_b32 s26, s1
	s_delay_alu instid0(SALU_CYCLE_1)
	s_xor_b32 s26, exec_lo, s26
; %bb.16:                               ;   in Loop: Header=BB33_14 Depth=2
	v_add_nc_u32_e32 v4, s21, v6
	s_mov_b32 s40, exec_lo
	s_delay_alu instid0(VALU_DEP_1)
	v_mad_u64_u32 v[2:3], null, v4, s29, v[0:1]
; %bb.17:                               ;   in Loop: Header=BB33_14 Depth=2
	s_or_b32 exec_lo, exec_lo, s26
	s_mov_b64 s[26:27], 0
	s_and_b32 vcc_lo, exec_lo, s41
	s_cbranch_vccnz .LBB33_20
.LBB33_18:                              ;   in Loop: Header=BB33_14 Depth=2
	v_dual_mov_b32 v3, s26 :: v_dual_mov_b32 v4, s27
	s_and_saveexec_b32 s26, s40
	s_cbranch_execz .LBB33_13
	s_branch .LBB33_23
.LBB33_19:                              ;   in Loop: Header=BB33_14 Depth=2
	s_mov_b32 s40, 0
                                        ; implicit-def: $vgpr2
                                        ; implicit-def: $sgpr26_sgpr27
	s_cbranch_execz .LBB33_18
.LBB33_20:                              ;   in Loop: Header=BB33_14 Depth=2
                                        ; implicit-def: $vgpr2
	s_and_saveexec_b32 s26, s1
; %bb.21:                               ;   in Loop: Header=BB33_14 Depth=2
	v_add_nc_u32_e32 v2, v20, v6
	s_or_b32 s40, s40, exec_lo
; %bb.22:                               ;   in Loop: Header=BB33_14 Depth=2
	s_or_b32 exec_lo, exec_lo, s26
	s_mov_b64 s[26:27], 0
	s_delay_alu instid0(SALU_CYCLE_1)
	v_dual_mov_b32 v3, s26 :: v_dual_mov_b32 v4, s27
	s_and_saveexec_b32 s26, s40
	s_cbranch_execz .LBB33_13
.LBB33_23:                              ;   in Loop: Header=BB33_14 Depth=2
	v_ashrrev_i32_e32 v3, 31, v2
	s_delay_alu instid0(VALU_DEP_1) | instskip(NEXT) | instid1(VALU_DEP_1)
	v_lshlrev_b64 v[2:3], 3, v[2:3]
	v_add_co_u32 v2, vcc_lo, s18, v2
	s_delay_alu instid0(VALU_DEP_2)
	v_add_co_ci_u32_e32 v3, vcc_lo, s19, v3, vcc_lo
	global_load_b64 v[3:4], v[2:3], off
	s_branch .LBB33_13
.LBB33_24:                              ;   in Loop: Header=BB33_10 Depth=1
	s_or_b32 exec_lo, exec_lo, s38
; %bb.25:                               ;   in Loop: Header=BB33_10 Depth=1
	ds_load_b32 v2, v1 offset:9216
	s_waitcnt lgkmcnt(0)
	s_sub_i32 s26, s37, s17
	s_delay_alu instid0(SALU_CYCLE_1) | instskip(SKIP_3) | instid1(SALU_CYCLE_1)
	s_cmp_le_i32 s26, s25
	s_cselect_b32 s27, -1, 0
	v_cmp_ge_i32_e32 vcc_lo, s24, v2
	s_and_b32 s27, s27, vcc_lo
	s_and_not1_b32 vcc_lo, exec_lo, s27
	s_mov_b32 s27, 0
	s_cbranch_vccnz .LBB33_37
; %bb.26:                               ;   in Loop: Header=BB33_10 Depth=1
	s_mov_b32 s37, 0
	s_mov_b32 s38, 0
.LBB33_27:                              ;   Parent Loop BB33_10 Depth=1
                                        ; =>  This Inner Loop Header: Depth=2
	s_ashr_i32 s27, s26, 31
	s_mov_b32 s42, -1
	s_lshl_b64 s[40:41], s[26:27], 2
	s_delay_alu instid0(SALU_CYCLE_1) | instskip(SKIP_2) | instid1(SALU_CYCLE_1)
	s_add_u32 s40, s14, s40
	s_addc_u32 s41, s15, s41
	s_lshl_b32 s27, s38, 2
	v_mov_b32_e32 v2, s27
	s_load_b32 s27, s[40:41], 0x0
                                        ; implicit-def: $sgpr41
                                        ; implicit-def: $sgpr40
	ds_load_b32 v2, v2 offset:9216
	s_waitcnt lgkmcnt(0)
	s_sub_i32 s43, s27, s17
                                        ; implicit-def: $sgpr27
	s_delay_alu instid0(SALU_CYCLE_1)
	v_cmp_ge_i32_e32 vcc_lo, s43, v2
	v_readfirstlane_b32 s39, v2
	s_cbranch_vccz .LBB33_33
; %bb.28:                               ;   in Loop: Header=BB33_27 Depth=2
	s_delay_alu instid0(VALU_DEP_1)
	s_cmp_le_i32 s43, s39
                                        ; implicit-def: $sgpr27
                                        ; implicit-def: $sgpr41
                                        ; implicit-def: $sgpr40
	s_cbranch_scc0 .LBB33_30
; %bb.29:                               ;   in Loop: Header=BB33_27 Depth=2
	s_add_i32 s27, s38, s3
	s_lshl_b32 s40, s37, 2
	s_mul_i32 s27, s27, s34
	s_delay_alu instid0(SALU_CYCLE_1)
	v_dual_mov_b32 v2, s40 :: v_dual_mov_b32 v3, s27
	s_mul_i32 s40, s26, s34
	s_add_i32 s41, s26, 1
	v_mov_b32_e32 v4, s40
	s_add_i32 s40, s38, 1
	s_add_i32 s27, s37, 1
	s_mov_b32 s42, 0
	ds_store_2addr_stride64_b32 v2, v4, v3 offset0:34 offset1:35
.LBB33_30:                              ;   in Loop: Header=BB33_27 Depth=2
	s_and_not1_b32 vcc_lo, exec_lo, s42
	s_cbranch_vccnz .LBB33_32
; %bb.31:                               ;   in Loop: Header=BB33_27 Depth=2
	s_add_i32 s40, s38, 1
	s_mov_b32 s27, s37
	s_mov_b32 s41, s26
.LBB33_32:                              ;   in Loop: Header=BB33_27 Depth=2
	s_mov_b32 s42, 0
.LBB33_33:                              ;   in Loop: Header=BB33_27 Depth=2
	s_delay_alu instid0(SALU_CYCLE_1)
	s_and_not1_b32 vcc_lo, exec_lo, s42
	s_cbranch_vccnz .LBB33_35
; %bb.34:                               ;   in Loop: Header=BB33_27 Depth=2
	s_add_i32 s41, s26, 1
	s_mov_b32 s40, s38
	s_mov_b32 s27, s37
.LBB33_35:                              ;   in Loop: Header=BB33_27 Depth=2
	s_cmp_le_i32 s41, s25
	s_cselect_b32 s26, -1, 0
	s_cmp_le_i32 s39, s24
	s_cselect_b32 s37, -1, 0
	s_delay_alu instid0(SALU_CYCLE_1) | instskip(NEXT) | instid1(SALU_CYCLE_1)
	s_and_b32 s26, s26, s37
	s_and_b32 vcc_lo, exec_lo, s26
	s_cbranch_vccz .LBB33_37
; %bb.36:                               ;   in Loop: Header=BB33_27 Depth=2
	s_mov_b32 s37, s27
	s_mov_b32 s26, s41
	;; [unrolled: 1-line block ×3, first 2 shown]
	s_branch .LBB33_27
.LBB33_37:                              ;   in Loop: Header=BB33_10 Depth=1
	s_add_u32 s22, s6, s22
	s_addc_u32 s23, s7, s23
	s_waitcnt lgkmcnt(0)
	buffer_gl0_inv
.LBB33_38:                              ;   Parent Loop BB33_10 Depth=1
                                        ; =>  This Inner Loop Header: Depth=2
	global_load_b32 v2, v1, s[22:23] glc
	s_waitcnt vmcnt(0)
	v_cmp_eq_u32_e32 vcc_lo, 0, v2
	s_cbranch_vccnz .LBB33_38
; %bb.39:                               ;   in Loop: Header=BB33_10 Depth=1
	buffer_gl1_inv
	buffer_gl0_inv
	s_and_saveexec_b32 s24, s0
	s_cbranch_execz .LBB33_52
; %bb.40:                               ;   in Loop: Header=BB33_10 Depth=1
	s_mul_i32 s25, s25, s29
	v_mov_b32_e32 v6, v15
	v_dual_mov_b32 v7, v12 :: v_dual_add_nc_u32 v2, s25, v0
	s_mov_b32 s26, 0
	s_delay_alu instid0(VALU_DEP_1)
	v_mul_lo_u32 v5, v2, s29
	s_branch .LBB33_42
.LBB33_41:                              ;   in Loop: Header=BB33_42 Depth=2
	s_or_b32 exec_lo, exec_lo, s22
	v_add_nc_u32_e32 v7, 4, v7
	s_waitcnt vmcnt(0)
	ds_store_b64 v6, v[3:4]
	v_add_nc_u32_e32 v6, 32, v6
	v_cmp_le_i32_e32 vcc_lo, s29, v7
	s_or_b32 s26, vcc_lo, s26
	s_delay_alu instid0(SALU_CYCLE_1)
	s_and_not1_b32 exec_lo, exec_lo, s26
	s_cbranch_execz .LBB33_52
.LBB33_42:                              ;   Parent Loop BB33_10 Depth=1
                                        ; =>  This Inner Loop Header: Depth=2
	s_and_b32 vcc_lo, exec_lo, s31
	s_cbranch_vccz .LBB33_47
; %bb.43:                               ;   in Loop: Header=BB33_42 Depth=2
	s_mov_b32 s38, 0
	s_mov_b32 s37, 0
                                        ; implicit-def: $vgpr2
	s_and_saveexec_b32 s22, s1
	s_delay_alu instid0(SALU_CYCLE_1)
	s_xor_b32 s22, exec_lo, s22
; %bb.44:                               ;   in Loop: Header=BB33_42 Depth=2
	v_add_nc_u32_e32 v4, s25, v7
	s_mov_b32 s37, exec_lo
	s_delay_alu instid0(VALU_DEP_1)
	v_mad_u64_u32 v[2:3], null, v4, s29, v[0:1]
; %bb.45:                               ;   in Loop: Header=BB33_42 Depth=2
	s_or_b32 exec_lo, exec_lo, s22
	s_mov_b64 s[22:23], 0
	s_and_b32 vcc_lo, exec_lo, s38
	s_cbranch_vccnz .LBB33_48
.LBB33_46:                              ;   in Loop: Header=BB33_42 Depth=2
	v_dual_mov_b32 v3, s22 :: v_dual_mov_b32 v4, s23
	s_and_saveexec_b32 s22, s37
	s_cbranch_execz .LBB33_41
	s_branch .LBB33_51
.LBB33_47:                              ;   in Loop: Header=BB33_42 Depth=2
	s_mov_b32 s37, 0
                                        ; implicit-def: $vgpr2
                                        ; implicit-def: $sgpr22_sgpr23
	s_cbranch_execz .LBB33_46
.LBB33_48:                              ;   in Loop: Header=BB33_42 Depth=2
                                        ; implicit-def: $vgpr2
	s_and_saveexec_b32 s22, s1
; %bb.49:                               ;   in Loop: Header=BB33_42 Depth=2
	s_delay_alu instid0(VALU_DEP_1)
	v_add_nc_u32_e32 v2, v5, v7
	s_or_b32 s37, s37, exec_lo
; %bb.50:                               ;   in Loop: Header=BB33_42 Depth=2
	s_or_b32 exec_lo, exec_lo, s22
	s_mov_b64 s[22:23], 0
	s_delay_alu instid0(SALU_CYCLE_1)
	v_dual_mov_b32 v3, s22 :: v_dual_mov_b32 v4, s23
	s_and_saveexec_b32 s22, s37
	s_cbranch_execz .LBB33_41
.LBB33_51:                              ;   in Loop: Header=BB33_42 Depth=2
	v_ashrrev_i32_e32 v3, 31, v2
	s_delay_alu instid0(VALU_DEP_1) | instskip(NEXT) | instid1(VALU_DEP_1)
	v_lshlrev_b64 v[2:3], 3, v[2:3]
	v_add_co_u32 v2, vcc_lo, s18, v2
	s_delay_alu instid0(VALU_DEP_2)
	v_add_co_ci_u32_e32 v3, vcc_lo, s19, v3, vcc_lo
	global_load_b64 v[3:4], v[2:3], off
	s_branch .LBB33_41
.LBB33_52:                              ;   in Loop: Header=BB33_10 Depth=1
	s_or_b32 exec_lo, exec_lo, s24
; %bb.53:                               ;   in Loop: Header=BB33_10 Depth=1
	s_cmp_lt_i32 s27, 2
	s_cbranch_scc1 .LBB33_69
; %bb.54:                               ;   in Loop: Header=BB33_10 Depth=1
	s_add_i32 s22, s27, -2
	s_mov_b32 s23, 0
	s_branch .LBB33_56
.LBB33_55:                              ;   in Loop: Header=BB33_56 Depth=2
	s_or_b32 exec_lo, exec_lo, s24
	s_add_i32 s24, s23, 1
	s_cmp_eq_u32 s23, s22
	s_mov_b32 s23, s24
	s_cbranch_scc1 .LBB33_69
.LBB33_56:                              ;   Parent Loop BB33_10 Depth=1
                                        ; =>  This Loop Header: Depth=2
                                        ;       Child Loop BB33_59 Depth 3
	s_and_saveexec_b32 s24, s0
	s_cbranch_execz .LBB33_55
; %bb.57:                               ;   in Loop: Header=BB33_56 Depth=2
	s_lshl_b32 s25, s23, 2
	v_mov_b32_e32 v28, v12
	v_mov_b32_e32 v2, s25
	s_mov_b32 s25, 0
	ds_load_2addr_stride64_b32 v[2:3], v2 offset0:34 offset1:35
	s_waitcnt lgkmcnt(0)
	v_add_nc_u32_e32 v25, v0, v3
	v_add_nc_u32_e32 v24, v3, v16
	;; [unrolled: 1-line block ×4, first 2 shown]
	s_branch .LBB33_59
.LBB33_58:                              ;   in Loop: Header=BB33_59 Depth=3
	v_lshlrev_b32_e32 v2, 3, v28
	v_add_nc_u32_e32 v28, 4, v28
	v_add_nc_u32_e32 v26, 4, v26
	;; [unrolled: 1-line block ×3, first 2 shown]
	s_delay_alu instid0(VALU_DEP_4) | instskip(NEXT) | instid1(VALU_DEP_4)
	v_mad_u32_u24 v4, 0x88, v0, v2
	v_cmp_le_i32_e32 vcc_lo, s29, v28
	ds_load_b64 v[2:3], v4 offset:2176
	s_or_b32 s25, vcc_lo, s25
	s_waitcnt lgkmcnt(0)
	v_add_f64 v[2:3], v[8:9], v[2:3]
	ds_store_b64 v4, v[2:3] offset:2176
	s_and_not1_b32 exec_lo, exec_lo, s25
	s_cbranch_execz .LBB33_55
.LBB33_59:                              ;   Parent Loop BB33_10 Depth=1
                                        ;     Parent Loop BB33_56 Depth=2
                                        ; =>    This Inner Loop Header: Depth=3
	v_mov_b32_e32 v6, 0
	s_delay_alu instid0(VALU_DEP_3)
	v_dual_mov_b32 v7, 0 :: v_dual_mov_b32 v2, v26
	v_mov_b32_e32 v4, v25
	s_mov_b32 s26, 0
	s_and_b32 vcc_lo, exec_lo, s31
	s_cbranch_vccz .LBB33_63
.LBB33_60:                              ;   in Loop: Header=BB33_59 Depth=3
	v_ashrrev_i32_e32 v3, 31, v2
	v_mov_b32_e32 v10, 0
	v_mov_b32_e32 v11, 0
	s_delay_alu instid0(VALU_DEP_3) | instskip(NEXT) | instid1(VALU_DEP_1)
	v_lshlrev_b64 v[8:9], 3, v[2:3]
	v_add_co_u32 v8, vcc_lo, s18, v8
	s_delay_alu instid0(VALU_DEP_2)
	v_add_co_ci_u32_e32 v9, vcc_lo, s19, v9, vcc_lo
	global_load_b64 v[8:9], v[8:9], off
	s_and_saveexec_b32 s27, s1
	s_cbranch_execz .LBB33_62
; %bb.61:                               ;   in Loop: Header=BB33_59 Depth=3
	v_ashrrev_i32_e32 v5, 31, v4
	s_delay_alu instid0(VALU_DEP_1) | instskip(NEXT) | instid1(VALU_DEP_1)
	v_lshlrev_b64 v[10:11], 3, v[4:5]
	v_add_co_u32 v10, vcc_lo, s18, v10
	s_delay_alu instid0(VALU_DEP_2)
	v_add_co_ci_u32_e32 v11, vcc_lo, s19, v11, vcc_lo
	global_load_b64 v[10:11], v[10:11], off
.LBB33_62:                              ;   in Loop: Header=BB33_59 Depth=3
	s_or_b32 exec_lo, exec_lo, s27
	s_waitcnt vmcnt(0)
	v_fma_f64 v[8:9], v[8:9], v[10:11], v[6:7]
	s_branch .LBB33_67
.LBB33_63:                              ;   in Loop: Header=BB33_59 Depth=3
                                        ; implicit-def: $vgpr8_vgpr9
	s_cbranch_execz .LBB33_67
; %bb.64:                               ;   in Loop: Header=BB33_59 Depth=3
	v_add_nc_u32_e32 v8, s26, v27
	v_mov_b32_e32 v10, 0
	v_mov_b32_e32 v11, 0
	s_delay_alu instid0(VALU_DEP_3) | instskip(NEXT) | instid1(VALU_DEP_1)
	v_ashrrev_i32_e32 v9, 31, v8
	v_lshlrev_b64 v[8:9], 3, v[8:9]
	s_delay_alu instid0(VALU_DEP_1) | instskip(NEXT) | instid1(VALU_DEP_2)
	v_add_co_u32 v8, vcc_lo, s18, v8
	v_add_co_ci_u32_e32 v9, vcc_lo, s19, v9, vcc_lo
	global_load_b64 v[8:9], v[8:9], off
	s_and_saveexec_b32 s27, s1
	s_cbranch_execz .LBB33_66
; %bb.65:                               ;   in Loop: Header=BB33_59 Depth=3
	v_add_nc_u32_e32 v10, s26, v24
	s_delay_alu instid0(VALU_DEP_1) | instskip(NEXT) | instid1(VALU_DEP_1)
	v_ashrrev_i32_e32 v11, 31, v10
	v_lshlrev_b64 v[10:11], 3, v[10:11]
	s_delay_alu instid0(VALU_DEP_1) | instskip(NEXT) | instid1(VALU_DEP_2)
	v_add_co_u32 v10, vcc_lo, s18, v10
	v_add_co_ci_u32_e32 v11, vcc_lo, s19, v11, vcc_lo
	global_load_b64 v[10:11], v[10:11], off
.LBB33_66:                              ;   in Loop: Header=BB33_59 Depth=3
	s_or_b32 exec_lo, exec_lo, s27
	s_waitcnt vmcnt(0)
	v_fma_f64 v[8:9], v[8:9], v[10:11], v[6:7]
.LBB33_67:                              ;   in Loop: Header=BB33_59 Depth=3
	v_add_nc_u32_e32 v4, s29, v4
	v_add_nc_u32_e32 v2, s29, v2
	s_add_i32 s26, s26, 1
	s_delay_alu instid0(SALU_CYCLE_1)
	s_cmp_eq_u32 s29, s26
	s_cbranch_scc1 .LBB33_58
; %bb.68:                               ;   in Loop: Header=BB33_59 Depth=3
	s_delay_alu instid0(VALU_DEP_3)
	v_dual_mov_b32 v6, v8 :: v_dual_mov_b32 v7, v9
	s_and_b32 vcc_lo, exec_lo, s31
	s_cbranch_vccnz .LBB33_60
	s_branch .LBB33_63
.LBB33_69:                              ;   in Loop: Header=BB33_10 Depth=1
	s_and_not1_b32 vcc_lo, exec_lo, s33
	s_waitcnt lgkmcnt(0)
	buffer_gl0_inv
	s_cbranch_vccnz .LBB33_82
; %bb.70:                               ;   in Loop: Header=BB33_10 Depth=1
	v_mov_b32_e32 v8, v21
	s_mov_b32 s22, 0
	s_mov_b32 s23, 0
	s_branch .LBB33_72
.LBB33_71:                              ;   in Loop: Header=BB33_72 Depth=2
	s_or_b32 exec_lo, exec_lo, s24
	v_add_nc_u32_e32 v8, 8, v8
	s_add_i32 s23, s23, 1
	s_addk_i32 s22, 0x88
	s_cmp_eq_u32 s23, s29
	s_waitcnt lgkmcnt(0)
	buffer_gl0_inv
	s_cbranch_scc1 .LBB33_82
.LBB33_72:                              ;   Parent Loop BB33_10 Depth=1
                                        ; =>  This Loop Header: Depth=2
                                        ;       Child Loop BB33_78 Depth 3
                                        ;       Child Loop BB33_81 Depth 3
	s_lshl_b32 s24, s23, 3
	s_mul_i32 s25, s23, 0x88
	v_mad_u32_u24 v9, 0x88, v0, s24
	s_add_i32 s25, s24, s25
	s_delay_alu instid0(SALU_CYCLE_1)
	v_mov_b32_e32 v2, s25
	ds_load_b64 v[4:5], v2
	ds_load_b64 v[2:3], v9 offset:4352
	s_waitcnt lgkmcnt(1)
	v_cmp_neq_f64_e32 vcc_lo, 0, v[4:5]
	v_cndmask_b32_e32 v5, 0x3ff00000, v5, vcc_lo
	v_cndmask_b32_e32 v4, 0, v4, vcc_lo
	s_or_b32 s24, vcc_lo, s2
	s_delay_alu instid0(SALU_CYCLE_1) | instskip(NEXT) | instid1(SALU_CYCLE_1)
	s_xor_b32 s25, s24, -1
	s_and_saveexec_b32 s24, s25
	s_cbranch_execz .LBB33_76
; %bb.73:                               ;   in Loop: Header=BB33_72 Depth=2
	v_mbcnt_lo_u32_b32 v4, exec_lo, 0
	s_mov_b32 s25, exec_lo
	s_delay_alu instid0(VALU_DEP_1)
	v_cmpx_eq_u32_e32 0, v4
	s_cbranch_execz .LBB33_75
; %bb.74:                               ;   in Loop: Header=BB33_72 Depth=2
	v_mov_b32_e32 v4, s36
	global_atomic_min_i32 v1, v4, s[10:11]
.LBB33_75:                              ;   in Loop: Header=BB33_72 Depth=2
	s_or_b32 exec_lo, exec_lo, s25
	v_mov_b32_e32 v4, 0
	v_mov_b32_e32 v5, 0x3ff00000
.LBB33_76:                              ;   in Loop: Header=BB33_72 Depth=2
	s_or_b32 exec_lo, exec_lo, s24
	v_lshl_add_u32 v6, s23, 3, v13
	s_cmp_eq_u32 s23, 0
	ds_load_b64 v[6:7], v6 offset:2176
	s_cbranch_scc1 .LBB33_79
; %bb.77:                               ;   in Loop: Header=BB33_72 Depth=2
	v_mov_b32_e32 v10, v19
	s_mov_b32 s24, 0
	s_mov_b32 s25, s22
.LBB33_78:                              ;   Parent Loop BB33_10 Depth=1
                                        ;     Parent Loop BB33_72 Depth=2
                                        ; =>    This Inner Loop Header: Depth=3
	s_delay_alu instid0(SALU_CYCLE_1)
	v_mov_b32_e32 v11, s25
	s_add_i32 s24, s24, 1
	s_add_i32 s25, s25, 8
	s_cmp_ge_u32 s24, s23
	ds_load_b64 v[24:25], v10
	ds_load_b64 v[26:27], v11
	v_add_nc_u32_e32 v10, 8, v10
	s_waitcnt lgkmcnt(0)
	v_fma_f64 v[6:7], v[26:27], v[24:25], v[6:7]
	s_cbranch_scc0 .LBB33_78
.LBB33_79:                              ;   in Loop: Header=BB33_72 Depth=2
	s_waitcnt lgkmcnt(0)
	s_delay_alu instid0(VALU_DEP_1) | instskip(SKIP_1) | instid1(VALU_DEP_2)
	v_add_f64 v[2:3], v[2:3], -v[6:7]
	v_add_nc_u32_e32 v9, 0x1100, v9
	v_div_scale_f64 v[6:7], null, v[4:5], v[4:5], v[2:3]
	v_div_scale_f64 v[26:27], vcc_lo, v[2:3], v[4:5], v[2:3]
	s_delay_alu instid0(VALU_DEP_2) | instskip(SKIP_2) | instid1(VALU_DEP_1)
	v_rcp_f64_e32 v[10:11], v[6:7]
	s_waitcnt_depctr 0xfff
	v_fma_f64 v[24:25], -v[6:7], v[10:11], 1.0
	v_fma_f64 v[10:11], v[10:11], v[24:25], v[10:11]
	s_delay_alu instid0(VALU_DEP_1) | instskip(NEXT) | instid1(VALU_DEP_1)
	v_fma_f64 v[24:25], -v[6:7], v[10:11], 1.0
	v_fma_f64 v[10:11], v[10:11], v[24:25], v[10:11]
	s_delay_alu instid0(VALU_DEP_1) | instskip(NEXT) | instid1(VALU_DEP_1)
	v_mul_f64 v[24:25], v[26:27], v[10:11]
	v_fma_f64 v[6:7], -v[6:7], v[24:25], v[26:27]
	s_delay_alu instid0(VALU_DEP_1) | instskip(NEXT) | instid1(VALU_DEP_1)
	v_div_fmas_f64 v[6:7], v[6:7], v[10:11], v[24:25]
	v_div_fixup_f64 v[2:3], v[6:7], v[4:5], v[2:3]
	ds_store_b64 v9, v[2:3]
	s_waitcnt lgkmcnt(0)
	s_waitcnt_vscnt null, 0x0
	buffer_gl0_inv
	s_and_saveexec_b32 s24, s0
	s_cbranch_execz .LBB33_71
; %bb.80:                               ;   in Loop: Header=BB33_72 Depth=2
	v_dual_mov_b32 v4, v22 :: v_dual_mov_b32 v5, v8
	v_mov_b32_e32 v6, v12
	s_mov_b32 s25, 0
	.p2align	6
.LBB33_81:                              ;   Parent Loop BB33_10 Depth=1
                                        ;     Parent Loop BB33_72 Depth=2
                                        ; =>    This Inner Loop Header: Depth=3
	ds_load_b64 v[9:10], v5
	ds_load_b64 v[24:25], v4
	v_add_nc_u32_e32 v6, 4, v6
	v_add_nc_u32_e32 v5, 0x220, v5
	s_delay_alu instid0(VALU_DEP_2)
	v_cmp_le_i32_e32 vcc_lo, s29, v6
	s_or_b32 s25, vcc_lo, s25
	s_waitcnt lgkmcnt(0)
	v_fma_f64 v[9:10], v[2:3], v[9:10], v[24:25]
	ds_store_b64 v4, v[9:10]
	v_add_nc_u32_e32 v4, 32, v4
	s_and_not1_b32 exec_lo, exec_lo, s25
	s_cbranch_execnz .LBB33_81
	s_branch .LBB33_71
.LBB33_82:                              ;   in Loop: Header=BB33_10 Depth=1
	s_and_saveexec_b32 s22, s0
	s_cbranch_execz .LBB33_9
; %bb.83:                               ;   in Loop: Header=BB33_10 Depth=1
	v_dual_mov_b32 v6, v23 :: v_dual_mov_b32 v7, v12
	s_mov_b32 s23, 0
	s_set_inst_prefetch_distance 0x1
	s_branch .LBB33_86
	.p2align	6
.LBB33_84:                              ;   in Loop: Header=BB33_86 Depth=2
	s_delay_alu instid0(VALU_DEP_1) | instskip(NEXT) | instid1(VALU_DEP_1)
	v_ashrrev_i32_e32 v5, 31, v4
	v_lshlrev_b64 v[4:5], 3, v[4:5]
	s_delay_alu instid0(VALU_DEP_1) | instskip(NEXT) | instid1(VALU_DEP_2)
	v_add_co_u32 v4, vcc_lo, s18, v4
	v_add_co_ci_u32_e32 v5, vcc_lo, s19, v5, vcc_lo
	s_waitcnt lgkmcnt(0)
	global_store_b64 v[4:5], v[2:3], off
.LBB33_85:                              ;   in Loop: Header=BB33_86 Depth=2
	s_or_b32 exec_lo, exec_lo, s24
	v_add_nc_u32_e32 v7, 4, v7
	v_add_nc_u32_e32 v6, 32, v6
	s_delay_alu instid0(VALU_DEP_2) | instskip(SKIP_1) | instid1(SALU_CYCLE_1)
	v_cmp_le_i32_e32 vcc_lo, s29, v7
	s_or_b32 s23, vcc_lo, s23
	s_and_not1_b32 exec_lo, exec_lo, s23
	s_cbranch_execz .LBB33_9
.LBB33_86:                              ;   Parent Loop BB33_10 Depth=1
                                        ; =>  This Inner Loop Header: Depth=2
	s_and_saveexec_b32 s24, s1
	s_cbranch_execz .LBB33_85
; %bb.87:                               ;   in Loop: Header=BB33_86 Depth=2
	ds_load_b64 v[2:3], v6
	s_and_b32 vcc_lo, exec_lo, s31
	s_cbranch_vccz .LBB33_89
; %bb.88:                               ;   in Loop: Header=BB33_86 Depth=2
	v_add_nc_u32_e32 v8, s21, v7
	s_delay_alu instid0(VALU_DEP_1)
	v_mad_u64_u32 v[4:5], null, v8, s29, v[0:1]
	s_cbranch_execnz .LBB33_84
	s_branch .LBB33_90
.LBB33_89:                              ;   in Loop: Header=BB33_86 Depth=2
                                        ; implicit-def: $vgpr4
.LBB33_90:                              ;   in Loop: Header=BB33_86 Depth=2
	v_add_nc_u32_e32 v4, v20, v7
	s_branch .LBB33_84
.LBB33_91:                              ;   in Loop: Header=BB33_10 Depth=1
                                        ; implicit-def: $sgpr20
                                        ; implicit-def: $vgpr20
	s_cbranch_execz .LBB33_10
.LBB33_92:
	v_cmp_gt_i32_e64 s0, s29, v12
	s_delay_alu instid0(VALU_DEP_1)
	s_and_saveexec_b32 s4, s0
	s_cbranch_execz .LBB33_105
; %bb.93:
	s_mul_i32 s5, s28, s29
	v_cmp_gt_i32_e64 s1, s29, v0
	v_dual_mov_b32 v6, v12 :: v_dual_add_nc_u32 v1, s5, v0
	v_add3_u32 v5, v13, v14, 0x1100
	s_cmp_lg_u32 s30, 0
	s_mov_b32 s12, 0
	s_delay_alu instid0(VALU_DEP_2)
	v_mul_lo_u32 v4, v1, s29
	s_cselect_b32 s13, -1, 0
	s_branch .LBB33_95
.LBB33_94:                              ;   in Loop: Header=BB33_95 Depth=1
	s_or_b32 exec_lo, exec_lo, s2
	v_add_nc_u32_e32 v6, 4, v6
	s_waitcnt vmcnt(0)
	ds_store_b64 v5, v[2:3]
	v_add_nc_u32_e32 v5, 32, v5
	v_cmp_le_i32_e32 vcc_lo, s29, v6
	s_or_b32 s12, vcc_lo, s12
	s_delay_alu instid0(SALU_CYCLE_1)
	s_and_not1_b32 exec_lo, exec_lo, s12
	s_cbranch_execz .LBB33_105
.LBB33_95:                              ; =>This Inner Loop Header: Depth=1
	s_and_b32 vcc_lo, exec_lo, s13
	s_cbranch_vccz .LBB33_100
; %bb.96:                               ;   in Loop: Header=BB33_95 Depth=1
	s_mov_b32 s15, 0
	s_mov_b32 s14, 0
                                        ; implicit-def: $vgpr1
	s_and_saveexec_b32 s2, s1
	s_delay_alu instid0(SALU_CYCLE_1)
	s_xor_b32 s2, exec_lo, s2
; %bb.97:                               ;   in Loop: Header=BB33_95 Depth=1
	v_add_nc_u32_e32 v3, s5, v6
	s_mov_b32 s14, exec_lo
	s_delay_alu instid0(VALU_DEP_1)
	v_mad_u64_u32 v[1:2], null, v3, s29, v[0:1]
; %bb.98:                               ;   in Loop: Header=BB33_95 Depth=1
	s_or_b32 exec_lo, exec_lo, s2
	s_mov_b64 s[2:3], 0
	s_and_b32 vcc_lo, exec_lo, s15
	s_cbranch_vccnz .LBB33_101
.LBB33_99:                              ;   in Loop: Header=BB33_95 Depth=1
	v_dual_mov_b32 v2, s2 :: v_dual_mov_b32 v3, s3
	s_and_saveexec_b32 s2, s14
	s_cbranch_execz .LBB33_94
	s_branch .LBB33_104
.LBB33_100:                             ;   in Loop: Header=BB33_95 Depth=1
	s_mov_b32 s14, 0
                                        ; implicit-def: $vgpr1
                                        ; implicit-def: $sgpr2_sgpr3
	s_cbranch_execz .LBB33_99
.LBB33_101:                             ;   in Loop: Header=BB33_95 Depth=1
                                        ; implicit-def: $vgpr1
	s_and_saveexec_b32 s2, s1
; %bb.102:                              ;   in Loop: Header=BB33_95 Depth=1
	v_add_nc_u32_e32 v1, v4, v6
	s_or_b32 s14, s14, exec_lo
; %bb.103:                              ;   in Loop: Header=BB33_95 Depth=1
	s_or_b32 exec_lo, exec_lo, s2
	s_mov_b64 s[2:3], 0
	s_delay_alu instid0(SALU_CYCLE_1)
	v_dual_mov_b32 v2, s2 :: v_dual_mov_b32 v3, s3
	s_and_saveexec_b32 s2, s14
	s_cbranch_execz .LBB33_94
.LBB33_104:                             ;   in Loop: Header=BB33_95 Depth=1
	v_ashrrev_i32_e32 v2, 31, v1
	s_delay_alu instid0(VALU_DEP_1) | instskip(NEXT) | instid1(VALU_DEP_1)
	v_lshlrev_b64 v[1:2], 3, v[1:2]
	v_add_co_u32 v1, vcc_lo, s18, v1
	s_delay_alu instid0(VALU_DEP_2)
	v_add_co_ci_u32_e32 v2, vcc_lo, s19, v2, vcc_lo
	global_load_b64 v[2:3], v[1:2], off
	s_branch .LBB33_94
.LBB33_105:
	s_or_b32 exec_lo, exec_lo, s4
; %bb.106:
	s_cmp_lt_i32 s29, 1
	s_waitcnt lgkmcnt(0)
	buffer_gl0_inv
	s_cbranch_scc1 .LBB33_119
; %bb.107:
	v_lshlrev_b32_e32 v1, 3, v0
	v_or_b32_e32 v2, v12, v0
	s_movk_i32 s1, 0x1100
	v_add3_u32 v5, v13, v14, 0x1980
	v_mad_u32_u24 v6, 0x88, v12, s1
	v_mad_u32_u24 v1, 0x88, v0, v1
	v_cmp_ne_u32_e64 s1, 0, v2
	s_mov_b32 s2, 0
	s_add_i32 s3, s16, s17
	v_mov_b32_e32 v9, 0
	v_add_nc_u32_e32 v7, 0x1100, v1
	v_add_nc_u32_e32 v8, 0x1980, v1
	s_branch .LBB33_109
.LBB33_108:                             ;   in Loop: Header=BB33_109 Depth=1
	s_or_b32 exec_lo, exec_lo, s4
	v_add_nc_u32_e32 v6, 8, v6
	s_add_i32 s2, s2, 1
	s_waitcnt lgkmcnt(0)
	s_waitcnt_vscnt null, 0x0
	buffer_gl0_inv
	s_cmp_eq_u32 s2, s29
	s_cbranch_scc1 .LBB33_119
.LBB33_109:                             ; =>This Loop Header: Depth=1
                                        ;     Child Loop BB33_118 Depth 2
	s_mov_b32 s4, exec_lo
	v_cmpx_eq_u32_e64 s2, v0
	s_cbranch_execz .LBB33_111
; %bb.110:                              ;   in Loop: Header=BB33_109 Depth=1
	ds_load_b64 v[1:2], v7
	ds_load_b64 v[3:4], v8
	s_waitcnt lgkmcnt(0)
	v_add_f64 v[1:2], v[1:2], -v[3:4]
	s_delay_alu instid0(VALU_DEP_1) | instskip(SKIP_1) | instid1(VALU_DEP_1)
	v_cmp_gt_f64_e32 vcc_lo, 0, v[1:2]
	v_xor_b32_e32 v3, 0x80000000, v2
	v_dual_cndmask_b32 v2, v2, v3 :: v_dual_cndmask_b32 v1, v1, v1
	s_delay_alu instid0(VALU_DEP_1) | instskip(SKIP_1) | instid1(VALU_DEP_1)
	v_cmp_gt_f64_e32 vcc_lo, 0x10000000, v[1:2]
	v_cndmask_b32_e64 v3, 0, 1, vcc_lo
	v_lshlrev_b32_e32 v3, 8, v3
	s_delay_alu instid0(VALU_DEP_1) | instskip(NEXT) | instid1(VALU_DEP_1)
	v_ldexp_f64 v[1:2], v[1:2], v3
	v_rsq_f64_e32 v[3:4], v[1:2]
	s_waitcnt_depctr 0xfff
	v_mul_f64 v[10:11], v[1:2], v[3:4]
	v_mul_f64 v[3:4], v[3:4], 0.5
	s_delay_alu instid0(VALU_DEP_1) | instskip(NEXT) | instid1(VALU_DEP_1)
	v_fma_f64 v[15:16], -v[3:4], v[10:11], 0.5
	v_fma_f64 v[10:11], v[10:11], v[15:16], v[10:11]
	v_fma_f64 v[3:4], v[3:4], v[15:16], v[3:4]
	s_delay_alu instid0(VALU_DEP_2) | instskip(NEXT) | instid1(VALU_DEP_1)
	v_fma_f64 v[15:16], -v[10:11], v[10:11], v[1:2]
	v_fma_f64 v[10:11], v[15:16], v[3:4], v[10:11]
	s_delay_alu instid0(VALU_DEP_1) | instskip(NEXT) | instid1(VALU_DEP_1)
	v_fma_f64 v[15:16], -v[10:11], v[10:11], v[1:2]
	v_fma_f64 v[3:4], v[15:16], v[3:4], v[10:11]
	v_cndmask_b32_e64 v10, 0, 0xffffff80, vcc_lo
	v_cmp_class_f64_e64 vcc_lo, v[1:2], 0x260
	s_delay_alu instid0(VALU_DEP_2) | instskip(NEXT) | instid1(VALU_DEP_1)
	v_ldexp_f64 v[3:4], v[3:4], v10
	v_dual_cndmask_b32 v2, v4, v2 :: v_dual_cndmask_b32 v1, v3, v1
	ds_store_b64 v7, v[1:2]
.LBB33_111:                             ;   in Loop: Header=BB33_109 Depth=1
	s_or_b32 exec_lo, exec_lo, s4
	s_lshl_b32 s4, s2, 3
	s_mul_i32 s5, s2, 0x88
	s_waitcnt lgkmcnt(0)
	buffer_gl0_inv
	s_add_i32 s5, s5, s4
	v_mad_u32_u24 v10, 0x88, v0, s4
	v_mov_b32_e32 v1, s5
	ds_load_b64 v[3:4], v1 offset:4352
	ds_load_b64 v[1:2], v10 offset:4352
	s_waitcnt lgkmcnt(1)
	v_cmp_neq_f64_e32 vcc_lo, 0, v[3:4]
	v_cndmask_b32_e32 v4, 0x3ff00000, v4, vcc_lo
	v_cndmask_b32_e32 v3, 0, v3, vcc_lo
	s_or_b32 s4, vcc_lo, s1
	s_delay_alu instid0(SALU_CYCLE_1) | instskip(NEXT) | instid1(SALU_CYCLE_1)
	s_xor_b32 s5, s4, -1
	s_and_saveexec_b32 s4, s5
	s_cbranch_execz .LBB33_115
; %bb.112:                              ;   in Loop: Header=BB33_109 Depth=1
	v_mbcnt_lo_u32_b32 v3, exec_lo, 0
	s_mov_b32 s5, exec_lo
	s_delay_alu instid0(VALU_DEP_1)
	v_cmpx_eq_u32_e32 0, v3
	s_cbranch_execz .LBB33_114
; %bb.113:                              ;   in Loop: Header=BB33_109 Depth=1
	v_mov_b32_e32 v3, s3
	global_atomic_min_i32 v9, v3, s[10:11]
.LBB33_114:                             ;   in Loop: Header=BB33_109 Depth=1
	s_or_b32 exec_lo, exec_lo, s5
	v_mov_b32_e32 v3, 0
	v_mov_b32_e32 v4, 0x3ff00000
.LBB33_115:                             ;   in Loop: Header=BB33_109 Depth=1
	s_or_b32 exec_lo, exec_lo, s4
	s_delay_alu instid0(SALU_CYCLE_1)
	s_mov_b32 s4, exec_lo
	v_cmpx_lt_u32_e64 s2, v0
	s_cbranch_execz .LBB33_108
; %bb.116:                              ;   in Loop: Header=BB33_109 Depth=1
	v_lshl_add_u32 v11, s2, 3, v13
	ds_load_b64 v[15:16], v11 offset:6528
	s_waitcnt lgkmcnt(0)
	v_add_f64 v[1:2], v[1:2], -v[15:16]
	s_delay_alu instid0(VALU_DEP_1) | instskip(SKIP_1) | instid1(VALU_DEP_2)
	v_div_scale_f64 v[15:16], null, v[3:4], v[3:4], v[1:2]
	v_div_scale_f64 v[21:22], vcc_lo, v[1:2], v[3:4], v[1:2]
	v_rcp_f64_e32 v[17:18], v[15:16]
	s_waitcnt_depctr 0xfff
	v_fma_f64 v[19:20], -v[15:16], v[17:18], 1.0
	s_delay_alu instid0(VALU_DEP_1) | instskip(NEXT) | instid1(VALU_DEP_1)
	v_fma_f64 v[17:18], v[17:18], v[19:20], v[17:18]
	v_fma_f64 v[19:20], -v[15:16], v[17:18], 1.0
	s_delay_alu instid0(VALU_DEP_1) | instskip(NEXT) | instid1(VALU_DEP_1)
	v_fma_f64 v[17:18], v[17:18], v[19:20], v[17:18]
	v_mul_f64 v[19:20], v[21:22], v[17:18]
	s_delay_alu instid0(VALU_DEP_1) | instskip(NEXT) | instid1(VALU_DEP_1)
	v_fma_f64 v[15:16], -v[15:16], v[19:20], v[21:22]
	v_div_fmas_f64 v[15:16], v[15:16], v[17:18], v[19:20]
	s_delay_alu instid0(VALU_DEP_1)
	v_div_fixup_f64 v[1:2], v[15:16], v[3:4], v[1:2]
	v_add_nc_u32_e32 v3, 0x1100, v10
	ds_store_b64 v3, v[1:2]
	s_waitcnt lgkmcnt(0)
	s_waitcnt_vscnt null, 0x0
	buffer_gl0_inv
	s_and_b32 exec_lo, exec_lo, s0
	s_cbranch_execz .LBB33_108
; %bb.117:                              ;   in Loop: Header=BB33_109 Depth=1
	v_dual_mov_b32 v3, v5 :: v_dual_mov_b32 v4, v6
	v_mov_b32_e32 v10, v12
	s_mov_b32 s5, 0
	.p2align	6
.LBB33_118:                             ;   Parent Loop BB33_109 Depth=1
                                        ; =>  This Inner Loop Header: Depth=2
	ds_load_b64 v[15:16], v4
	ds_load_b64 v[17:18], v3
	v_add_nc_u32_e32 v10, 4, v10
	v_add_nc_u32_e32 v4, 0x220, v4
	s_delay_alu instid0(VALU_DEP_2)
	v_cmp_le_i32_e32 vcc_lo, s29, v10
	s_or_b32 s5, vcc_lo, s5
	s_waitcnt lgkmcnt(0)
	v_fma_f64 v[15:16], v[1:2], v[15:16], v[17:18]
	ds_store_b64 v3, v[15:16]
	v_add_nc_u32_e32 v3, 32, v3
	s_and_not1_b32 exec_lo, exec_lo, s5
	s_cbranch_execnz .LBB33_118
	s_branch .LBB33_108
.LBB33_119:
	s_and_saveexec_b32 s1, s0
	s_cbranch_execz .LBB33_128
; %bb.120:
	s_mul_i32 s28, s28, s29
	v_cmp_gt_i32_e64 s0, s29, v0
	v_add_nc_u32_e32 v1, s28, v0
	v_add3_u32 v6, v13, v14, 0x1100
	v_mov_b32_e32 v7, v12
	s_cmp_lg_u32 s30, 0
	s_mov_b32 s2, 0
	v_mul_lo_u32 v5, v1, s29
	s_cselect_b32 s3, -1, 0
	s_set_inst_prefetch_distance 0x1
	s_branch .LBB33_123
	.p2align	6
.LBB33_121:                             ;   in Loop: Header=BB33_123 Depth=1
	s_delay_alu instid0(VALU_DEP_1) | instskip(NEXT) | instid1(VALU_DEP_1)
	v_ashrrev_i32_e32 v4, 31, v3
	v_lshlrev_b64 v[3:4], 3, v[3:4]
	s_delay_alu instid0(VALU_DEP_1) | instskip(NEXT) | instid1(VALU_DEP_2)
	v_add_co_u32 v3, vcc_lo, s18, v3
	v_add_co_ci_u32_e32 v4, vcc_lo, s19, v4, vcc_lo
	s_waitcnt lgkmcnt(0)
	global_store_b64 v[3:4], v[1:2], off
.LBB33_122:                             ;   in Loop: Header=BB33_123 Depth=1
	s_or_b32 exec_lo, exec_lo, s4
	v_add_nc_u32_e32 v7, 4, v7
	v_add_nc_u32_e32 v6, 32, v6
	s_delay_alu instid0(VALU_DEP_2) | instskip(SKIP_1) | instid1(SALU_CYCLE_1)
	v_cmp_le_i32_e32 vcc_lo, s29, v7
	s_or_b32 s2, vcc_lo, s2
	s_and_not1_b32 exec_lo, exec_lo, s2
	s_cbranch_execz .LBB33_128
.LBB33_123:                             ; =>This Inner Loop Header: Depth=1
	s_and_saveexec_b32 s4, s0
	s_cbranch_execz .LBB33_122
; %bb.124:                              ;   in Loop: Header=BB33_123 Depth=1
	ds_load_b64 v[1:2], v6
	s_and_b32 vcc_lo, exec_lo, s3
	s_cbranch_vccz .LBB33_126
; %bb.125:                              ;   in Loop: Header=BB33_123 Depth=1
	v_add_nc_u32_e32 v8, s28, v7
	s_waitcnt lgkmcnt(0)
	s_delay_alu instid0(VALU_DEP_1)
	v_mad_u64_u32 v[3:4], null, v8, s29, v[0:1]
	s_cbranch_execnz .LBB33_121
	s_branch .LBB33_127
.LBB33_126:                             ;   in Loop: Header=BB33_123 Depth=1
                                        ; implicit-def: $vgpr3
.LBB33_127:                             ;   in Loop: Header=BB33_123 Depth=1
	v_add_nc_u32_e32 v3, v5, v7
	s_branch .LBB33_121
.LBB33_128:
	s_set_inst_prefetch_distance 0x2
	s_or_b32 exec_lo, exec_lo, s1
	v_or_b32_e32 v1, v12, v0
	s_delay_alu instid0(VALU_DEP_1)
	v_cmp_eq_u32_e64 s3, 0, v1
.LBB33_129:
	s_delay_alu instid0(VALU_DEP_1)
	s_and_saveexec_b32 s0, s3
	s_cbranch_execnz .LBB33_137
.LBB33_130:
	s_nop 0
	s_sendmsg sendmsg(MSG_DEALLOC_VGPRS)
	s_endpgm
.LBB33_131:
	s_cbranch_execz .LBB33_129
; %bb.132:
	v_or_b32_e32 v0, v12, v0
	s_mov_b32 s0, exec_lo
	s_delay_alu instid0(VALU_DEP_1)
	v_cmpx_eq_u32_e32 0, v0
	s_cbranch_execz .LBB33_136
; %bb.133:
	v_mbcnt_lo_u32_b32 v0, exec_lo, 0
	s_mov_b32 s1, exec_lo
	s_delay_alu instid0(VALU_DEP_1)
	v_cmpx_eq_u32_e32 0, v0
	s_cbranch_execz .LBB33_135
; %bb.134:
	s_add_i32 s2, s16, s17
	s_delay_alu instid0(SALU_CYCLE_1)
	v_dual_mov_b32 v0, 0 :: v_dual_mov_b32 v1, s2
	global_atomic_min_i32 v0, v1, s[10:11]
.LBB33_135:
	s_or_b32 exec_lo, exec_lo, s1
	s_delay_alu instid0(SALU_CYCLE_1)
	s_or_b32 s3, s3, exec_lo
.LBB33_136:
	s_or_b32 exec_lo, exec_lo, s0
	s_and_saveexec_b32 s0, s3
	s_cbranch_execz .LBB33_130
.LBB33_137:
	v_dual_mov_b32 v0, 0 :: v_dual_mov_b32 v1, 1
	s_add_u32 s0, s6, s8
	s_addc_u32 s1, s7, s9
	s_waitcnt_vscnt null, 0x0
	global_store_b32 v0, v1, s[0:1]
	s_nop 0
	s_sendmsg sendmsg(MSG_DEALLOC_VGPRS)
	s_endpgm
	.section	.rodata,"a",@progbits
	.p2align	6, 0x0
	.amdhsa_kernel _ZN9rocsparseL18bsric0_9_16_kernelILi64ELi64ELi16EdEEv20rocsparse_direction_iiPKiS3_PT2_S3_PiS3_S6_21rocsparse_index_base_
		.amdhsa_group_segment_fixed_size 9472
		.amdhsa_private_segment_fixed_size 0
		.amdhsa_kernarg_size 76
		.amdhsa_user_sgpr_count 15
		.amdhsa_user_sgpr_dispatch_ptr 0
		.amdhsa_user_sgpr_queue_ptr 0
		.amdhsa_user_sgpr_kernarg_segment_ptr 1
		.amdhsa_user_sgpr_dispatch_id 0
		.amdhsa_user_sgpr_private_segment_size 0
		.amdhsa_wavefront_size32 1
		.amdhsa_uses_dynamic_stack 0
		.amdhsa_enable_private_segment 0
		.amdhsa_system_sgpr_workgroup_id_x 1
		.amdhsa_system_sgpr_workgroup_id_y 0
		.amdhsa_system_sgpr_workgroup_id_z 0
		.amdhsa_system_sgpr_workgroup_info 0
		.amdhsa_system_vgpr_workitem_id 1
		.amdhsa_next_free_vgpr 29
		.amdhsa_next_free_sgpr 44
		.amdhsa_reserve_vcc 1
		.amdhsa_float_round_mode_32 0
		.amdhsa_float_round_mode_16_64 0
		.amdhsa_float_denorm_mode_32 3
		.amdhsa_float_denorm_mode_16_64 3
		.amdhsa_dx10_clamp 1
		.amdhsa_ieee_mode 1
		.amdhsa_fp16_overflow 0
		.amdhsa_workgroup_processor_mode 1
		.amdhsa_memory_ordered 1
		.amdhsa_forward_progress 0
		.amdhsa_shared_vgpr_count 0
		.amdhsa_exception_fp_ieee_invalid_op 0
		.amdhsa_exception_fp_denorm_src 0
		.amdhsa_exception_fp_ieee_div_zero 0
		.amdhsa_exception_fp_ieee_overflow 0
		.amdhsa_exception_fp_ieee_underflow 0
		.amdhsa_exception_fp_ieee_inexact 0
		.amdhsa_exception_int_div_zero 0
	.end_amdhsa_kernel
	.section	.text._ZN9rocsparseL18bsric0_9_16_kernelILi64ELi64ELi16EdEEv20rocsparse_direction_iiPKiS3_PT2_S3_PiS3_S6_21rocsparse_index_base_,"axG",@progbits,_ZN9rocsparseL18bsric0_9_16_kernelILi64ELi64ELi16EdEEv20rocsparse_direction_iiPKiS3_PT2_S3_PiS3_S6_21rocsparse_index_base_,comdat
.Lfunc_end33:
	.size	_ZN9rocsparseL18bsric0_9_16_kernelILi64ELi64ELi16EdEEv20rocsparse_direction_iiPKiS3_PT2_S3_PiS3_S6_21rocsparse_index_base_, .Lfunc_end33-_ZN9rocsparseL18bsric0_9_16_kernelILi64ELi64ELi16EdEEv20rocsparse_direction_iiPKiS3_PT2_S3_PiS3_S6_21rocsparse_index_base_
                                        ; -- End function
	.section	.AMDGPU.csdata,"",@progbits
; Kernel info:
; codeLenInByte = 4388
; NumSgprs: 46
; NumVgprs: 29
; ScratchSize: 0
; MemoryBound: 0
; FloatMode: 240
; IeeeMode: 1
; LDSByteSize: 9472 bytes/workgroup (compile time only)
; SGPRBlocks: 5
; VGPRBlocks: 3
; NumSGPRsForWavesPerEU: 46
; NumVGPRsForWavesPerEU: 29
; Occupancy: 7
; WaveLimiterHint : 1
; COMPUTE_PGM_RSRC2:SCRATCH_EN: 0
; COMPUTE_PGM_RSRC2:USER_SGPR: 15
; COMPUTE_PGM_RSRC2:TRAP_HANDLER: 0
; COMPUTE_PGM_RSRC2:TGID_X_EN: 1
; COMPUTE_PGM_RSRC2:TGID_Y_EN: 0
; COMPUTE_PGM_RSRC2:TGID_Z_EN: 0
; COMPUTE_PGM_RSRC2:TIDIG_COMP_CNT: 1
	.section	.text._ZN9rocsparseL19bsric0_17_32_kernelILi64ELi64ELi32EdEEv20rocsparse_direction_iiPKiS3_PT2_S3_PiS3_S6_21rocsparse_index_base_,"axG",@progbits,_ZN9rocsparseL19bsric0_17_32_kernelILi64ELi64ELi32EdEEv20rocsparse_direction_iiPKiS3_PT2_S3_PiS3_S6_21rocsparse_index_base_,comdat
	.globl	_ZN9rocsparseL19bsric0_17_32_kernelILi64ELi64ELi32EdEEv20rocsparse_direction_iiPKiS3_PT2_S3_PiS3_S6_21rocsparse_index_base_ ; -- Begin function _ZN9rocsparseL19bsric0_17_32_kernelILi64ELi64ELi32EdEEv20rocsparse_direction_iiPKiS3_PT2_S3_PiS3_S6_21rocsparse_index_base_
	.p2align	8
	.type	_ZN9rocsparseL19bsric0_17_32_kernelILi64ELi64ELi32EdEEv20rocsparse_direction_iiPKiS3_PT2_S3_PiS3_S6_21rocsparse_index_base_,@function
_ZN9rocsparseL19bsric0_17_32_kernelILi64ELi64ELi32EdEEv20rocsparse_direction_iiPKiS3_PT2_S3_PiS3_S6_21rocsparse_index_base_: ; @_ZN9rocsparseL19bsric0_17_32_kernelILi64ELi64ELi32EdEEv20rocsparse_direction_iiPKiS3_PT2_S3_PiS3_S6_21rocsparse_index_base_
; %bb.0:
	s_load_b256 s[4:11], s[0:1], 0x28
	s_mov_b32 s2, s15
	s_mov_b32 s3, 0
	v_and_b32_e32 v12, 0x3ff, v0
	s_lshl_b64 s[12:13], s[2:3], 2
	v_bfe_u32 v0, v0, 10, 10
	s_waitcnt lgkmcnt(0)
	s_add_u32 s8, s8, s12
	s_addc_u32 s9, s9, s13
	s_load_b32 s16, s[8:9], 0x0
	s_waitcnt lgkmcnt(0)
	s_ashr_i32 s17, s16, 31
	s_delay_alu instid0(SALU_CYCLE_1) | instskip(NEXT) | instid1(SALU_CYCLE_1)
	s_lshl_b64 s[8:9], s[16:17], 2
	s_add_u32 s12, s4, s8
	s_addc_u32 s13, s5, s9
	s_load_b32 s28, s[12:13], 0x0
	s_load_b32 s17, s[0:1], 0x48
	s_waitcnt lgkmcnt(0)
	s_cmp_lg_u32 s28, -1
	s_cbranch_scc0 .LBB34_119
; %bb.1:
	s_clause 0x1
	s_load_b128 s[12:15], s[0:1], 0x10
	s_load_b64 s[18:19], s[0:1], 0x20
	v_lshlrev_b32_e32 v1, 1, v0
	v_lshlrev_b32_e32 v15, 3, v0
	s_waitcnt lgkmcnt(0)
	s_add_u32 s2, s12, s8
	s_addc_u32 s3, s13, s9
	s_load_b32 s2, s[2:3], 0x0
	s_waitcnt lgkmcnt(0)
	s_sub_i32 s3, s2, s17
	s_mov_b32 s2, exec_lo
	v_add3_u32 v1, v1, v12, s3
	s_delay_alu instid0(VALU_DEP_1)
	v_cmpx_ge_i32_e64 s28, v1
	s_cbranch_execz .LBB34_4
; %bb.2:
	v_lshlrev_b32_e32 v2, 2, v12
	s_mov_b32 s20, 0
	s_delay_alu instid0(VALU_DEP_1)
	v_add3_u32 v3, v15, v2, 0x6500
	.p2align	6
.LBB34_3:                               ; =>This Inner Loop Header: Depth=1
	v_ashrrev_i32_e32 v2, 31, v1
	s_delay_alu instid0(VALU_DEP_1) | instskip(SKIP_1) | instid1(VALU_DEP_2)
	v_lshlrev_b64 v[4:5], 2, v[1:2]
	v_add_nc_u32_e32 v1, 64, v1
	v_add_co_u32 v4, vcc_lo, s14, v4
	s_delay_alu instid0(VALU_DEP_3) | instskip(NEXT) | instid1(VALU_DEP_3)
	v_add_co_ci_u32_e32 v5, vcc_lo, s15, v5, vcc_lo
	v_cmp_lt_i32_e32 vcc_lo, s28, v1
	global_load_b32 v2, v[4:5], off
	s_or_b32 s20, vcc_lo, s20
	s_waitcnt vmcnt(0)
	v_subrev_nc_u32_e32 v2, s17, v2
	ds_store_b32 v3, v2
	v_add_nc_u32_e32 v3, 0x100, v3
	s_and_not1_b32 exec_lo, exec_lo, s20
	s_cbranch_execnz .LBB34_3
.LBB34_4:
	s_or_b32 exec_lo, exec_lo, s2
	v_mul_u32_u24_e32 v13, 0x108, v0
	v_lshlrev_b32_e32 v14, 3, v12
	s_mov_b32 s2, exec_lo
	v_cmpx_gt_u32_e32 32, v12
	s_cbranch_execz .LBB34_7
; %bb.5:
	v_mov_b32_e32 v1, 0
	v_add_nc_u32_e32 v3, -2, v12
	v_add3_u32 v4, v13, v14, 0x4200
	s_mov_b32 s20, 0
	s_delay_alu instid0(VALU_DEP_3)
	v_mov_b32_e32 v2, v1
.LBB34_6:                               ; =>This Inner Loop Header: Depth=1
	s_delay_alu instid0(VALU_DEP_3) | instskip(SKIP_4) | instid1(SALU_CYCLE_1)
	v_add_nc_u32_e32 v3, 2, v3
	ds_store_b64 v4, v[1:2]
	v_add_nc_u32_e32 v4, 16, v4
	v_cmp_lt_u32_e32 vcc_lo, 29, v3
	s_or_b32 s20, vcc_lo, s20
	s_and_not1_b32 exec_lo, exec_lo, s20
	s_cbranch_execnz .LBB34_6
.LBB34_7:
	s_or_b32 exec_lo, exec_lo, s2
	s_clause 0x1
	s_load_b32 s29, s[0:1], 0x8
	s_load_b32 s30, s[0:1], 0x0
	s_cmp_ge_i32 s3, s28
	s_waitcnt lgkmcnt(0)
	buffer_gl0_inv
	v_cmp_gt_i32_e64 s0, s29, v12
	s_cbranch_scc1 .LBB34_80
; %bb.8:
	v_mad_u64_u32 v[1:2], null, s29, s3, v[0:1]
	v_or_b32_e32 v2, v12, v0
	v_mad_u32_u24 v17, 0x108, v0, v14
	s_cmp_eq_u32 s30, 0
	v_mul_lo_u32 v16, v0, s29
	v_mul_lo_u32 v18, v12, s29
	s_movk_i32 s20, 0x2100
	v_mul_lo_u32 v20, s29, v1
	s_cselect_b32 s31, -1, 0
	s_cmp_lg_u32 s30, 0
	v_cmp_gt_i32_e64 s1, s29, v0
	v_cmp_ne_u32_e64 s2, 0, v2
	v_mad_u32_u24 v19, 0x108, v0, s20
	v_mad_u32_u24 v21, 0x108, v12, s20
	v_dual_mov_b32 v1, 0 :: v_dual_add_nc_u32 v22, 0x4200, v17
	v_add_nc_u32_e32 v23, 0x2100, v17
	s_cselect_b32 s33, -1, 0
	s_cmp_gt_i32 s29, 0
	s_mul_i32 s35, s29, s29
	s_cselect_b32 s34, -1, 0
	s_lshl_b32 s36, s29, 1
	s_mov_b32 s20, s3
	s_branch .LBB34_10
.LBB34_9:                               ;   in Loop: Header=BB34_10 Depth=1
	s_set_inst_prefetch_distance 0x2
	s_or_b32 exec_lo, exec_lo, s22
	s_add_i32 s20, s20, 1
	v_add_nc_u32_e32 v20, s35, v20
	s_cmp_ge_i32 s20, s28
	s_waitcnt_vscnt null, 0x0
	buffer_gl1_inv
	buffer_gl0_inv
	s_cselect_b32 s21, -1, 0
	s_delay_alu instid0(SALU_CYCLE_1)
	s_and_b32 vcc_lo, exec_lo, s21
	s_cbranch_vccnz .LBB34_80
.LBB34_10:                              ; =>This Loop Header: Depth=1
                                        ;     Child Loop BB34_14 Depth 2
                                        ;     Child Loop BB34_27 Depth 2
	;; [unrolled: 1-line block ×4, first 2 shown]
                                        ;       Child Loop BB34_45 Depth 3
                                        ;     Child Loop BB34_58 Depth 2
                                        ;       Child Loop BB34_65 Depth 3
                                        ;       Child Loop BB34_69 Depth 3
                                        ;     Child Loop BB34_74 Depth 2
	s_ashr_i32 s21, s20, 31
	s_delay_alu instid0(SALU_CYCLE_1) | instskip(NEXT) | instid1(SALU_CYCLE_1)
	s_lshl_b64 s[22:23], s[20:21], 2
	s_add_u32 s22, s14, s22
	s_addc_u32 s23, s15, s23
	s_load_b32 s37, s[22:23], 0x0
	s_waitcnt lgkmcnt(0)
	s_sub_i32 s24, s37, s17
	s_delay_alu instid0(SALU_CYCLE_1) | instskip(NEXT) | instid1(SALU_CYCLE_1)
	s_ashr_i32 s25, s24, 31
	s_lshl_b64 s[22:23], s[24:25], 2
	s_delay_alu instid0(SALU_CYCLE_1)
	s_add_u32 s26, s4, s22
	s_addc_u32 s27, s5, s23
	s_load_b32 s25, s[26:27], 0x0
	s_waitcnt lgkmcnt(0)
	s_cmp_eq_u32 s25, -1
	s_cbranch_scc1 .LBB34_79
; %bb.11:                               ;   in Loop: Header=BB34_10 Depth=1
	s_add_u32 s26, s12, s22
	s_addc_u32 s27, s13, s23
	s_mul_i32 s21, s20, s29
	s_load_b32 s38, s[26:27], 0x0
	s_and_saveexec_b32 s39, s0
	s_cbranch_execz .LBB34_24
; %bb.12:                               ;   in Loop: Header=BB34_10 Depth=1
	v_dual_mov_b32 v5, v17 :: v_dual_mov_b32 v6, v12
	s_mov_b32 s40, 0
	s_branch .LBB34_14
.LBB34_13:                              ;   in Loop: Header=BB34_14 Depth=2
	s_or_b32 exec_lo, exec_lo, s26
	v_add_nc_u32_e32 v6, 2, v6
	v_mov_b32_e32 v2, v1
	s_waitcnt vmcnt(0)
	ds_store_b64 v5, v[3:4] offset:8448
	ds_store_b64 v5, v[1:2]
	v_add_nc_u32_e32 v5, 16, v5
	v_cmp_le_i32_e32 vcc_lo, s29, v6
	s_or_b32 s40, vcc_lo, s40
	s_delay_alu instid0(SALU_CYCLE_1)
	s_and_not1_b32 exec_lo, exec_lo, s40
	s_cbranch_execz .LBB34_24
.LBB34_14:                              ;   Parent Loop BB34_10 Depth=1
                                        ; =>  This Inner Loop Header: Depth=2
	s_and_b32 vcc_lo, exec_lo, s33
	s_cbranch_vccz .LBB34_18
; %bb.15:                               ;   in Loop: Header=BB34_14 Depth=2
	s_mov_b32 s42, 0
	s_mov_b32 s41, 0
                                        ; implicit-def: $vgpr2
	s_and_saveexec_b32 s26, s1
	s_delay_alu instid0(SALU_CYCLE_1)
	s_xor_b32 s26, exec_lo, s26
; %bb.16:                               ;   in Loop: Header=BB34_14 Depth=2
	v_add_nc_u32_e32 v4, s21, v6
	s_mov_b32 s41, exec_lo
	s_delay_alu instid0(VALU_DEP_1)
	v_mad_u64_u32 v[2:3], null, v4, s29, v[0:1]
; %bb.17:                               ;   in Loop: Header=BB34_14 Depth=2
	s_or_b32 exec_lo, exec_lo, s26
	s_mov_b64 s[26:27], 0
	s_and_b32 vcc_lo, exec_lo, s42
	s_cbranch_vccnz .LBB34_19
	s_branch .LBB34_22
.LBB34_18:                              ;   in Loop: Header=BB34_14 Depth=2
	s_mov_b32 s41, 0
                                        ; implicit-def: $vgpr2
                                        ; implicit-def: $sgpr26_sgpr27
	s_cbranch_execz .LBB34_22
.LBB34_19:                              ;   in Loop: Header=BB34_14 Depth=2
                                        ; implicit-def: $vgpr2
	s_and_saveexec_b32 s26, s1
; %bb.20:                               ;   in Loop: Header=BB34_14 Depth=2
	v_add_nc_u32_e32 v2, v20, v6
	s_or_b32 s41, s41, exec_lo
; %bb.21:                               ;   in Loop: Header=BB34_14 Depth=2
	s_or_b32 exec_lo, exec_lo, s26
	s_mov_b64 s[26:27], 0
.LBB34_22:                              ;   in Loop: Header=BB34_14 Depth=2
	s_delay_alu instid0(SALU_CYCLE_1)
	v_dual_mov_b32 v3, s26 :: v_dual_mov_b32 v4, s27
	s_and_saveexec_b32 s26, s41
	s_cbranch_execz .LBB34_13
; %bb.23:                               ;   in Loop: Header=BB34_14 Depth=2
	v_ashrrev_i32_e32 v3, 31, v2
	s_delay_alu instid0(VALU_DEP_1) | instskip(NEXT) | instid1(VALU_DEP_1)
	v_lshlrev_b64 v[2:3], 3, v[2:3]
	v_add_co_u32 v2, vcc_lo, s18, v2
	s_delay_alu instid0(VALU_DEP_2)
	v_add_co_ci_u32_e32 v3, vcc_lo, s19, v3, vcc_lo
	global_load_b64 v[3:4], v[2:3], off
	s_branch .LBB34_13
.LBB34_24:                              ;   in Loop: Header=BB34_10 Depth=1
	s_or_b32 exec_lo, exec_lo, s39
; %bb.25:                               ;   in Loop: Header=BB34_10 Depth=1
	ds_load_b32 v2, v1 offset:25856
	s_waitcnt lgkmcnt(0)
	s_sub_i32 s26, s38, s17
	s_delay_alu instid0(SALU_CYCLE_1) | instskip(SKIP_3) | instid1(SALU_CYCLE_1)
	s_cmp_le_i32 s26, s25
	s_cselect_b32 s27, -1, 0
	v_cmp_ge_i32_e32 vcc_lo, s24, v2
	s_and_b32 s27, s27, vcc_lo
	s_and_not1_b32 vcc_lo, exec_lo, s27
	s_mov_b32 s27, 0
	s_cbranch_vccnz .LBB34_37
; %bb.26:                               ;   in Loop: Header=BB34_10 Depth=1
	s_mov_b32 s38, 0
	s_mov_b32 s39, 0
.LBB34_27:                              ;   Parent Loop BB34_10 Depth=1
                                        ; =>  This Inner Loop Header: Depth=2
	s_ashr_i32 s27, s26, 31
	s_mov_b32 s43, -1
	s_lshl_b64 s[40:41], s[26:27], 2
                                        ; implicit-def: $sgpr42
	s_delay_alu instid0(SALU_CYCLE_1) | instskip(SKIP_2) | instid1(SALU_CYCLE_1)
	s_add_u32 s40, s14, s40
	s_addc_u32 s41, s15, s41
	s_lshl_b32 s27, s39, 2
	v_mov_b32_e32 v2, s27
	s_load_b32 s27, s[40:41], 0x0
                                        ; implicit-def: $sgpr41
	ds_load_b32 v2, v2 offset:25856
	s_waitcnt lgkmcnt(0)
	s_sub_i32 s44, s27, s17
                                        ; implicit-def: $sgpr27
	s_delay_alu instid0(SALU_CYCLE_1)
	v_cmp_ge_i32_e32 vcc_lo, s44, v2
	v_readfirstlane_b32 s40, v2
	s_cbranch_vccz .LBB34_33
; %bb.28:                               ;   in Loop: Header=BB34_27 Depth=2
	s_delay_alu instid0(VALU_DEP_1)
	s_cmp_le_i32 s44, s40
                                        ; implicit-def: $sgpr27
                                        ; implicit-def: $sgpr42
                                        ; implicit-def: $sgpr41
	s_cbranch_scc0 .LBB34_30
; %bb.29:                               ;   in Loop: Header=BB34_27 Depth=2
	s_add_i32 s27, s39, s3
	s_lshl_b32 s41, s38, 2
	s_mul_i32 s27, s27, s35
	s_delay_alu instid0(SALU_CYCLE_1)
	v_dual_mov_b32 v2, s41 :: v_dual_mov_b32 v3, s27
	s_mul_i32 s41, s26, s35
	s_add_i32 s42, s26, 1
	v_mov_b32_e32 v4, s41
	s_add_i32 s41, s39, 1
	s_add_i32 s27, s38, 1
	s_mov_b32 s43, 0
	ds_store_2addr_stride64_b32 v2, v4, v3 offset0:99 offset1:100
.LBB34_30:                              ;   in Loop: Header=BB34_27 Depth=2
	s_and_not1_b32 vcc_lo, exec_lo, s43
	s_cbranch_vccnz .LBB34_32
; %bb.31:                               ;   in Loop: Header=BB34_27 Depth=2
	s_add_i32 s41, s39, 1
	s_mov_b32 s27, s38
	s_mov_b32 s42, s26
.LBB34_32:                              ;   in Loop: Header=BB34_27 Depth=2
	s_mov_b32 s43, 0
.LBB34_33:                              ;   in Loop: Header=BB34_27 Depth=2
	s_delay_alu instid0(SALU_CYCLE_1)
	s_and_not1_b32 vcc_lo, exec_lo, s43
	s_cbranch_vccnz .LBB34_35
; %bb.34:                               ;   in Loop: Header=BB34_27 Depth=2
	s_add_i32 s42, s26, 1
	s_mov_b32 s41, s39
	s_mov_b32 s27, s38
.LBB34_35:                              ;   in Loop: Header=BB34_27 Depth=2
	s_cmp_le_i32 s42, s25
	s_cselect_b32 s26, -1, 0
	s_cmp_le_i32 s40, s24
	s_cselect_b32 s38, -1, 0
	s_delay_alu instid0(SALU_CYCLE_1) | instskip(NEXT) | instid1(SALU_CYCLE_1)
	s_and_b32 s26, s26, s38
	s_and_b32 vcc_lo, exec_lo, s26
	s_cbranch_vccz .LBB34_37
; %bb.36:                               ;   in Loop: Header=BB34_27 Depth=2
	s_mov_b32 s38, s27
	s_mov_b32 s26, s42
	;; [unrolled: 1-line block ×3, first 2 shown]
	s_branch .LBB34_27
.LBB34_37:                              ;   in Loop: Header=BB34_10 Depth=1
	s_add_u32 s22, s6, s22
	s_addc_u32 s23, s7, s23
	s_waitcnt lgkmcnt(0)
	buffer_gl0_inv
.LBB34_38:                              ;   Parent Loop BB34_10 Depth=1
                                        ; =>  This Inner Loop Header: Depth=2
	global_load_b32 v2, v1, s[22:23] glc
	s_waitcnt vmcnt(0)
	v_cmp_eq_u32_e32 vcc_lo, 0, v2
	s_cbranch_vccnz .LBB34_38
; %bb.39:                               ;   in Loop: Header=BB34_10 Depth=1
	s_cmp_lt_i32 s27, 2
	buffer_gl1_inv
	buffer_gl0_inv
	s_cbranch_scc1 .LBB34_55
; %bb.40:                               ;   in Loop: Header=BB34_10 Depth=1
	s_add_i32 s22, s27, -2
	s_mov_b32 s23, 0
	s_branch .LBB34_42
.LBB34_41:                              ;   in Loop: Header=BB34_42 Depth=2
	s_or_b32 exec_lo, exec_lo, s24
	s_add_i32 s24, s23, 1
	s_cmp_eq_u32 s23, s22
	s_mov_b32 s23, s24
	s_cbranch_scc1 .LBB34_55
.LBB34_42:                              ;   Parent Loop BB34_10 Depth=1
                                        ; =>  This Loop Header: Depth=2
                                        ;       Child Loop BB34_45 Depth 3
	s_and_saveexec_b32 s24, s0
	s_cbranch_execz .LBB34_41
; %bb.43:                               ;   in Loop: Header=BB34_42 Depth=2
	s_lshl_b32 s26, s23, 2
	v_mov_b32_e32 v28, v12
	v_mov_b32_e32 v2, s26
	s_mov_b32 s26, 0
	ds_load_2addr_stride64_b32 v[2:3], v2 offset0:99 offset1:100
	s_waitcnt lgkmcnt(0)
	v_add_nc_u32_e32 v25, v0, v3
	v_add_nc_u32_e32 v24, v3, v16
	;; [unrolled: 1-line block ×4, first 2 shown]
	s_branch .LBB34_45
.LBB34_44:                              ;   in Loop: Header=BB34_45 Depth=3
	v_lshlrev_b32_e32 v2, 3, v28
	v_add_nc_u32_e32 v28, 2, v28
	v_add_nc_u32_e32 v26, 2, v26
	;; [unrolled: 1-line block ×3, first 2 shown]
	s_delay_alu instid0(VALU_DEP_4) | instskip(NEXT) | instid1(VALU_DEP_4)
	v_mad_u32_u24 v4, 0x108, v0, v2
	v_cmp_le_i32_e32 vcc_lo, s29, v28
	ds_load_b64 v[2:3], v4
	s_or_b32 s26, vcc_lo, s26
	s_waitcnt lgkmcnt(0)
	v_add_f64 v[2:3], v[8:9], v[2:3]
	ds_store_b64 v4, v[2:3]
	s_and_not1_b32 exec_lo, exec_lo, s26
	s_cbranch_execz .LBB34_41
.LBB34_45:                              ;   Parent Loop BB34_10 Depth=1
                                        ;     Parent Loop BB34_42 Depth=2
                                        ; =>    This Inner Loop Header: Depth=3
	v_mov_b32_e32 v6, 0
	s_delay_alu instid0(VALU_DEP_3)
	v_dual_mov_b32 v7, 0 :: v_dual_mov_b32 v2, v26
	v_mov_b32_e32 v4, v25
	s_mov_b32 s27, 0
	s_and_b32 vcc_lo, exec_lo, s33
	s_cbranch_vccz .LBB34_49
.LBB34_46:                              ;   in Loop: Header=BB34_45 Depth=3
	v_ashrrev_i32_e32 v3, 31, v2
	v_mov_b32_e32 v10, 0
	v_mov_b32_e32 v11, 0
	s_delay_alu instid0(VALU_DEP_3) | instskip(NEXT) | instid1(VALU_DEP_1)
	v_lshlrev_b64 v[8:9], 3, v[2:3]
	v_add_co_u32 v8, vcc_lo, s18, v8
	s_delay_alu instid0(VALU_DEP_2)
	v_add_co_ci_u32_e32 v9, vcc_lo, s19, v9, vcc_lo
	global_load_b64 v[8:9], v[8:9], off
	s_and_saveexec_b32 s38, s1
	s_cbranch_execz .LBB34_48
; %bb.47:                               ;   in Loop: Header=BB34_45 Depth=3
	v_ashrrev_i32_e32 v5, 31, v4
	s_delay_alu instid0(VALU_DEP_1) | instskip(NEXT) | instid1(VALU_DEP_1)
	v_lshlrev_b64 v[10:11], 3, v[4:5]
	v_add_co_u32 v10, vcc_lo, s18, v10
	s_delay_alu instid0(VALU_DEP_2)
	v_add_co_ci_u32_e32 v11, vcc_lo, s19, v11, vcc_lo
	global_load_b64 v[10:11], v[10:11], off
.LBB34_48:                              ;   in Loop: Header=BB34_45 Depth=3
	s_or_b32 exec_lo, exec_lo, s38
	s_waitcnt vmcnt(0)
	v_fma_f64 v[8:9], v[8:9], v[10:11], v[6:7]
	s_branch .LBB34_53
.LBB34_49:                              ;   in Loop: Header=BB34_45 Depth=3
                                        ; implicit-def: $vgpr8_vgpr9
	s_cbranch_execz .LBB34_53
; %bb.50:                               ;   in Loop: Header=BB34_45 Depth=3
	v_add_nc_u32_e32 v8, s27, v27
	v_mov_b32_e32 v10, 0
	v_mov_b32_e32 v11, 0
	s_delay_alu instid0(VALU_DEP_3) | instskip(NEXT) | instid1(VALU_DEP_1)
	v_ashrrev_i32_e32 v9, 31, v8
	v_lshlrev_b64 v[8:9], 3, v[8:9]
	s_delay_alu instid0(VALU_DEP_1) | instskip(NEXT) | instid1(VALU_DEP_2)
	v_add_co_u32 v8, vcc_lo, s18, v8
	v_add_co_ci_u32_e32 v9, vcc_lo, s19, v9, vcc_lo
	global_load_b64 v[8:9], v[8:9], off
	s_and_saveexec_b32 s38, s1
	s_cbranch_execz .LBB34_52
; %bb.51:                               ;   in Loop: Header=BB34_45 Depth=3
	v_add_nc_u32_e32 v10, s27, v24
	s_delay_alu instid0(VALU_DEP_1) | instskip(NEXT) | instid1(VALU_DEP_1)
	v_ashrrev_i32_e32 v11, 31, v10
	v_lshlrev_b64 v[10:11], 3, v[10:11]
	s_delay_alu instid0(VALU_DEP_1) | instskip(NEXT) | instid1(VALU_DEP_2)
	v_add_co_u32 v10, vcc_lo, s18, v10
	v_add_co_ci_u32_e32 v11, vcc_lo, s19, v11, vcc_lo
	global_load_b64 v[10:11], v[10:11], off
.LBB34_52:                              ;   in Loop: Header=BB34_45 Depth=3
	s_or_b32 exec_lo, exec_lo, s38
	s_waitcnt vmcnt(0)
	v_fma_f64 v[8:9], v[8:9], v[10:11], v[6:7]
.LBB34_53:                              ;   in Loop: Header=BB34_45 Depth=3
	v_add_nc_u32_e32 v4, s29, v4
	v_add_nc_u32_e32 v2, s29, v2
	s_add_i32 s27, s27, 1
	s_delay_alu instid0(SALU_CYCLE_1)
	s_cmp_eq_u32 s29, s27
	s_cbranch_scc1 .LBB34_44
; %bb.54:                               ;   in Loop: Header=BB34_45 Depth=3
	s_delay_alu instid0(VALU_DEP_3)
	v_dual_mov_b32 v6, v8 :: v_dual_mov_b32 v7, v9
	s_and_b32 vcc_lo, exec_lo, s33
	s_cbranch_vccz .LBB34_49
	s_branch .LBB34_46
.LBB34_55:                              ;   in Loop: Header=BB34_10 Depth=1
	s_and_not1_b32 vcc_lo, exec_lo, s34
	s_waitcnt lgkmcnt(0)
	buffer_gl0_inv
	s_cbranch_vccnz .LBB34_70
; %bb.56:                               ;   in Loop: Header=BB34_10 Depth=1
	v_mov_b32_e32 v8, v21
	s_mul_i32 s24, s35, s25
	s_mov_b32 s25, 0
	s_mov_b32 s26, s24
	s_branch .LBB34_58
.LBB34_57:                              ;   in Loop: Header=BB34_58 Depth=2
	s_or_b32 exec_lo, exec_lo, s22
	v_add_nc_u32_e32 v8, 8, v8
	s_add_i32 s25, s25, 1
	s_add_i32 s26, s26, 1
	s_cmp_eq_u32 s25, s29
	s_waitcnt lgkmcnt(0)
	buffer_gl0_inv
	s_cbranch_scc1 .LBB34_70
.LBB34_58:                              ;   Parent Loop BB34_10 Depth=1
                                        ; =>  This Loop Header: Depth=2
                                        ;       Child Loop BB34_65 Depth 3
                                        ;       Child Loop BB34_69 Depth 3
	s_mul_i32 s27, s25, s29
	v_lshl_add_u32 v9, s25, 3, v13
	s_add_i32 s27, s27, s24
	s_delay_alu instid0(SALU_CYCLE_1) | instskip(SKIP_2) | instid1(SALU_CYCLE_1)
	s_add_i32 s22, s27, s25
	ds_load_b64 v[2:3], v9 offset:8448
	s_ashr_i32 s23, s22, 31
	s_lshl_b64 s[22:23], s[22:23], 3
	s_delay_alu instid0(SALU_CYCLE_1)
	s_add_u32 s22, s18, s22
	s_addc_u32 s23, s19, s23
	global_load_b64 v[4:5], v1, s[22:23]
	s_waitcnt vmcnt(0)
	v_cmp_neq_f64_e32 vcc_lo, 0, v[4:5]
	v_cndmask_b32_e32 v5, 0x3ff00000, v5, vcc_lo
	v_cndmask_b32_e32 v4, 0, v4, vcc_lo
	s_or_b32 s22, vcc_lo, s2
	s_delay_alu instid0(SALU_CYCLE_1) | instskip(NEXT) | instid1(SALU_CYCLE_1)
	s_xor_b32 s23, s22, -1
	s_and_saveexec_b32 s22, s23
	s_cbranch_execz .LBB34_62
; %bb.59:                               ;   in Loop: Header=BB34_58 Depth=2
	v_mbcnt_lo_u32_b32 v4, exec_lo, 0
	s_mov_b32 s23, exec_lo
	s_delay_alu instid0(VALU_DEP_1)
	v_cmpx_eq_u32_e32 0, v4
	s_cbranch_execz .LBB34_61
; %bb.60:                               ;   in Loop: Header=BB34_58 Depth=2
	v_mov_b32_e32 v4, s37
	global_atomic_min_i32 v1, v4, s[10:11]
.LBB34_61:                              ;   in Loop: Header=BB34_58 Depth=2
	s_or_b32 exec_lo, exec_lo, s23
	v_mov_b32_e32 v4, 0
	v_mov_b32_e32 v5, 0x3ff00000
.LBB34_62:                              ;   in Loop: Header=BB34_58 Depth=2
	s_or_b32 exec_lo, exec_lo, s22
	ds_load_b64 v[6:7], v9
	s_cmp_eq_u32 s25, 0
	s_cbranch_scc1 .LBB34_67
; %bb.63:                               ;   in Loop: Header=BB34_58 Depth=2
	v_mov_b32_e32 v10, v19
	s_mov_b32 s38, 0
	s_mov_b32 s39, s26
	s_branch .LBB34_65
	.p2align	6
.LBB34_64:                              ;   in Loop: Header=BB34_65 Depth=3
	s_ashr_i32 s23, s22, 31
	ds_load_b64 v[26:27], v10
	s_lshl_b64 s[22:23], s[22:23], 3
	v_add_nc_u32_e32 v10, 8, v10
	s_add_u32 s22, s18, s22
	s_addc_u32 s23, s19, s23
	s_add_i32 s38, s38, 1
	global_load_b64 v[24:25], v1, s[22:23]
	s_add_i32 s39, s39, s29
	s_cmp_ge_u32 s38, s25
	s_waitcnt vmcnt(0) lgkmcnt(0)
	v_fma_f64 v[6:7], v[24:25], v[26:27], v[6:7]
	s_cbranch_scc1 .LBB34_67
.LBB34_65:                              ;   Parent Loop BB34_10 Depth=1
                                        ;     Parent Loop BB34_58 Depth=2
                                        ; =>    This Inner Loop Header: Depth=3
	s_and_not1_b32 vcc_lo, exec_lo, s31
	s_mov_b32 s22, s39
	s_cbranch_vccnz .LBB34_64
; %bb.66:                               ;   in Loop: Header=BB34_65 Depth=3
	s_add_i32 s22, s38, s27
	s_branch .LBB34_64
.LBB34_67:                              ;   in Loop: Header=BB34_58 Depth=2
	s_waitcnt lgkmcnt(0)
	s_delay_alu instid0(VALU_DEP_1) | instskip(SKIP_1) | instid1(VALU_DEP_2)
	v_add_f64 v[2:3], v[2:3], -v[6:7]
	v_add_nc_u32_e32 v9, 0x2100, v9
	v_div_scale_f64 v[6:7], null, v[4:5], v[4:5], v[2:3]
	v_div_scale_f64 v[26:27], vcc_lo, v[2:3], v[4:5], v[2:3]
	s_delay_alu instid0(VALU_DEP_2) | instskip(SKIP_2) | instid1(VALU_DEP_1)
	v_rcp_f64_e32 v[10:11], v[6:7]
	s_waitcnt_depctr 0xfff
	v_fma_f64 v[24:25], -v[6:7], v[10:11], 1.0
	v_fma_f64 v[10:11], v[10:11], v[24:25], v[10:11]
	s_delay_alu instid0(VALU_DEP_1) | instskip(NEXT) | instid1(VALU_DEP_1)
	v_fma_f64 v[24:25], -v[6:7], v[10:11], 1.0
	v_fma_f64 v[10:11], v[10:11], v[24:25], v[10:11]
	s_delay_alu instid0(VALU_DEP_1) | instskip(NEXT) | instid1(VALU_DEP_1)
	v_mul_f64 v[24:25], v[26:27], v[10:11]
	v_fma_f64 v[6:7], -v[6:7], v[24:25], v[26:27]
	s_delay_alu instid0(VALU_DEP_1) | instskip(NEXT) | instid1(VALU_DEP_1)
	v_div_fmas_f64 v[6:7], v[6:7], v[10:11], v[24:25]
	v_div_fixup_f64 v[2:3], v[6:7], v[4:5], v[2:3]
	ds_store_b64 v9, v[2:3]
	s_waitcnt lgkmcnt(0)
	s_waitcnt_vscnt null, 0x0
	buffer_gl0_inv
	s_and_saveexec_b32 s22, s0
	s_cbranch_execz .LBB34_57
; %bb.68:                               ;   in Loop: Header=BB34_58 Depth=2
	v_dual_mov_b32 v4, v22 :: v_dual_mov_b32 v5, v8
	v_mov_b32_e32 v6, v12
	s_mov_b32 s23, 0
	.p2align	6
.LBB34_69:                              ;   Parent Loop BB34_10 Depth=1
                                        ;     Parent Loop BB34_58 Depth=2
                                        ; =>    This Inner Loop Header: Depth=3
	ds_load_b64 v[9:10], v5
	ds_load_b64 v[24:25], v4
	v_add_nc_u32_e32 v6, 2, v6
	v_add_nc_u32_e32 v5, 0x210, v5
	s_delay_alu instid0(VALU_DEP_2)
	v_cmp_le_i32_e32 vcc_lo, s29, v6
	s_or_b32 s23, vcc_lo, s23
	s_waitcnt lgkmcnt(0)
	v_fma_f64 v[9:10], v[2:3], v[9:10], v[24:25]
	ds_store_b64 v4, v[9:10]
	v_add_nc_u32_e32 v4, 16, v4
	s_and_not1_b32 exec_lo, exec_lo, s23
	s_cbranch_execnz .LBB34_69
	s_branch .LBB34_57
.LBB34_70:                              ;   in Loop: Header=BB34_10 Depth=1
	s_and_saveexec_b32 s22, s0
	s_cbranch_execz .LBB34_9
; %bb.71:                               ;   in Loop: Header=BB34_10 Depth=1
	v_dual_mov_b32 v6, v23 :: v_dual_mov_b32 v7, v12
	s_mov_b32 s23, 0
	s_set_inst_prefetch_distance 0x1
	s_branch .LBB34_74
	.p2align	6
.LBB34_72:                              ;   in Loop: Header=BB34_74 Depth=2
	s_delay_alu instid0(VALU_DEP_1) | instskip(NEXT) | instid1(VALU_DEP_1)
	v_ashrrev_i32_e32 v5, 31, v4
	v_lshlrev_b64 v[4:5], 3, v[4:5]
	s_delay_alu instid0(VALU_DEP_1) | instskip(NEXT) | instid1(VALU_DEP_2)
	v_add_co_u32 v4, vcc_lo, s18, v4
	v_add_co_ci_u32_e32 v5, vcc_lo, s19, v5, vcc_lo
	s_waitcnt lgkmcnt(0)
	global_store_b64 v[4:5], v[2:3], off
.LBB34_73:                              ;   in Loop: Header=BB34_74 Depth=2
	s_or_b32 exec_lo, exec_lo, s24
	v_add_nc_u32_e32 v7, 2, v7
	v_add_nc_u32_e32 v6, 16, v6
	s_delay_alu instid0(VALU_DEP_2) | instskip(SKIP_1) | instid1(SALU_CYCLE_1)
	v_cmp_le_i32_e32 vcc_lo, s29, v7
	s_or_b32 s23, vcc_lo, s23
	s_and_not1_b32 exec_lo, exec_lo, s23
	s_cbranch_execz .LBB34_9
.LBB34_74:                              ;   Parent Loop BB34_10 Depth=1
                                        ; =>  This Inner Loop Header: Depth=2
	s_and_saveexec_b32 s24, s1
	s_cbranch_execz .LBB34_73
; %bb.75:                               ;   in Loop: Header=BB34_74 Depth=2
	ds_load_b64 v[2:3], v6
	s_and_b32 vcc_lo, exec_lo, s33
	s_cbranch_vccz .LBB34_77
; %bb.76:                               ;   in Loop: Header=BB34_74 Depth=2
	v_add_nc_u32_e32 v8, s21, v7
	s_delay_alu instid0(VALU_DEP_1)
	v_mad_u64_u32 v[4:5], null, v8, s29, v[0:1]
	s_cbranch_execnz .LBB34_72
	s_branch .LBB34_78
	.p2align	6
.LBB34_77:                              ;   in Loop: Header=BB34_74 Depth=2
                                        ; implicit-def: $vgpr4
.LBB34_78:                              ;   in Loop: Header=BB34_74 Depth=2
	v_add_nc_u32_e32 v4, v20, v7
	s_branch .LBB34_72
.LBB34_79:                              ;   in Loop: Header=BB34_10 Depth=1
                                        ; implicit-def: $sgpr20
                                        ; implicit-def: $vgpr20
	s_cbranch_execz .LBB34_10
.LBB34_80:
	v_cmp_gt_i32_e64 s0, s29, v12
	s_delay_alu instid0(VALU_DEP_1)
	s_and_saveexec_b32 s4, s0
	s_cbranch_execz .LBB34_93
; %bb.81:
	s_mul_i32 s5, s28, s29
	v_cmp_gt_i32_e64 s1, s29, v0
	v_dual_mov_b32 v6, v12 :: v_dual_add_nc_u32 v1, s5, v0
	v_add3_u32 v5, v13, v14, 0x2100
	s_cmp_lg_u32 s30, 0
	s_mov_b32 s12, 0
	s_delay_alu instid0(VALU_DEP_2)
	v_mul_lo_u32 v4, v1, s29
	s_cselect_b32 s13, -1, 0
	s_branch .LBB34_83
.LBB34_82:                              ;   in Loop: Header=BB34_83 Depth=1
	s_or_b32 exec_lo, exec_lo, s2
	v_add_nc_u32_e32 v6, 2, v6
	s_waitcnt vmcnt(0)
	ds_store_b64 v5, v[2:3]
	v_add_nc_u32_e32 v5, 16, v5
	v_cmp_le_i32_e32 vcc_lo, s29, v6
	s_or_b32 s12, vcc_lo, s12
	s_delay_alu instid0(SALU_CYCLE_1)
	s_and_not1_b32 exec_lo, exec_lo, s12
	s_cbranch_execz .LBB34_93
.LBB34_83:                              ; =>This Inner Loop Header: Depth=1
	s_and_b32 vcc_lo, exec_lo, s13
	s_cbranch_vccz .LBB34_88
; %bb.84:                               ;   in Loop: Header=BB34_83 Depth=1
	s_mov_b32 s15, 0
	s_mov_b32 s14, 0
                                        ; implicit-def: $vgpr1
	s_and_saveexec_b32 s2, s1
	s_delay_alu instid0(SALU_CYCLE_1)
	s_xor_b32 s2, exec_lo, s2
; %bb.85:                               ;   in Loop: Header=BB34_83 Depth=1
	v_add_nc_u32_e32 v3, s5, v6
	s_mov_b32 s14, exec_lo
	s_delay_alu instid0(VALU_DEP_1)
	v_mad_u64_u32 v[1:2], null, v3, s29, v[0:1]
; %bb.86:                               ;   in Loop: Header=BB34_83 Depth=1
	s_or_b32 exec_lo, exec_lo, s2
	s_mov_b64 s[2:3], 0
	s_and_b32 vcc_lo, exec_lo, s15
	s_cbranch_vccnz .LBB34_89
.LBB34_87:                              ;   in Loop: Header=BB34_83 Depth=1
	v_dual_mov_b32 v2, s2 :: v_dual_mov_b32 v3, s3
	s_and_saveexec_b32 s2, s14
	s_cbranch_execz .LBB34_82
	s_branch .LBB34_92
.LBB34_88:                              ;   in Loop: Header=BB34_83 Depth=1
	s_mov_b32 s14, 0
                                        ; implicit-def: $vgpr1
                                        ; implicit-def: $sgpr2_sgpr3
	s_cbranch_execz .LBB34_87
.LBB34_89:                              ;   in Loop: Header=BB34_83 Depth=1
                                        ; implicit-def: $vgpr1
	s_and_saveexec_b32 s2, s1
; %bb.90:                               ;   in Loop: Header=BB34_83 Depth=1
	v_add_nc_u32_e32 v1, v4, v6
	s_or_b32 s14, s14, exec_lo
; %bb.91:                               ;   in Loop: Header=BB34_83 Depth=1
	s_or_b32 exec_lo, exec_lo, s2
	s_mov_b64 s[2:3], 0
	s_delay_alu instid0(SALU_CYCLE_1)
	v_dual_mov_b32 v2, s2 :: v_dual_mov_b32 v3, s3
	s_and_saveexec_b32 s2, s14
	s_cbranch_execz .LBB34_82
.LBB34_92:                              ;   in Loop: Header=BB34_83 Depth=1
	v_ashrrev_i32_e32 v2, 31, v1
	s_delay_alu instid0(VALU_DEP_1) | instskip(NEXT) | instid1(VALU_DEP_1)
	v_lshlrev_b64 v[1:2], 3, v[1:2]
	v_add_co_u32 v1, vcc_lo, s18, v1
	s_delay_alu instid0(VALU_DEP_2)
	v_add_co_ci_u32_e32 v2, vcc_lo, s19, v2, vcc_lo
	global_load_b64 v[2:3], v[1:2], off
	s_branch .LBB34_82
.LBB34_93:
	s_or_b32 exec_lo, exec_lo, s4
; %bb.94:
	s_cmp_lt_i32 s29, 1
	s_waitcnt lgkmcnt(0)
	buffer_gl0_inv
	s_cbranch_scc1 .LBB34_107
; %bb.95:
	v_or_b32_e32 v1, v12, v0
	v_mad_u32_u24 v2, 0x108, v0, v15
	s_movk_i32 s2, 0x2100
	v_add3_u32 v8, v13, v14, 0x4200
	v_mad_u32_u24 v7, 0x108, v12, s2
	v_cmp_ne_u32_e64 s1, 0, v1
	v_add_nc_u32_e32 v5, 0x2100, v2
	v_dual_mov_b32 v9, 0 :: v_dual_add_nc_u32 v6, 0x4200, v2
	s_mov_b32 s2, 0
	s_add_i32 s3, s16, s17
	s_branch .LBB34_97
.LBB34_96:                              ;   in Loop: Header=BB34_97 Depth=1
	s_or_b32 exec_lo, exec_lo, s4
	v_add_nc_u32_e32 v7, 8, v7
	s_add_i32 s2, s2, 1
	s_waitcnt lgkmcnt(0)
	s_waitcnt_vscnt null, 0x0
	buffer_gl0_inv
	s_cmp_eq_u32 s2, s29
	s_cbranch_scc1 .LBB34_107
.LBB34_97:                              ; =>This Loop Header: Depth=1
                                        ;     Child Loop BB34_106 Depth 2
	s_mov_b32 s4, exec_lo
	v_cmpx_eq_u32_e64 s2, v0
	s_cbranch_execz .LBB34_99
; %bb.98:                               ;   in Loop: Header=BB34_97 Depth=1
	ds_load_b64 v[1:2], v5
	ds_load_b64 v[3:4], v6
	s_waitcnt lgkmcnt(0)
	v_add_f64 v[1:2], v[1:2], -v[3:4]
	s_delay_alu instid0(VALU_DEP_1) | instskip(SKIP_1) | instid1(VALU_DEP_1)
	v_cmp_gt_f64_e32 vcc_lo, 0, v[1:2]
	v_xor_b32_e32 v3, 0x80000000, v2
	v_dual_cndmask_b32 v2, v2, v3 :: v_dual_cndmask_b32 v1, v1, v1
	s_delay_alu instid0(VALU_DEP_1) | instskip(SKIP_1) | instid1(VALU_DEP_1)
	v_cmp_gt_f64_e32 vcc_lo, 0x10000000, v[1:2]
	v_cndmask_b32_e64 v3, 0, 1, vcc_lo
	v_lshlrev_b32_e32 v3, 8, v3
	s_delay_alu instid0(VALU_DEP_1) | instskip(NEXT) | instid1(VALU_DEP_1)
	v_ldexp_f64 v[1:2], v[1:2], v3
	v_rsq_f64_e32 v[3:4], v[1:2]
	s_waitcnt_depctr 0xfff
	v_mul_f64 v[10:11], v[1:2], v[3:4]
	v_mul_f64 v[3:4], v[3:4], 0.5
	s_delay_alu instid0(VALU_DEP_1) | instskip(NEXT) | instid1(VALU_DEP_1)
	v_fma_f64 v[15:16], -v[3:4], v[10:11], 0.5
	v_fma_f64 v[10:11], v[10:11], v[15:16], v[10:11]
	v_fma_f64 v[3:4], v[3:4], v[15:16], v[3:4]
	s_delay_alu instid0(VALU_DEP_2) | instskip(NEXT) | instid1(VALU_DEP_1)
	v_fma_f64 v[15:16], -v[10:11], v[10:11], v[1:2]
	v_fma_f64 v[10:11], v[15:16], v[3:4], v[10:11]
	s_delay_alu instid0(VALU_DEP_1) | instskip(NEXT) | instid1(VALU_DEP_1)
	v_fma_f64 v[15:16], -v[10:11], v[10:11], v[1:2]
	v_fma_f64 v[3:4], v[15:16], v[3:4], v[10:11]
	v_cndmask_b32_e64 v10, 0, 0xffffff80, vcc_lo
	v_cmp_class_f64_e64 vcc_lo, v[1:2], 0x260
	s_delay_alu instid0(VALU_DEP_2) | instskip(NEXT) | instid1(VALU_DEP_1)
	v_ldexp_f64 v[3:4], v[3:4], v10
	v_dual_cndmask_b32 v2, v4, v2 :: v_dual_cndmask_b32 v1, v3, v1
	ds_store_b64 v5, v[1:2]
.LBB34_99:                              ;   in Loop: Header=BB34_97 Depth=1
	s_or_b32 exec_lo, exec_lo, s4
	s_lshl_b32 s4, s2, 3
	s_mul_i32 s5, s2, 0x108
	s_waitcnt lgkmcnt(0)
	buffer_gl0_inv
	s_add_i32 s5, s5, s4
	v_mad_u32_u24 v10, 0x108, v0, s4
	v_mov_b32_e32 v1, s5
	ds_load_b64 v[3:4], v1 offset:8448
	ds_load_b64 v[1:2], v10 offset:8448
	s_waitcnt lgkmcnt(1)
	v_cmp_neq_f64_e32 vcc_lo, 0, v[3:4]
	v_cndmask_b32_e32 v4, 0x3ff00000, v4, vcc_lo
	v_cndmask_b32_e32 v3, 0, v3, vcc_lo
	s_or_b32 s4, vcc_lo, s1
	s_delay_alu instid0(SALU_CYCLE_1) | instskip(NEXT) | instid1(SALU_CYCLE_1)
	s_xor_b32 s5, s4, -1
	s_and_saveexec_b32 s4, s5
	s_cbranch_execz .LBB34_103
; %bb.100:                              ;   in Loop: Header=BB34_97 Depth=1
	v_mbcnt_lo_u32_b32 v3, exec_lo, 0
	s_mov_b32 s5, exec_lo
	s_delay_alu instid0(VALU_DEP_1)
	v_cmpx_eq_u32_e32 0, v3
	s_cbranch_execz .LBB34_102
; %bb.101:                              ;   in Loop: Header=BB34_97 Depth=1
	v_mov_b32_e32 v3, s3
	global_atomic_min_i32 v9, v3, s[10:11]
.LBB34_102:                             ;   in Loop: Header=BB34_97 Depth=1
	s_or_b32 exec_lo, exec_lo, s5
	v_mov_b32_e32 v3, 0
	v_mov_b32_e32 v4, 0x3ff00000
.LBB34_103:                             ;   in Loop: Header=BB34_97 Depth=1
	s_or_b32 exec_lo, exec_lo, s4
	s_delay_alu instid0(SALU_CYCLE_1)
	s_mov_b32 s4, exec_lo
	v_cmpx_lt_u32_e64 s2, v0
	s_cbranch_execz .LBB34_96
; %bb.104:                              ;   in Loop: Header=BB34_97 Depth=1
	v_lshl_add_u32 v11, s2, 3, v13
	ds_load_b64 v[15:16], v11 offset:16896
	s_waitcnt lgkmcnt(0)
	v_add_f64 v[1:2], v[1:2], -v[15:16]
	s_delay_alu instid0(VALU_DEP_1) | instskip(SKIP_1) | instid1(VALU_DEP_2)
	v_div_scale_f64 v[15:16], null, v[3:4], v[3:4], v[1:2]
	v_div_scale_f64 v[21:22], vcc_lo, v[1:2], v[3:4], v[1:2]
	v_rcp_f64_e32 v[17:18], v[15:16]
	s_waitcnt_depctr 0xfff
	v_fma_f64 v[19:20], -v[15:16], v[17:18], 1.0
	s_delay_alu instid0(VALU_DEP_1) | instskip(NEXT) | instid1(VALU_DEP_1)
	v_fma_f64 v[17:18], v[17:18], v[19:20], v[17:18]
	v_fma_f64 v[19:20], -v[15:16], v[17:18], 1.0
	s_delay_alu instid0(VALU_DEP_1) | instskip(NEXT) | instid1(VALU_DEP_1)
	v_fma_f64 v[17:18], v[17:18], v[19:20], v[17:18]
	v_mul_f64 v[19:20], v[21:22], v[17:18]
	s_delay_alu instid0(VALU_DEP_1) | instskip(NEXT) | instid1(VALU_DEP_1)
	v_fma_f64 v[15:16], -v[15:16], v[19:20], v[21:22]
	v_div_fmas_f64 v[15:16], v[15:16], v[17:18], v[19:20]
	s_delay_alu instid0(VALU_DEP_1)
	v_div_fixup_f64 v[1:2], v[15:16], v[3:4], v[1:2]
	v_add_nc_u32_e32 v3, 0x2100, v10
	ds_store_b64 v3, v[1:2]
	s_waitcnt lgkmcnt(0)
	s_waitcnt_vscnt null, 0x0
	buffer_gl0_inv
	s_and_b32 exec_lo, exec_lo, s0
	s_cbranch_execz .LBB34_96
; %bb.105:                              ;   in Loop: Header=BB34_97 Depth=1
	v_dual_mov_b32 v3, v8 :: v_dual_mov_b32 v4, v7
	v_mov_b32_e32 v10, v12
	s_mov_b32 s5, 0
	.p2align	6
.LBB34_106:                             ;   Parent Loop BB34_97 Depth=1
                                        ; =>  This Inner Loop Header: Depth=2
	ds_load_b64 v[15:16], v4
	ds_load_b64 v[17:18], v3
	v_add_nc_u32_e32 v10, 2, v10
	v_add_nc_u32_e32 v4, 0x210, v4
	s_delay_alu instid0(VALU_DEP_2)
	v_cmp_le_i32_e32 vcc_lo, s29, v10
	s_or_b32 s5, vcc_lo, s5
	s_waitcnt lgkmcnt(0)
	v_fma_f64 v[15:16], v[1:2], v[15:16], v[17:18]
	ds_store_b64 v3, v[15:16]
	v_add_nc_u32_e32 v3, 16, v3
	s_and_not1_b32 exec_lo, exec_lo, s5
	s_cbranch_execnz .LBB34_106
	s_branch .LBB34_96
.LBB34_107:
	s_and_saveexec_b32 s1, s0
	s_cbranch_execz .LBB34_116
; %bb.108:
	s_mul_i32 s28, s28, s29
	v_cmp_gt_i32_e64 s0, s29, v0
	v_add_nc_u32_e32 v1, s28, v0
	v_add3_u32 v6, v13, v14, 0x2100
	v_mov_b32_e32 v7, v12
	s_cmp_lg_u32 s30, 0
	s_mov_b32 s2, 0
	v_mul_lo_u32 v5, v1, s29
	s_cselect_b32 s3, -1, 0
	s_set_inst_prefetch_distance 0x1
	s_branch .LBB34_111
	.p2align	6
.LBB34_109:                             ;   in Loop: Header=BB34_111 Depth=1
	s_delay_alu instid0(VALU_DEP_1) | instskip(NEXT) | instid1(VALU_DEP_1)
	v_ashrrev_i32_e32 v4, 31, v3
	v_lshlrev_b64 v[3:4], 3, v[3:4]
	s_delay_alu instid0(VALU_DEP_1) | instskip(NEXT) | instid1(VALU_DEP_2)
	v_add_co_u32 v3, vcc_lo, s18, v3
	v_add_co_ci_u32_e32 v4, vcc_lo, s19, v4, vcc_lo
	s_waitcnt lgkmcnt(0)
	global_store_b64 v[3:4], v[1:2], off
.LBB34_110:                             ;   in Loop: Header=BB34_111 Depth=1
	s_or_b32 exec_lo, exec_lo, s4
	v_add_nc_u32_e32 v7, 2, v7
	v_add_nc_u32_e32 v6, 16, v6
	s_delay_alu instid0(VALU_DEP_2) | instskip(SKIP_1) | instid1(SALU_CYCLE_1)
	v_cmp_le_i32_e32 vcc_lo, s29, v7
	s_or_b32 s2, vcc_lo, s2
	s_and_not1_b32 exec_lo, exec_lo, s2
	s_cbranch_execz .LBB34_116
.LBB34_111:                             ; =>This Inner Loop Header: Depth=1
	s_and_saveexec_b32 s4, s0
	s_cbranch_execz .LBB34_110
; %bb.112:                              ;   in Loop: Header=BB34_111 Depth=1
	ds_load_b64 v[1:2], v6
	s_and_b32 vcc_lo, exec_lo, s3
	s_cbranch_vccz .LBB34_114
; %bb.113:                              ;   in Loop: Header=BB34_111 Depth=1
	v_add_nc_u32_e32 v8, s28, v7
	s_waitcnt lgkmcnt(0)
	s_delay_alu instid0(VALU_DEP_1)
	v_mad_u64_u32 v[3:4], null, v8, s29, v[0:1]
	s_cbranch_execnz .LBB34_109
	s_branch .LBB34_115
.LBB34_114:                             ;   in Loop: Header=BB34_111 Depth=1
                                        ; implicit-def: $vgpr3
.LBB34_115:                             ;   in Loop: Header=BB34_111 Depth=1
	v_add_nc_u32_e32 v3, v5, v7
	s_branch .LBB34_109
.LBB34_116:
	s_set_inst_prefetch_distance 0x2
	s_or_b32 exec_lo, exec_lo, s1
	v_or_b32_e32 v1, v12, v0
	s_delay_alu instid0(VALU_DEP_1)
	v_cmp_eq_u32_e64 s3, 0, v1
.LBB34_117:
	s_delay_alu instid0(VALU_DEP_1)
	s_and_saveexec_b32 s0, s3
	s_cbranch_execnz .LBB34_125
.LBB34_118:
	s_nop 0
	s_sendmsg sendmsg(MSG_DEALLOC_VGPRS)
	s_endpgm
.LBB34_119:
	s_cbranch_execz .LBB34_117
; %bb.120:
	v_or_b32_e32 v0, v12, v0
	s_mov_b32 s0, exec_lo
	s_delay_alu instid0(VALU_DEP_1)
	v_cmpx_eq_u32_e32 0, v0
	s_cbranch_execz .LBB34_124
; %bb.121:
	v_mbcnt_lo_u32_b32 v0, exec_lo, 0
	s_mov_b32 s1, exec_lo
	s_delay_alu instid0(VALU_DEP_1)
	v_cmpx_eq_u32_e32 0, v0
	s_cbranch_execz .LBB34_123
; %bb.122:
	s_add_i32 s2, s16, s17
	s_delay_alu instid0(SALU_CYCLE_1)
	v_dual_mov_b32 v0, 0 :: v_dual_mov_b32 v1, s2
	global_atomic_min_i32 v0, v1, s[10:11]
.LBB34_123:
	s_or_b32 exec_lo, exec_lo, s1
	s_delay_alu instid0(SALU_CYCLE_1)
	s_or_b32 s3, s3, exec_lo
.LBB34_124:
	s_or_b32 exec_lo, exec_lo, s0
	s_and_saveexec_b32 s0, s3
	s_cbranch_execz .LBB34_118
.LBB34_125:
	v_dual_mov_b32 v0, 0 :: v_dual_mov_b32 v1, 1
	s_add_u32 s0, s6, s8
	s_addc_u32 s1, s7, s9
	s_waitcnt_vscnt null, 0x0
	global_store_b32 v0, v1, s[0:1]
	s_nop 0
	s_sendmsg sendmsg(MSG_DEALLOC_VGPRS)
	s_endpgm
	.section	.rodata,"a",@progbits
	.p2align	6, 0x0
	.amdhsa_kernel _ZN9rocsparseL19bsric0_17_32_kernelILi64ELi64ELi32EdEEv20rocsparse_direction_iiPKiS3_PT2_S3_PiS3_S6_21rocsparse_index_base_
		.amdhsa_group_segment_fixed_size 26112
		.amdhsa_private_segment_fixed_size 0
		.amdhsa_kernarg_size 76
		.amdhsa_user_sgpr_count 15
		.amdhsa_user_sgpr_dispatch_ptr 0
		.amdhsa_user_sgpr_queue_ptr 0
		.amdhsa_user_sgpr_kernarg_segment_ptr 1
		.amdhsa_user_sgpr_dispatch_id 0
		.amdhsa_user_sgpr_private_segment_size 0
		.amdhsa_wavefront_size32 1
		.amdhsa_uses_dynamic_stack 0
		.amdhsa_enable_private_segment 0
		.amdhsa_system_sgpr_workgroup_id_x 1
		.amdhsa_system_sgpr_workgroup_id_y 0
		.amdhsa_system_sgpr_workgroup_id_z 0
		.amdhsa_system_sgpr_workgroup_info 0
		.amdhsa_system_vgpr_workitem_id 1
		.amdhsa_next_free_vgpr 29
		.amdhsa_next_free_sgpr 45
		.amdhsa_reserve_vcc 1
		.amdhsa_float_round_mode_32 0
		.amdhsa_float_round_mode_16_64 0
		.amdhsa_float_denorm_mode_32 3
		.amdhsa_float_denorm_mode_16_64 3
		.amdhsa_dx10_clamp 1
		.amdhsa_ieee_mode 1
		.amdhsa_fp16_overflow 0
		.amdhsa_workgroup_processor_mode 1
		.amdhsa_memory_ordered 1
		.amdhsa_forward_progress 0
		.amdhsa_shared_vgpr_count 0
		.amdhsa_exception_fp_ieee_invalid_op 0
		.amdhsa_exception_fp_denorm_src 0
		.amdhsa_exception_fp_ieee_div_zero 0
		.amdhsa_exception_fp_ieee_overflow 0
		.amdhsa_exception_fp_ieee_underflow 0
		.amdhsa_exception_fp_ieee_inexact 0
		.amdhsa_exception_int_div_zero 0
	.end_amdhsa_kernel
	.section	.text._ZN9rocsparseL19bsric0_17_32_kernelILi64ELi64ELi32EdEEv20rocsparse_direction_iiPKiS3_PT2_S3_PiS3_S6_21rocsparse_index_base_,"axG",@progbits,_ZN9rocsparseL19bsric0_17_32_kernelILi64ELi64ELi32EdEEv20rocsparse_direction_iiPKiS3_PT2_S3_PiS3_S6_21rocsparse_index_base_,comdat
.Lfunc_end34:
	.size	_ZN9rocsparseL19bsric0_17_32_kernelILi64ELi64ELi32EdEEv20rocsparse_direction_iiPKiS3_PT2_S3_PiS3_S6_21rocsparse_index_base_, .Lfunc_end34-_ZN9rocsparseL19bsric0_17_32_kernelILi64ELi64ELi32EdEEv20rocsparse_direction_iiPKiS3_PT2_S3_PiS3_S6_21rocsparse_index_base_
                                        ; -- End function
	.section	.AMDGPU.csdata,"",@progbits
; Kernel info:
; codeLenInByte = 4132
; NumSgprs: 47
; NumVgprs: 29
; ScratchSize: 0
; MemoryBound: 0
; FloatMode: 240
; IeeeMode: 1
; LDSByteSize: 26112 bytes/workgroup (compile time only)
; SGPRBlocks: 5
; VGPRBlocks: 3
; NumSGPRsForWavesPerEU: 47
; NumVGPRsForWavesPerEU: 29
; Occupancy: 3
; WaveLimiterHint : 1
; COMPUTE_PGM_RSRC2:SCRATCH_EN: 0
; COMPUTE_PGM_RSRC2:USER_SGPR: 15
; COMPUTE_PGM_RSRC2:TRAP_HANDLER: 0
; COMPUTE_PGM_RSRC2:TGID_X_EN: 1
; COMPUTE_PGM_RSRC2:TGID_Y_EN: 0
; COMPUTE_PGM_RSRC2:TGID_Z_EN: 0
; COMPUTE_PGM_RSRC2:TIDIG_COMP_CNT: 1
	.section	.text._ZN9rocsparseL17bsric0_2_8_kernelILi64ELi128ELi8EdEEv20rocsparse_direction_iiPKiS3_PT2_S3_PiS3_S6_21rocsparse_index_base_,"axG",@progbits,_ZN9rocsparseL17bsric0_2_8_kernelILi64ELi128ELi8EdEEv20rocsparse_direction_iiPKiS3_PT2_S3_PiS3_S6_21rocsparse_index_base_,comdat
	.globl	_ZN9rocsparseL17bsric0_2_8_kernelILi64ELi128ELi8EdEEv20rocsparse_direction_iiPKiS3_PT2_S3_PiS3_S6_21rocsparse_index_base_ ; -- Begin function _ZN9rocsparseL17bsric0_2_8_kernelILi64ELi128ELi8EdEEv20rocsparse_direction_iiPKiS3_PT2_S3_PiS3_S6_21rocsparse_index_base_
	.p2align	8
	.type	_ZN9rocsparseL17bsric0_2_8_kernelILi64ELi128ELi8EdEEv20rocsparse_direction_iiPKiS3_PT2_S3_PiS3_S6_21rocsparse_index_base_,@function
_ZN9rocsparseL17bsric0_2_8_kernelILi64ELi128ELi8EdEEv20rocsparse_direction_iiPKiS3_PT2_S3_PiS3_S6_21rocsparse_index_base_: ; @_ZN9rocsparseL17bsric0_2_8_kernelILi64ELi128ELi8EdEEv20rocsparse_direction_iiPKiS3_PT2_S3_PiS3_S6_21rocsparse_index_base_
; %bb.0:
	s_load_b256 s[4:11], s[0:1], 0x28
	s_mov_b32 s2, s15
	s_mov_b32 s3, 0
	v_and_b32_e32 v13, 0x3ff, v0
	s_lshl_b64 s[12:13], s[2:3], 2
	v_bfe_u32 v14, v0, 10, 10
	s_waitcnt lgkmcnt(0)
	s_add_u32 s8, s8, s12
	s_addc_u32 s9, s9, s13
	s_load_b32 s16, s[8:9], 0x0
	s_waitcnt lgkmcnt(0)
	s_ashr_i32 s17, s16, 31
	s_delay_alu instid0(SALU_CYCLE_1) | instskip(NEXT) | instid1(SALU_CYCLE_1)
	s_lshl_b64 s[8:9], s[16:17], 2
	s_add_u32 s12, s4, s8
	s_addc_u32 s13, s5, s9
	s_load_b32 s28, s[12:13], 0x0
	s_load_b32 s17, s[0:1], 0x48
	s_waitcnt lgkmcnt(0)
	s_cmp_lg_u32 s28, -1
	s_cbranch_scc0 .LBB35_92
; %bb.1:
	s_clause 0x1
	s_load_b128 s[12:15], s[0:1], 0x10
	s_load_b64 s[18:19], s[0:1], 0x20
	v_lshlrev_b32_e32 v17, 3, v14
	s_waitcnt lgkmcnt(0)
	s_add_u32 s2, s12, s8
	s_addc_u32 s3, s13, s9
	s_load_b32 s2, s[2:3], 0x0
	s_mov_b32 s3, exec_lo
	s_waitcnt lgkmcnt(0)
	s_sub_i32 s29, s2, s17
	s_delay_alu instid0(SALU_CYCLE_1) | instskip(NEXT) | instid1(VALU_DEP_1)
	v_add3_u32 v0, v17, v13, s29
	v_cmpx_ge_i32_e64 s28, v0
	s_cbranch_execz .LBB35_4
; %bb.2:
	v_ashrrev_i32_e32 v1, 31, v0
	v_lshlrev_b32_e32 v3, 5, v14
	v_lshlrev_b32_e32 v4, 2, v13
	s_mov_b32 s20, 0
	s_delay_alu instid0(VALU_DEP_3) | instskip(NEXT) | instid1(VALU_DEP_2)
	v_lshlrev_b64 v[1:2], 2, v[0:1]
	v_add3_u32 v3, v3, v4, 0xd00
	s_delay_alu instid0(VALU_DEP_2) | instskip(NEXT) | instid1(VALU_DEP_3)
	v_add_co_u32 v1, vcc_lo, s14, v1
	v_add_co_ci_u32_e32 v2, vcc_lo, s15, v2, vcc_lo
	.p2align	6
.LBB35_3:                               ; =>This Inner Loop Header: Depth=1
	global_load_b32 v4, v[1:2], off
	v_add_nc_u32_e32 v0, 64, v0
	v_add_co_u32 v1, vcc_lo, 0x100, v1
	v_add_co_ci_u32_e32 v2, vcc_lo, 0, v2, vcc_lo
	s_delay_alu instid0(VALU_DEP_3) | instskip(NEXT) | instid1(VALU_DEP_1)
	v_cmp_lt_i32_e64 s2, s28, v0
	s_or_b32 s20, s2, s20
	s_waitcnt vmcnt(0)
	v_subrev_nc_u32_e32 v4, s17, v4
	ds_store_b32 v3, v4
	v_add_nc_u32_e32 v3, 0x100, v3
	s_and_not1_b32 exec_lo, exec_lo, s20
	s_cbranch_execnz .LBB35_3
.LBB35_4:
	s_or_b32 exec_lo, exec_lo, s3
	s_clause 0x1
	s_load_b32 s30, s[0:1], 0x0
	s_load_b32 s3, s[0:1], 0x8
	v_mov_b32_e32 v0, 0
	v_lshlrev_b32_e32 v2, 3, v13
	s_cmp_ge_i32 s29, s28
	s_delay_alu instid0(VALU_DEP_2) | instskip(NEXT) | instid1(VALU_DEP_2)
	v_mov_b32_e32 v1, v0
	v_mad_u32_u24 v15, 0x48, v14, v2
	s_delay_alu instid0(VALU_DEP_1)
	v_add_nc_u32_e32 v16, 0x6c0, v15
	ds_store_b64 v15, v[0:1] offset:1728
	s_waitcnt lgkmcnt(0)
	buffer_gl0_inv
	s_cbranch_scc1 .LBB35_74
; %bb.5:
	v_cmp_gt_i32_e64 s0, s3, v13
	v_cmp_gt_i32_e64 s1, s3, v14
	s_cmp_eq_u32 s30, 0
	s_movk_i32 s2, 0x480
	s_cselect_b32 vcc_lo, -1, 0
	s_cmp_lg_u32 s30, 0
	v_mad_u32_u24 v18, 0x48, v14, s2
	s_cselect_b32 s31, -1, 0
	s_and_b32 s33, s0, s1
	v_or_b32_e32 v1, v13, v14
	s_cmp_gt_i32 s3, 0
	v_mul_lo_u32 v20, v13, s3
	v_mul_lo_u32 v21, v14, s3
	s_cselect_b32 s34, -1, 0
	s_cmp_lg_u32 s3, 1
	v_add_nc_u32_e32 v19, v18, v2
	v_add_nc_u32_e32 v22, 0x240, v15
	v_cmp_ne_u32_e64 s2, 0, v1
	v_dual_cndmask_b32 v1, v14, v13 :: v_dual_cndmask_b32 v2, v13, v14
	s_cselect_b32 s35, -1, 0
	s_and_b32 s36, s3, 0x7ffffffe
	s_bitcmp1_b32 s3, 0
	s_mul_i32 s37, s3, s3
	s_cselect_b32 s38, -1, 0
	s_mov_b32 s20, s29
	s_branch .LBB35_8
.LBB35_6:                               ;   in Loop: Header=BB35_8 Depth=1
	s_or_b32 exec_lo, exec_lo, s21
	s_add_i32 s20, s20, 1
	s_waitcnt_vscnt null, 0x0
	buffer_gl1_inv
	buffer_gl0_inv
	s_cmp_ge_i32 s20, s28
	s_cselect_b32 s26, -1, 0
.LBB35_7:                               ;   in Loop: Header=BB35_8 Depth=1
	s_delay_alu instid0(SALU_CYCLE_1)
	s_and_b32 vcc_lo, exec_lo, s26
	s_cbranch_vccnz .LBB35_74
.LBB35_8:                               ; =>This Loop Header: Depth=1
                                        ;     Child Loop BB35_13 Depth 2
                                        ;     Child Loop BB35_24 Depth 2
	;; [unrolled: 1-line block ×3, first 2 shown]
                                        ;       Child Loop BB35_55 Depth 3
                                        ;       Child Loop BB35_61 Depth 3
                                        ;     Child Loop BB35_70 Depth 2
	s_ashr_i32 s21, s20, 31
	s_delay_alu instid0(SALU_CYCLE_1) | instskip(NEXT) | instid1(SALU_CYCLE_1)
	s_lshl_b64 s[22:23], s[20:21], 2
	s_add_u32 s22, s14, s22
	s_addc_u32 s23, s15, s23
	s_load_b32 s21, s[22:23], 0x0
	s_waitcnt lgkmcnt(0)
	s_sub_i32 s24, s21, s17
	s_delay_alu instid0(SALU_CYCLE_1) | instskip(NEXT) | instid1(SALU_CYCLE_1)
	s_ashr_i32 s25, s24, 31
	s_lshl_b64 s[22:23], s[24:25], 2
	s_delay_alu instid0(SALU_CYCLE_1)
	s_add_u32 s26, s4, s22
	s_addc_u32 s27, s5, s23
	s_load_b32 s25, s[26:27], 0x0
	s_mov_b32 s26, -1
	s_waitcnt lgkmcnt(0)
	s_cmp_eq_u32 s25, -1
	s_cbranch_scc1 .LBB35_7
; %bb.9:                                ;   in Loop: Header=BB35_8 Depth=1
	v_mov_b32_e32 v3, 0
	v_mov_b32_e32 v4, 0
	s_add_u32 s26, s12, s22
	s_addc_u32 s27, s13, s23
	s_and_saveexec_b32 s39, s33
	s_cbranch_execz .LBB35_11
; %bb.10:                               ;   in Loop: Header=BB35_8 Depth=1
	v_mad_u64_u32 v[3:4], null, s20, s3, v[2:3]
	s_delay_alu instid0(VALU_DEP_1) | instskip(NEXT) | instid1(VALU_DEP_1)
	v_mad_u64_u32 v[4:5], null, v3, s3, v[1:2]
	v_ashrrev_i32_e32 v5, 31, v4
	s_delay_alu instid0(VALU_DEP_1) | instskip(NEXT) | instid1(VALU_DEP_1)
	v_lshlrev_b64 v[3:4], 3, v[4:5]
	v_add_co_u32 v3, vcc_lo, s18, v3
	s_delay_alu instid0(VALU_DEP_2)
	v_add_co_ci_u32_e32 v4, vcc_lo, s19, v4, vcc_lo
	global_load_b64 v[3:4], v[3:4], off
.LBB35_11:                              ;   in Loop: Header=BB35_8 Depth=1
	s_or_b32 exec_lo, exec_lo, s39
	s_load_b32 s26, s[26:27], 0x0
	ds_load_b32 v5, v0 offset:3328
	s_waitcnt vmcnt(0)
	ds_store_b64 v19, v[3:4]
	s_waitcnt lgkmcnt(0)
	s_sub_i32 s26, s26, s17
	v_cmp_ge_i32_e32 vcc_lo, s24, v5
	s_cmp_le_i32 s26, s25
	s_cselect_b32 s27, -1, 0
	s_delay_alu instid0(SALU_CYCLE_1) | instskip(NEXT) | instid1(SALU_CYCLE_1)
	s_and_b32 s27, s27, vcc_lo
	s_and_not1_b32 vcc_lo, exec_lo, s27
	s_mov_b32 s27, 0
	s_cbranch_vccnz .LBB35_23
; %bb.12:                               ;   in Loop: Header=BB35_8 Depth=1
	s_mov_b32 s39, 0
	s_mov_b32 s40, 0
.LBB35_13:                              ;   Parent Loop BB35_8 Depth=1
                                        ; =>  This Inner Loop Header: Depth=2
	s_ashr_i32 s27, s26, 31
	s_mov_b32 s44, -1
	s_lshl_b64 s[42:43], s[26:27], 2
	s_delay_alu instid0(SALU_CYCLE_1) | instskip(SKIP_2) | instid1(SALU_CYCLE_1)
	s_add_u32 s42, s14, s42
	s_addc_u32 s43, s15, s43
	s_lshl_b32 s27, s40, 2
	v_mov_b32_e32 v3, s27
	s_load_b32 s27, s[42:43], 0x0
                                        ; implicit-def: $sgpr43
                                        ; implicit-def: $sgpr42
	ds_load_b32 v3, v3 offset:3328
	s_waitcnt lgkmcnt(0)
	s_sub_i32 s45, s27, s17
                                        ; implicit-def: $sgpr27
	s_delay_alu instid0(SALU_CYCLE_1)
	v_cmp_ge_i32_e32 vcc_lo, s45, v3
	v_readfirstlane_b32 s41, v3
	s_cbranch_vccz .LBB35_19
; %bb.14:                               ;   in Loop: Header=BB35_13 Depth=2
	s_delay_alu instid0(VALU_DEP_1)
	s_cmp_le_i32 s45, s41
                                        ; implicit-def: $sgpr27
                                        ; implicit-def: $sgpr43
                                        ; implicit-def: $sgpr42
	s_cbranch_scc0 .LBB35_16
; %bb.15:                               ;   in Loop: Header=BB35_13 Depth=2
	s_add_i32 s27, s40, s29
	s_lshl_b32 s42, s39, 2
	s_mul_i32 s27, s27, s37
	s_delay_alu instid0(SALU_CYCLE_1)
	v_dual_mov_b32 v3, s42 :: v_dual_mov_b32 v4, s27
	s_mul_i32 s42, s26, s37
	s_add_i32 s43, s26, 1
	v_mov_b32_e32 v5, s42
	s_add_i32 s42, s40, 1
	s_add_i32 s27, s39, 1
	s_mov_b32 s44, 0
	ds_store_2addr_stride64_b32 v3, v5, v4 offset0:9 offset1:11
.LBB35_16:                              ;   in Loop: Header=BB35_13 Depth=2
	s_and_not1_b32 vcc_lo, exec_lo, s44
	s_cbranch_vccnz .LBB35_18
; %bb.17:                               ;   in Loop: Header=BB35_13 Depth=2
	s_add_i32 s42, s40, 1
	s_mov_b32 s27, s39
	s_mov_b32 s43, s26
.LBB35_18:                              ;   in Loop: Header=BB35_13 Depth=2
	s_mov_b32 s44, 0
.LBB35_19:                              ;   in Loop: Header=BB35_13 Depth=2
	s_delay_alu instid0(SALU_CYCLE_1)
	s_and_not1_b32 vcc_lo, exec_lo, s44
	s_cbranch_vccnz .LBB35_21
; %bb.20:                               ;   in Loop: Header=BB35_13 Depth=2
	s_add_i32 s43, s26, 1
	s_mov_b32 s42, s40
	s_mov_b32 s27, s39
.LBB35_21:                              ;   in Loop: Header=BB35_13 Depth=2
	s_cmp_le_i32 s43, s25
	s_cselect_b32 s26, -1, 0
	s_cmp_le_i32 s41, s24
	s_cselect_b32 s39, -1, 0
	s_delay_alu instid0(SALU_CYCLE_1) | instskip(NEXT) | instid1(SALU_CYCLE_1)
	s_and_b32 s26, s26, s39
	s_and_b32 vcc_lo, exec_lo, s26
	s_cbranch_vccz .LBB35_23
; %bb.22:                               ;   in Loop: Header=BB35_13 Depth=2
	s_mov_b32 s39, s27
	s_mov_b32 s26, s43
	s_mov_b32 s40, s42
	s_branch .LBB35_13
.LBB35_23:                              ;   in Loop: Header=BB35_8 Depth=1
	s_add_u32 s22, s6, s22
	s_addc_u32 s23, s7, s23
	s_waitcnt lgkmcnt(0)
	buffer_gl0_inv
.LBB35_24:                              ;   Parent Loop BB35_8 Depth=1
                                        ; =>  This Inner Loop Header: Depth=2
	global_load_b32 v3, v0, s[22:23] glc
	s_waitcnt vmcnt(0)
	v_cmp_eq_u32_e32 vcc_lo, 0, v3
	s_cbranch_vccnz .LBB35_24
; %bb.25:                               ;   in Loop: Header=BB35_8 Depth=1
	v_mov_b32_e32 v8, 0
	v_mov_b32_e32 v9, 0
	s_delay_alu instid0(VALU_DEP_2)
	v_mov_b32_e32 v3, v8
	buffer_gl1_inv
	buffer_gl0_inv
	v_mov_b32_e32 v4, v9
	s_and_saveexec_b32 s22, s33
	s_cbranch_execz .LBB35_27
; %bb.26:                               ;   in Loop: Header=BB35_8 Depth=1
	v_mad_u64_u32 v[3:4], null, s25, s3, v[2:3]
	s_delay_alu instid0(VALU_DEP_1) | instskip(NEXT) | instid1(VALU_DEP_1)
	v_mad_u64_u32 v[4:5], null, v3, s3, v[1:2]
	v_ashrrev_i32_e32 v5, 31, v4
	s_delay_alu instid0(VALU_DEP_1) | instskip(NEXT) | instid1(VALU_DEP_1)
	v_lshlrev_b64 v[3:4], 3, v[4:5]
	v_add_co_u32 v3, vcc_lo, s18, v3
	s_delay_alu instid0(VALU_DEP_2)
	v_add_co_ci_u32_e32 v4, vcc_lo, s19, v4, vcc_lo
	global_load_b64 v[3:4], v[3:4], off
.LBB35_27:                              ;   in Loop: Header=BB35_8 Depth=1
	s_or_b32 exec_lo, exec_lo, s22
	s_cmp_lt_i32 s27, 2
	s_waitcnt vmcnt(0)
	ds_store_b64 v15, v[3:4]
	s_waitcnt lgkmcnt(0)
	buffer_gl0_inv
	s_cbranch_scc1 .LBB35_46
; %bb.28:                               ;   in Loop: Header=BB35_8 Depth=1
	v_mov_b32_e32 v3, 0
	v_mov_b32_e32 v4, 0
	s_add_i32 s22, s27, -2
	s_mov_b32 s23, 0
	s_and_not1_b32 vcc_lo, exec_lo, s34
	s_cbranch_vccnz .LBB35_43
.LBB35_29:                              ;   in Loop: Header=BB35_8 Depth=1
	s_lshl_b32 s24, s23, 2
	s_delay_alu instid0(SALU_CYCLE_1)
	v_mov_b32_e32 v5, s24
	s_mov_b32 s24, 0
	ds_load_2addr_stride64_b32 v[6:7], v5 offset0:9 offset1:11
	s_waitcnt lgkmcnt(0)
	v_add_nc_u32_e32 v24, v7, v21
	v_add_nc_u32_e32 v23, v6, v20
	;; [unrolled: 1-line block ×4, first 2 shown]
	s_and_b32 vcc_lo, exec_lo, s31
	s_cbranch_vccz .LBB35_35
.LBB35_30:                              ;   in Loop: Header=BB35_8 Depth=1
	v_mov_b32_e32 v9, 0
	v_mov_b32_e32 v10, 0
	s_delay_alu instid0(VALU_DEP_1)
	v_dual_mov_b32 v12, v10 :: v_dual_mov_b32 v11, v9
	s_and_saveexec_b32 s25, s0
	s_cbranch_execz .LBB35_32
; %bb.31:                               ;   in Loop: Header=BB35_8 Depth=1
	v_ashrrev_i32_e32 v8, 31, v7
	s_delay_alu instid0(VALU_DEP_1) | instskip(NEXT) | instid1(VALU_DEP_1)
	v_lshlrev_b64 v[11:12], 3, v[7:8]
	v_add_co_u32 v11, vcc_lo, s18, v11
	s_delay_alu instid0(VALU_DEP_2)
	v_add_co_ci_u32_e32 v12, vcc_lo, s19, v12, vcc_lo
	global_load_b64 v[11:12], v[11:12], off
.LBB35_32:                              ;   in Loop: Header=BB35_8 Depth=1
	s_or_b32 exec_lo, exec_lo, s25
	s_and_saveexec_b32 s25, s1
	s_cbranch_execz .LBB35_34
; %bb.33:                               ;   in Loop: Header=BB35_8 Depth=1
	v_ashrrev_i32_e32 v6, 31, v5
	s_delay_alu instid0(VALU_DEP_1) | instskip(NEXT) | instid1(VALU_DEP_1)
	v_lshlrev_b64 v[8:9], 3, v[5:6]
	v_add_co_u32 v8, vcc_lo, s18, v8
	s_delay_alu instid0(VALU_DEP_2)
	v_add_co_ci_u32_e32 v9, vcc_lo, s19, v9, vcc_lo
	global_load_b64 v[9:10], v[8:9], off
.LBB35_34:                              ;   in Loop: Header=BB35_8 Depth=1
	s_or_b32 exec_lo, exec_lo, s25
	s_waitcnt vmcnt(0)
	v_fma_f64 v[8:9], v[11:12], v[9:10], v[3:4]
	s_branch .LBB35_41
.LBB35_35:                              ;   in Loop: Header=BB35_8 Depth=1
                                        ; implicit-def: $vgpr8_vgpr9
	s_cbranch_execz .LBB35_41
; %bb.36:                               ;   in Loop: Header=BB35_8 Depth=1
	v_mov_b32_e32 v8, 0
	v_mov_b32_e32 v9, 0
	s_delay_alu instid0(VALU_DEP_1)
	v_dual_mov_b32 v11, v9 :: v_dual_mov_b32 v10, v8
	s_and_saveexec_b32 s25, s0
	s_cbranch_execz .LBB35_38
; %bb.37:                               ;   in Loop: Header=BB35_8 Depth=1
	v_add_nc_u32_e32 v10, s24, v23
	s_delay_alu instid0(VALU_DEP_1) | instskip(NEXT) | instid1(VALU_DEP_1)
	v_ashrrev_i32_e32 v11, 31, v10
	v_lshlrev_b64 v[10:11], 3, v[10:11]
	s_delay_alu instid0(VALU_DEP_1) | instskip(NEXT) | instid1(VALU_DEP_2)
	v_add_co_u32 v10, vcc_lo, s18, v10
	v_add_co_ci_u32_e32 v11, vcc_lo, s19, v11, vcc_lo
	global_load_b64 v[10:11], v[10:11], off
.LBB35_38:                              ;   in Loop: Header=BB35_8 Depth=1
	s_or_b32 exec_lo, exec_lo, s25
	s_and_saveexec_b32 s25, s1
	s_cbranch_execz .LBB35_40
; %bb.39:                               ;   in Loop: Header=BB35_8 Depth=1
	v_add_nc_u32_e32 v8, s24, v24
	s_delay_alu instid0(VALU_DEP_1) | instskip(NEXT) | instid1(VALU_DEP_1)
	v_ashrrev_i32_e32 v9, 31, v8
	v_lshlrev_b64 v[8:9], 3, v[8:9]
	s_delay_alu instid0(VALU_DEP_1) | instskip(NEXT) | instid1(VALU_DEP_2)
	v_add_co_u32 v8, vcc_lo, s18, v8
	v_add_co_ci_u32_e32 v9, vcc_lo, s19, v9, vcc_lo
	global_load_b64 v[8:9], v[8:9], off
.LBB35_40:                              ;   in Loop: Header=BB35_8 Depth=1
	s_or_b32 exec_lo, exec_lo, s25
	s_waitcnt vmcnt(0)
	v_fma_f64 v[8:9], v[10:11], v[8:9], v[3:4]
.LBB35_41:                              ;   in Loop: Header=BB35_8 Depth=1
	v_add_nc_u32_e32 v5, s3, v5
	v_add_nc_u32_e32 v7, s3, v7
	s_add_i32 s24, s24, 1
	s_delay_alu instid0(SALU_CYCLE_1)
	s_cmp_eq_u32 s3, s24
	s_cbranch_scc1 .LBB35_44
; %bb.42:                               ;   in Loop: Header=BB35_8 Depth=1
	s_delay_alu instid0(VALU_DEP_3)
	v_dual_mov_b32 v3, v8 :: v_dual_mov_b32 v4, v9
	s_and_b32 vcc_lo, exec_lo, s31
	s_cbranch_vccz .LBB35_35
	s_branch .LBB35_30
.LBB35_43:                              ;   in Loop: Header=BB35_8 Depth=1
	v_dual_mov_b32 v9, v4 :: v_dual_mov_b32 v8, v3
.LBB35_44:                              ;   in Loop: Header=BB35_8 Depth=1
	s_add_i32 s24, s23, 1
	s_cmp_eq_u32 s23, s22
	s_cbranch_scc1 .LBB35_46
; %bb.45:                               ;   in Loop: Header=BB35_8 Depth=1
	s_delay_alu instid0(VALU_DEP_1)
	v_dual_mov_b32 v3, v8 :: v_dual_mov_b32 v4, v9
	s_mov_b32 s23, s24
	s_and_not1_b32 vcc_lo, exec_lo, s34
	s_cbranch_vccz .LBB35_29
	s_branch .LBB35_43
.LBB35_46:                              ;   in Loop: Header=BB35_8 Depth=1
	s_and_not1_b32 vcc_lo, exec_lo, s34
	ds_store_b64 v22, v[8:9]
	s_waitcnt lgkmcnt(0)
	buffer_gl0_inv
	s_cbranch_vccnz .LBB35_72
; %bb.47:                               ;   in Loop: Header=BB35_8 Depth=1
	s_and_not1_b32 vcc_lo, exec_lo, s35
	s_mov_b32 s24, 0
	s_cbranch_vccnz .LBB35_63
; %bb.48:                               ;   in Loop: Header=BB35_8 Depth=1
	s_mov_b32 s22, 0
	s_mov_b32 s23, 0
.LBB35_49:                              ;   Parent Loop BB35_8 Depth=1
                                        ; =>  This Loop Header: Depth=2
                                        ;       Child Loop BB35_55 Depth 3
                                        ;       Child Loop BB35_61 Depth 3
	s_delay_alu instid0(SALU_CYCLE_1) | instskip(SKIP_3) | instid1(SALU_CYCLE_1)
	s_lshl_b32 s25, s23, 3
	s_mul_i32 s24, s23, 0x48
	v_mad_u32_u24 v9, 0x48, v14, s25
	s_add_i32 s24, s25, s24
	v_mov_b32_e32 v3, s24
	ds_load_b64 v[5:6], v3
	ds_load_b64 v[3:4], v9 offset:1152
	s_waitcnt lgkmcnt(1)
	v_cmp_neq_f64_e32 vcc_lo, 0, v[5:6]
	v_cndmask_b32_e32 v6, 0x3ff00000, v6, vcc_lo
	v_cndmask_b32_e32 v5, 0, v5, vcc_lo
	s_or_b32 s25, vcc_lo, s2
	s_delay_alu instid0(SALU_CYCLE_1) | instskip(NEXT) | instid1(SALU_CYCLE_1)
	s_xor_b32 s26, s25, -1
	s_and_saveexec_b32 s25, s26
	s_cbranch_execz .LBB35_53
; %bb.50:                               ;   in Loop: Header=BB35_49 Depth=2
	v_mbcnt_lo_u32_b32 v5, exec_lo, 0
	s_mov_b32 s26, exec_lo
	s_delay_alu instid0(VALU_DEP_1)
	v_cmpx_eq_u32_e32 0, v5
	s_cbranch_execz .LBB35_52
; %bb.51:                               ;   in Loop: Header=BB35_49 Depth=2
	v_mov_b32_e32 v5, s21
	global_atomic_min_i32 v0, v5, s[10:11]
.LBB35_52:                              ;   in Loop: Header=BB35_49 Depth=2
	s_or_b32 exec_lo, exec_lo, s26
	v_mov_b32_e32 v5, 0
	v_mov_b32_e32 v6, 0x3ff00000
.LBB35_53:                              ;   in Loop: Header=BB35_49 Depth=2
	s_or_b32 exec_lo, exec_lo, s25
	v_mul_u32_u24_e32 v7, 0x48, v14
	s_cmp_eq_u32 s23, 0
	s_delay_alu instid0(VALU_DEP_1)
	v_lshl_add_u32 v10, s23, 3, v7
	ds_load_b64 v[7:8], v10 offset:576
	s_cbranch_scc1 .LBB35_56
; %bb.54:                               ;   in Loop: Header=BB35_49 Depth=2
	v_mov_b32_e32 v11, v18
	s_mov_b32 s25, 0
	s_mov_b32 s26, s22
.LBB35_55:                              ;   Parent Loop BB35_8 Depth=1
                                        ;     Parent Loop BB35_49 Depth=2
                                        ; =>    This Inner Loop Header: Depth=3
	s_delay_alu instid0(SALU_CYCLE_1)
	v_mov_b32_e32 v12, s26
	s_add_i32 s25, s25, 1
	s_add_i32 s26, s26, 8
	s_cmp_ge_u32 s25, s23
	ds_load_b64 v[23:24], v11
	ds_load_b64 v[25:26], v12
	v_add_nc_u32_e32 v11, 8, v11
	s_waitcnt lgkmcnt(0)
	v_fma_f64 v[7:8], v[25:26], v[23:24], v[7:8]
	s_cbranch_scc0 .LBB35_55
.LBB35_56:                              ;   in Loop: Header=BB35_49 Depth=2
	s_waitcnt lgkmcnt(0)
	s_delay_alu instid0(VALU_DEP_1) | instskip(SKIP_2) | instid1(VALU_DEP_3)
	v_add_f64 v[3:4], v[3:4], -v[7:8]
	v_add_nc_u32_e32 v9, 0x480, v9
	v_add_nc_u32_e32 v10, 0x240, v10
	v_div_scale_f64 v[7:8], null, v[5:6], v[5:6], v[3:4]
	v_div_scale_f64 v[25:26], vcc_lo, v[3:4], v[5:6], v[3:4]
	s_delay_alu instid0(VALU_DEP_2) | instskip(SKIP_2) | instid1(VALU_DEP_1)
	v_rcp_f64_e32 v[11:12], v[7:8]
	s_waitcnt_depctr 0xfff
	v_fma_f64 v[23:24], -v[7:8], v[11:12], 1.0
	v_fma_f64 v[11:12], v[11:12], v[23:24], v[11:12]
	s_delay_alu instid0(VALU_DEP_1) | instskip(NEXT) | instid1(VALU_DEP_1)
	v_fma_f64 v[23:24], -v[7:8], v[11:12], 1.0
	v_fma_f64 v[11:12], v[11:12], v[23:24], v[11:12]
	s_delay_alu instid0(VALU_DEP_1) | instskip(NEXT) | instid1(VALU_DEP_1)
	v_mul_f64 v[23:24], v[25:26], v[11:12]
	v_fma_f64 v[7:8], -v[7:8], v[23:24], v[25:26]
	s_delay_alu instid0(VALU_DEP_1) | instskip(NEXT) | instid1(VALU_DEP_1)
	v_div_fmas_f64 v[7:8], v[7:8], v[11:12], v[23:24]
	v_div_fixup_f64 v[3:4], v[7:8], v[5:6], v[3:4]
	v_mul_u32_u24_e32 v5, 0x48, v13
	s_delay_alu instid0(VALU_DEP_1)
	v_lshl_add_u32 v11, s23, 3, v5
	ds_store_b64 v9, v[3:4]
	s_waitcnt lgkmcnt(0)
	s_waitcnt_vscnt null, 0x0
	buffer_gl0_inv
	ds_load_b64 v[5:6], v11 offset:1152
	ds_load_b64 v[7:8], v16
	s_waitcnt lgkmcnt(0)
	v_fma_f64 v[3:4], v[3:4], v[5:6], v[7:8]
	v_mov_b32_e32 v5, s24
	ds_store_b64 v16, v[3:4]
	s_waitcnt lgkmcnt(0)
	buffer_gl0_inv
	ds_load_b64 v[5:6], v5 offset:80
	ds_load_b64 v[3:4], v9 offset:8
	s_waitcnt lgkmcnt(1)
	v_cmp_neq_f64_e32 vcc_lo, 0, v[5:6]
	v_cndmask_b32_e32 v6, 0x3ff00000, v6, vcc_lo
	v_cndmask_b32_e32 v5, 0, v5, vcc_lo
	s_or_b32 s24, vcc_lo, s2
	s_delay_alu instid0(SALU_CYCLE_1) | instskip(NEXT) | instid1(SALU_CYCLE_1)
	s_xor_b32 s25, s24, -1
	s_and_saveexec_b32 s24, s25
	s_cbranch_execz .LBB35_60
; %bb.57:                               ;   in Loop: Header=BB35_49 Depth=2
	v_mbcnt_lo_u32_b32 v5, exec_lo, 0
	s_mov_b32 s25, exec_lo
	s_delay_alu instid0(VALU_DEP_1)
	v_cmpx_eq_u32_e32 0, v5
	s_cbranch_execz .LBB35_59
; %bb.58:                               ;   in Loop: Header=BB35_49 Depth=2
	v_mov_b32_e32 v5, s21
	global_atomic_min_i32 v0, v5, s[10:11]
.LBB35_59:                              ;   in Loop: Header=BB35_49 Depth=2
	s_or_b32 exec_lo, exec_lo, s25
	v_mov_b32_e32 v5, 0
	v_mov_b32_e32 v6, 0x3ff00000
.LBB35_60:                              ;   in Loop: Header=BB35_49 Depth=2
	s_or_b32 exec_lo, exec_lo, s24
	ds_load_b64 v[7:8], v10 offset:8
	v_add_nc_u32_e32 v10, 0x480, v11
	s_mov_b32 s24, 0
	s_mov_b32 s25, -1
.LBB35_61:                              ;   Parent Loop BB35_8 Depth=1
                                        ;     Parent Loop BB35_49 Depth=2
                                        ; =>    This Inner Loop Header: Depth=3
	s_add_i32 s26, s22, s24
	v_add_nc_u32_e32 v11, s24, v18
	v_mov_b32_e32 v23, s26
	s_add_i32 s25, s25, 1
	s_add_i32 s24, s24, 8
	s_cmp_lt_u32 s25, s23
	ds_load_b64 v[11:12], v11
	ds_load_b64 v[23:24], v23 offset:72
	s_waitcnt lgkmcnt(0)
	v_fma_f64 v[7:8], v[23:24], v[11:12], v[7:8]
	s_cbranch_scc1 .LBB35_61
; %bb.62:                               ;   in Loop: Header=BB35_49 Depth=2
	s_delay_alu instid0(VALU_DEP_1) | instskip(SKIP_4) | instid1(VALU_DEP_1)
	v_add_f64 v[3:4], v[3:4], -v[7:8]
	s_add_i32 s23, s23, 2
	s_addk_i32 s22, 0x90
	s_mov_b32 s24, s36
	s_cmp_eq_u32 s23, s36
	v_div_scale_f64 v[7:8], null, v[5:6], v[5:6], v[3:4]
	v_div_scale_f64 v[25:26], vcc_lo, v[3:4], v[5:6], v[3:4]
	s_delay_alu instid0(VALU_DEP_2) | instskip(SKIP_2) | instid1(VALU_DEP_1)
	v_rcp_f64_e32 v[11:12], v[7:8]
	s_waitcnt_depctr 0xfff
	v_fma_f64 v[23:24], -v[7:8], v[11:12], 1.0
	v_fma_f64 v[11:12], v[11:12], v[23:24], v[11:12]
	s_delay_alu instid0(VALU_DEP_1) | instskip(NEXT) | instid1(VALU_DEP_1)
	v_fma_f64 v[23:24], -v[7:8], v[11:12], 1.0
	v_fma_f64 v[11:12], v[11:12], v[23:24], v[11:12]
	s_delay_alu instid0(VALU_DEP_1) | instskip(NEXT) | instid1(VALU_DEP_1)
	v_mul_f64 v[23:24], v[25:26], v[11:12]
	v_fma_f64 v[7:8], -v[7:8], v[23:24], v[25:26]
	s_delay_alu instid0(VALU_DEP_1) | instskip(NEXT) | instid1(VALU_DEP_1)
	v_div_fmas_f64 v[7:8], v[7:8], v[11:12], v[23:24]
	v_div_fixup_f64 v[3:4], v[7:8], v[5:6], v[3:4]
	ds_store_b64 v9, v[3:4] offset:8
	s_waitcnt lgkmcnt(0)
	s_waitcnt_vscnt null, 0x0
	buffer_gl0_inv
	ds_load_b64 v[5:6], v10 offset:8
	ds_load_b64 v[7:8], v16
	s_waitcnt lgkmcnt(0)
	v_fma_f64 v[3:4], v[3:4], v[5:6], v[7:8]
	ds_store_b64 v16, v[3:4]
	s_waitcnt lgkmcnt(0)
	buffer_gl0_inv
	s_cbranch_scc0 .LBB35_49
.LBB35_63:                              ;   in Loop: Header=BB35_8 Depth=1
	s_and_not1_b32 vcc_lo, exec_lo, s38
	s_cbranch_vccnz .LBB35_72
; %bb.64:                               ;   in Loop: Header=BB35_8 Depth=1
	s_lshl_b32 s23, s24, 3
	s_mul_i32 s22, s24, 0x48
	v_mad_u32_u24 v9, 0x48, v14, s23
	s_add_i32 s25, s23, s22
	s_delay_alu instid0(SALU_CYCLE_1)
	v_mov_b32_e32 v3, s25
	ds_load_b64 v[5:6], v3
	ds_load_b64 v[3:4], v9 offset:1152
	s_waitcnt lgkmcnt(1)
	v_cmp_neq_f64_e32 vcc_lo, 0, v[5:6]
	v_cndmask_b32_e32 v6, 0x3ff00000, v6, vcc_lo
	v_cndmask_b32_e32 v5, 0, v5, vcc_lo
	s_or_b32 s23, vcc_lo, s2
	s_delay_alu instid0(SALU_CYCLE_1) | instskip(NEXT) | instid1(SALU_CYCLE_1)
	s_xor_b32 s25, s23, -1
	s_and_saveexec_b32 s23, s25
	s_cbranch_execz .LBB35_68
; %bb.65:                               ;   in Loop: Header=BB35_8 Depth=1
	v_mbcnt_lo_u32_b32 v5, exec_lo, 0
	s_mov_b32 s25, exec_lo
	s_delay_alu instid0(VALU_DEP_1)
	v_cmpx_eq_u32_e32 0, v5
	s_cbranch_execz .LBB35_67
; %bb.66:                               ;   in Loop: Header=BB35_8 Depth=1
	v_mov_b32_e32 v5, s21
	global_atomic_min_i32 v0, v5, s[10:11]
.LBB35_67:                              ;   in Loop: Header=BB35_8 Depth=1
	s_or_b32 exec_lo, exec_lo, s25
	v_mov_b32_e32 v5, 0
	v_mov_b32_e32 v6, 0x3ff00000
.LBB35_68:                              ;   in Loop: Header=BB35_8 Depth=1
	s_or_b32 exec_lo, exec_lo, s23
	v_mul_u32_u24_e32 v7, 0x48, v14
	s_cmp_eq_u32 s24, 0
	s_delay_alu instid0(VALU_DEP_1)
	v_lshl_add_u32 v7, s24, 3, v7
	ds_load_b64 v[7:8], v7 offset:576
	s_cbranch_scc1 .LBB35_71
; %bb.69:                               ;   in Loop: Header=BB35_8 Depth=1
	v_mov_b32_e32 v10, v18
	s_mov_b32 s21, 0
.LBB35_70:                              ;   Parent Loop BB35_8 Depth=1
                                        ; =>  This Inner Loop Header: Depth=2
	v_mov_b32_e32 v23, s22
	s_add_i32 s21, s21, 1
	s_add_i32 s22, s22, 8
	s_cmp_lt_u32 s21, s24
	ds_load_b64 v[11:12], v10
	ds_load_b64 v[23:24], v23
	v_add_nc_u32_e32 v10, 8, v10
	s_waitcnt lgkmcnt(0)
	v_fma_f64 v[7:8], v[23:24], v[11:12], v[7:8]
	s_cbranch_scc1 .LBB35_70
.LBB35_71:                              ;   in Loop: Header=BB35_8 Depth=1
	s_waitcnt lgkmcnt(0)
	s_delay_alu instid0(VALU_DEP_1) | instskip(SKIP_1) | instid1(VALU_DEP_2)
	v_add_f64 v[3:4], v[3:4], -v[7:8]
	v_add_nc_u32_e32 v9, 0x480, v9
	v_div_scale_f64 v[7:8], null, v[5:6], v[5:6], v[3:4]
	v_div_scale_f64 v[25:26], vcc_lo, v[3:4], v[5:6], v[3:4]
	s_delay_alu instid0(VALU_DEP_2) | instskip(SKIP_2) | instid1(VALU_DEP_1)
	v_rcp_f64_e32 v[10:11], v[7:8]
	s_waitcnt_depctr 0xfff
	v_fma_f64 v[23:24], -v[7:8], v[10:11], 1.0
	v_fma_f64 v[10:11], v[10:11], v[23:24], v[10:11]
	s_delay_alu instid0(VALU_DEP_1) | instskip(NEXT) | instid1(VALU_DEP_1)
	v_fma_f64 v[23:24], -v[7:8], v[10:11], 1.0
	v_fma_f64 v[10:11], v[10:11], v[23:24], v[10:11]
	s_delay_alu instid0(VALU_DEP_1) | instskip(NEXT) | instid1(VALU_DEP_1)
	v_mul_f64 v[23:24], v[25:26], v[10:11]
	v_fma_f64 v[7:8], -v[7:8], v[23:24], v[25:26]
	s_delay_alu instid0(VALU_DEP_1) | instskip(NEXT) | instid1(VALU_DEP_1)
	v_div_fmas_f64 v[7:8], v[7:8], v[10:11], v[23:24]
	v_div_fixup_f64 v[3:4], v[7:8], v[5:6], v[3:4]
	v_mul_u32_u24_e32 v5, 0x48, v13
	s_delay_alu instid0(VALU_DEP_1)
	v_lshl_add_u32 v5, s24, 3, v5
	ds_store_b64 v9, v[3:4]
	s_waitcnt lgkmcnt(0)
	s_waitcnt_vscnt null, 0x0
	buffer_gl0_inv
	ds_load_b64 v[5:6], v5 offset:1152
	ds_load_b64 v[7:8], v16
	s_waitcnt lgkmcnt(0)
	v_fma_f64 v[3:4], v[3:4], v[5:6], v[7:8]
	ds_store_b64 v16, v[3:4]
	s_waitcnt lgkmcnt(0)
	buffer_gl0_inv
.LBB35_72:                              ;   in Loop: Header=BB35_8 Depth=1
	s_and_saveexec_b32 s21, s33
	s_cbranch_execz .LBB35_6
; %bb.73:                               ;   in Loop: Header=BB35_8 Depth=1
	v_mad_u64_u32 v[3:4], null, s20, s3, v[2:3]
	ds_load_b64 v[6:7], v19
	v_mad_u64_u32 v[4:5], null, v3, s3, v[1:2]
	s_delay_alu instid0(VALU_DEP_1) | instskip(NEXT) | instid1(VALU_DEP_1)
	v_ashrrev_i32_e32 v5, 31, v4
	v_lshlrev_b64 v[3:4], 3, v[4:5]
	s_delay_alu instid0(VALU_DEP_1) | instskip(NEXT) | instid1(VALU_DEP_2)
	v_add_co_u32 v3, vcc_lo, s18, v3
	v_add_co_ci_u32_e32 v4, vcc_lo, s19, v4, vcc_lo
	s_waitcnt lgkmcnt(0)
	global_store_b64 v[3:4], v[6:7], off
	s_branch .LBB35_6
.LBB35_74:
	v_max_i32_e32 v2, v13, v14
	v_mov_b32_e32 v0, 0
	v_mov_b32_e32 v1, 0
	s_cmp_eq_u32 s30, 0
	s_cselect_b32 s0, -1, 0
	v_cmp_gt_i32_e64 s1, s3, v2
	s_delay_alu instid0(VALU_DEP_1)
	s_and_saveexec_b32 s2, s1
	s_cbranch_execz .LBB35_76
; %bb.75:
	v_cndmask_b32_e64 v0, v13, v14, s0
	s_delay_alu instid0(VALU_DEP_1) | instskip(SKIP_1) | instid1(VALU_DEP_1)
	v_mad_u64_u32 v[1:2], null, s28, s3, v[0:1]
	v_cndmask_b32_e64 v0, v14, v13, s0
	v_mad_u64_u32 v[2:3], null, v1, s3, v[0:1]
	s_delay_alu instid0(VALU_DEP_1) | instskip(NEXT) | instid1(VALU_DEP_1)
	v_ashrrev_i32_e32 v3, 31, v2
	v_lshlrev_b64 v[0:1], 3, v[2:3]
	s_delay_alu instid0(VALU_DEP_1) | instskip(NEXT) | instid1(VALU_DEP_2)
	v_add_co_u32 v0, vcc_lo, s18, v0
	v_add_co_ci_u32_e32 v1, vcc_lo, s19, v1, vcc_lo
	global_load_b64 v[0:1], v[0:1], off
.LBB35_76:
	s_or_b32 exec_lo, exec_lo, s2
	s_movk_i32 s4, 0x480
	s_cmp_lt_i32 s3, 1
	s_waitcnt vmcnt(0)
	ds_store_b64 v15, v[0:1] offset:1152
	s_waitcnt lgkmcnt(0)
	buffer_gl0_inv
	s_cbranch_scc1 .LBB35_87
; %bb.77:
	v_or_b32_e32 v0, v13, v14
	v_mad_u32_u24 v2, 0x48, v14, s4
	v_mul_u32_u24_e32 v1, 0x48, v14
	v_mad_u32_u24 v5, 0x48, v13, s4
	s_mov_b32 s5, 0
	v_cmp_ne_u32_e64 s2, 0, v0
	v_dual_mov_b32 v6, 0 :: v_dual_add_nc_u32 v3, v2, v17
	v_add3_u32 v4, v1, v17, 0x6c0
	s_add_i32 s12, s16, s17
	s_branch .LBB35_79
.LBB35_78:                              ;   in Loop: Header=BB35_79 Depth=1
	s_or_b32 exec_lo, exec_lo, s13
	v_add_nc_u32_e32 v2, 8, v2
	v_add_nc_u32_e32 v5, 8, v5
	s_add_i32 s5, s5, 1
	s_addk_i32 s4, 0x50
	s_cmp_eq_u32 s3, s5
	s_waitcnt lgkmcnt(0)
	s_waitcnt_vscnt null, 0x0
	buffer_gl0_inv
	s_cbranch_scc1 .LBB35_87
.LBB35_79:                              ; =>This Inner Loop Header: Depth=1
	s_mov_b32 s13, exec_lo
	v_cmpx_eq_u32_e64 s5, v14
	s_cbranch_execz .LBB35_81
; %bb.80:                               ;   in Loop: Header=BB35_79 Depth=1
	ds_load_b64 v[0:1], v3
	ds_load_b64 v[7:8], v4
	s_waitcnt lgkmcnt(0)
	v_add_f64 v[0:1], v[0:1], -v[7:8]
	s_delay_alu instid0(VALU_DEP_1) | instskip(SKIP_1) | instid1(VALU_DEP_1)
	v_cmp_gt_f64_e32 vcc_lo, 0, v[0:1]
	v_xor_b32_e32 v7, 0x80000000, v1
	v_dual_cndmask_b32 v1, v1, v7 :: v_dual_cndmask_b32 v0, v0, v0
	s_delay_alu instid0(VALU_DEP_1) | instskip(SKIP_1) | instid1(VALU_DEP_1)
	v_cmp_gt_f64_e32 vcc_lo, 0x10000000, v[0:1]
	v_cndmask_b32_e64 v7, 0, 1, vcc_lo
	v_lshlrev_b32_e32 v7, 8, v7
	s_delay_alu instid0(VALU_DEP_1) | instskip(NEXT) | instid1(VALU_DEP_1)
	v_ldexp_f64 v[0:1], v[0:1], v7
	v_rsq_f64_e32 v[7:8], v[0:1]
	s_waitcnt_depctr 0xfff
	v_mul_f64 v[9:10], v[0:1], v[7:8]
	v_mul_f64 v[7:8], v[7:8], 0.5
	s_delay_alu instid0(VALU_DEP_1) | instskip(NEXT) | instid1(VALU_DEP_1)
	v_fma_f64 v[11:12], -v[7:8], v[9:10], 0.5
	v_fma_f64 v[9:10], v[9:10], v[11:12], v[9:10]
	v_fma_f64 v[7:8], v[7:8], v[11:12], v[7:8]
	s_delay_alu instid0(VALU_DEP_2) | instskip(NEXT) | instid1(VALU_DEP_1)
	v_fma_f64 v[11:12], -v[9:10], v[9:10], v[0:1]
	v_fma_f64 v[9:10], v[11:12], v[7:8], v[9:10]
	s_delay_alu instid0(VALU_DEP_1) | instskip(NEXT) | instid1(VALU_DEP_1)
	v_fma_f64 v[11:12], -v[9:10], v[9:10], v[0:1]
	v_fma_f64 v[7:8], v[11:12], v[7:8], v[9:10]
	v_cndmask_b32_e64 v9, 0, 0xffffff80, vcc_lo
	v_cmp_class_f64_e64 vcc_lo, v[0:1], 0x260
	s_delay_alu instid0(VALU_DEP_2) | instskip(NEXT) | instid1(VALU_DEP_1)
	v_ldexp_f64 v[7:8], v[7:8], v9
	v_dual_cndmask_b32 v1, v8, v1 :: v_dual_cndmask_b32 v0, v7, v0
	ds_store_b64 v3, v[0:1]
.LBB35_81:                              ;   in Loop: Header=BB35_79 Depth=1
	s_or_b32 exec_lo, exec_lo, s13
	v_mov_b32_e32 v0, s4
	s_waitcnt lgkmcnt(0)
	buffer_gl0_inv
	ds_load_b64 v[0:1], v0
	s_waitcnt lgkmcnt(0)
	v_cmp_neq_f64_e32 vcc_lo, 0, v[0:1]
	v_cndmask_b32_e32 v1, 0x3ff00000, v1, vcc_lo
	v_cndmask_b32_e32 v0, 0, v0, vcc_lo
	s_or_b32 s13, vcc_lo, s2
	s_delay_alu instid0(SALU_CYCLE_1) | instskip(NEXT) | instid1(SALU_CYCLE_1)
	s_xor_b32 s14, s13, -1
	s_and_saveexec_b32 s13, s14
	s_cbranch_execz .LBB35_85
; %bb.82:                               ;   in Loop: Header=BB35_79 Depth=1
	v_mbcnt_lo_u32_b32 v0, exec_lo, 0
	s_mov_b32 s14, exec_lo
	s_delay_alu instid0(VALU_DEP_1)
	v_cmpx_eq_u32_e32 0, v0
	s_cbranch_execz .LBB35_84
; %bb.83:                               ;   in Loop: Header=BB35_79 Depth=1
	v_mov_b32_e32 v0, s12
	global_atomic_min_i32 v6, v0, s[10:11]
.LBB35_84:                              ;   in Loop: Header=BB35_79 Depth=1
	s_or_b32 exec_lo, exec_lo, s14
	v_mov_b32_e32 v0, 0
	v_mov_b32_e32 v1, 0x3ff00000
.LBB35_85:                              ;   in Loop: Header=BB35_79 Depth=1
	s_or_b32 exec_lo, exec_lo, s13
	s_delay_alu instid0(SALU_CYCLE_1)
	s_mov_b32 s13, exec_lo
	v_cmpx_lt_u32_e64 s5, v14
	s_cbranch_execz .LBB35_78
; %bb.86:                               ;   in Loop: Header=BB35_79 Depth=1
	ds_load_2addr_b64 v[7:10], v2 offset1:72
	s_waitcnt lgkmcnt(0)
	v_add_f64 v[7:8], v[7:8], -v[9:10]
	s_delay_alu instid0(VALU_DEP_1) | instskip(SKIP_1) | instid1(VALU_DEP_2)
	v_div_scale_f64 v[9:10], null, v[0:1], v[0:1], v[7:8]
	v_div_scale_f64 v[19:20], vcc_lo, v[7:8], v[0:1], v[7:8]
	v_rcp_f64_e32 v[11:12], v[9:10]
	s_waitcnt_depctr 0xfff
	v_fma_f64 v[17:18], -v[9:10], v[11:12], 1.0
	s_delay_alu instid0(VALU_DEP_1) | instskip(NEXT) | instid1(VALU_DEP_1)
	v_fma_f64 v[11:12], v[11:12], v[17:18], v[11:12]
	v_fma_f64 v[17:18], -v[9:10], v[11:12], 1.0
	s_delay_alu instid0(VALU_DEP_1) | instskip(NEXT) | instid1(VALU_DEP_1)
	v_fma_f64 v[11:12], v[11:12], v[17:18], v[11:12]
	v_mul_f64 v[17:18], v[19:20], v[11:12]
	s_delay_alu instid0(VALU_DEP_1) | instskip(NEXT) | instid1(VALU_DEP_1)
	v_fma_f64 v[9:10], -v[9:10], v[17:18], v[19:20]
	v_div_fmas_f64 v[9:10], v[9:10], v[11:12], v[17:18]
	s_delay_alu instid0(VALU_DEP_1)
	v_div_fixup_f64 v[0:1], v[9:10], v[0:1], v[7:8]
	ds_store_b64 v2, v[0:1]
	s_waitcnt lgkmcnt(0)
	s_waitcnt_vscnt null, 0x0
	buffer_gl0_inv
	ds_load_b64 v[7:8], v5
	ds_load_b64 v[9:10], v16
	s_waitcnt lgkmcnt(0)
	v_fma_f64 v[0:1], v[0:1], v[7:8], v[9:10]
	ds_store_b64 v16, v[0:1]
	s_branch .LBB35_78
.LBB35_87:
	s_and_saveexec_b32 s2, s1
	s_cbranch_execz .LBB35_89
; %bb.88:
	v_cndmask_b32_e64 v0, v13, v14, s0
	s_delay_alu instid0(VALU_DEP_1) | instskip(SKIP_1) | instid1(VALU_DEP_1)
	v_mad_u64_u32 v[1:2], null, s28, s3, v[0:1]
	v_cndmask_b32_e64 v0, v14, v13, s0
	v_mad_u64_u32 v[2:3], null, v1, s3, v[0:1]
	v_add_nc_u32_e32 v0, 0x480, v15
	ds_load_b64 v[0:1], v0
	v_ashrrev_i32_e32 v3, 31, v2
	s_delay_alu instid0(VALU_DEP_1) | instskip(NEXT) | instid1(VALU_DEP_1)
	v_lshlrev_b64 v[2:3], 3, v[2:3]
	v_add_co_u32 v2, vcc_lo, s18, v2
	s_delay_alu instid0(VALU_DEP_2)
	v_add_co_ci_u32_e32 v3, vcc_lo, s19, v3, vcc_lo
	s_waitcnt lgkmcnt(0)
	global_store_b64 v[2:3], v[0:1], off
.LBB35_89:
	s_or_b32 exec_lo, exec_lo, s2
	v_or_b32_e32 v0, v13, v14
	s_delay_alu instid0(VALU_DEP_1)
	v_cmp_eq_u32_e64 s3, 0, v0
.LBB35_90:
	s_delay_alu instid0(VALU_DEP_1)
	s_and_saveexec_b32 s0, s3
	s_cbranch_execnz .LBB35_98
.LBB35_91:
	s_nop 0
	s_sendmsg sendmsg(MSG_DEALLOC_VGPRS)
	s_endpgm
.LBB35_92:
	s_cbranch_execz .LBB35_90
; %bb.93:
	v_or_b32_e32 v0, v13, v14
	s_mov_b32 s0, exec_lo
	s_delay_alu instid0(VALU_DEP_1)
	v_cmpx_eq_u32_e32 0, v0
	s_cbranch_execz .LBB35_97
; %bb.94:
	v_mbcnt_lo_u32_b32 v0, exec_lo, 0
	s_mov_b32 s1, exec_lo
	s_delay_alu instid0(VALU_DEP_1)
	v_cmpx_eq_u32_e32 0, v0
	s_cbranch_execz .LBB35_96
; %bb.95:
	s_add_i32 s2, s16, s17
	s_delay_alu instid0(SALU_CYCLE_1)
	v_dual_mov_b32 v0, 0 :: v_dual_mov_b32 v1, s2
	global_atomic_min_i32 v0, v1, s[10:11]
.LBB35_96:
	s_or_b32 exec_lo, exec_lo, s1
	s_delay_alu instid0(SALU_CYCLE_1)
	s_or_b32 s3, s3, exec_lo
.LBB35_97:
	s_or_b32 exec_lo, exec_lo, s0
	s_and_saveexec_b32 s0, s3
	s_cbranch_execz .LBB35_91
.LBB35_98:
	v_dual_mov_b32 v0, 0 :: v_dual_mov_b32 v1, 1
	s_add_u32 s0, s6, s8
	s_addc_u32 s1, s7, s9
	s_waitcnt_vscnt null, 0x0
	global_store_b32 v0, v1, s[0:1]
	s_nop 0
	s_sendmsg sendmsg(MSG_DEALLOC_VGPRS)
	s_endpgm
	.section	.rodata,"a",@progbits
	.p2align	6, 0x0
	.amdhsa_kernel _ZN9rocsparseL17bsric0_2_8_kernelILi64ELi128ELi8EdEEv20rocsparse_direction_iiPKiS3_PT2_S3_PiS3_S6_21rocsparse_index_base_
		.amdhsa_group_segment_fixed_size 3840
		.amdhsa_private_segment_fixed_size 0
		.amdhsa_kernarg_size 76
		.amdhsa_user_sgpr_count 15
		.amdhsa_user_sgpr_dispatch_ptr 0
		.amdhsa_user_sgpr_queue_ptr 0
		.amdhsa_user_sgpr_kernarg_segment_ptr 1
		.amdhsa_user_sgpr_dispatch_id 0
		.amdhsa_user_sgpr_private_segment_size 0
		.amdhsa_wavefront_size32 1
		.amdhsa_uses_dynamic_stack 0
		.amdhsa_enable_private_segment 0
		.amdhsa_system_sgpr_workgroup_id_x 1
		.amdhsa_system_sgpr_workgroup_id_y 0
		.amdhsa_system_sgpr_workgroup_id_z 0
		.amdhsa_system_sgpr_workgroup_info 0
		.amdhsa_system_vgpr_workitem_id 1
		.amdhsa_next_free_vgpr 27
		.amdhsa_next_free_sgpr 46
		.amdhsa_reserve_vcc 1
		.amdhsa_float_round_mode_32 0
		.amdhsa_float_round_mode_16_64 0
		.amdhsa_float_denorm_mode_32 3
		.amdhsa_float_denorm_mode_16_64 3
		.amdhsa_dx10_clamp 1
		.amdhsa_ieee_mode 1
		.amdhsa_fp16_overflow 0
		.amdhsa_workgroup_processor_mode 1
		.amdhsa_memory_ordered 1
		.amdhsa_forward_progress 0
		.amdhsa_shared_vgpr_count 0
		.amdhsa_exception_fp_ieee_invalid_op 0
		.amdhsa_exception_fp_denorm_src 0
		.amdhsa_exception_fp_ieee_div_zero 0
		.amdhsa_exception_fp_ieee_overflow 0
		.amdhsa_exception_fp_ieee_underflow 0
		.amdhsa_exception_fp_ieee_inexact 0
		.amdhsa_exception_int_div_zero 0
	.end_amdhsa_kernel
	.section	.text._ZN9rocsparseL17bsric0_2_8_kernelILi64ELi128ELi8EdEEv20rocsparse_direction_iiPKiS3_PT2_S3_PiS3_S6_21rocsparse_index_base_,"axG",@progbits,_ZN9rocsparseL17bsric0_2_8_kernelILi64ELi128ELi8EdEEv20rocsparse_direction_iiPKiS3_PT2_S3_PiS3_S6_21rocsparse_index_base_,comdat
.Lfunc_end35:
	.size	_ZN9rocsparseL17bsric0_2_8_kernelILi64ELi128ELi8EdEEv20rocsparse_direction_iiPKiS3_PT2_S3_PiS3_S6_21rocsparse_index_base_, .Lfunc_end35-_ZN9rocsparseL17bsric0_2_8_kernelILi64ELi128ELi8EdEEv20rocsparse_direction_iiPKiS3_PT2_S3_PiS3_S6_21rocsparse_index_base_
                                        ; -- End function
	.section	.AMDGPU.csdata,"",@progbits
; Kernel info:
; codeLenInByte = 4356
; NumSgprs: 48
; NumVgprs: 27
; ScratchSize: 0
; MemoryBound: 0
; FloatMode: 240
; IeeeMode: 1
; LDSByteSize: 3840 bytes/workgroup (compile time only)
; SGPRBlocks: 5
; VGPRBlocks: 3
; NumSGPRsForWavesPerEU: 48
; NumVGPRsForWavesPerEU: 27
; Occupancy: 16
; WaveLimiterHint : 1
; COMPUTE_PGM_RSRC2:SCRATCH_EN: 0
; COMPUTE_PGM_RSRC2:USER_SGPR: 15
; COMPUTE_PGM_RSRC2:TRAP_HANDLER: 0
; COMPUTE_PGM_RSRC2:TGID_X_EN: 1
; COMPUTE_PGM_RSRC2:TGID_Y_EN: 0
; COMPUTE_PGM_RSRC2:TGID_Z_EN: 0
; COMPUTE_PGM_RSRC2:TIDIG_COMP_CNT: 1
	.section	.text._ZN9rocsparseL18bsric0_9_16_kernelILi64ELi128ELi16EdEEv20rocsparse_direction_iiPKiS3_PT2_S3_PiS3_S6_21rocsparse_index_base_,"axG",@progbits,_ZN9rocsparseL18bsric0_9_16_kernelILi64ELi128ELi16EdEEv20rocsparse_direction_iiPKiS3_PT2_S3_PiS3_S6_21rocsparse_index_base_,comdat
	.globl	_ZN9rocsparseL18bsric0_9_16_kernelILi64ELi128ELi16EdEEv20rocsparse_direction_iiPKiS3_PT2_S3_PiS3_S6_21rocsparse_index_base_ ; -- Begin function _ZN9rocsparseL18bsric0_9_16_kernelILi64ELi128ELi16EdEEv20rocsparse_direction_iiPKiS3_PT2_S3_PiS3_S6_21rocsparse_index_base_
	.p2align	8
	.type	_ZN9rocsparseL18bsric0_9_16_kernelILi64ELi128ELi16EdEEv20rocsparse_direction_iiPKiS3_PT2_S3_PiS3_S6_21rocsparse_index_base_,@function
_ZN9rocsparseL18bsric0_9_16_kernelILi64ELi128ELi16EdEEv20rocsparse_direction_iiPKiS3_PT2_S3_PiS3_S6_21rocsparse_index_base_: ; @_ZN9rocsparseL18bsric0_9_16_kernelILi64ELi128ELi16EdEEv20rocsparse_direction_iiPKiS3_PT2_S3_PiS3_S6_21rocsparse_index_base_
; %bb.0:
	s_load_b256 s[4:11], s[0:1], 0x28
	s_mov_b32 s2, s15
	s_mov_b32 s3, 0
	v_and_b32_e32 v12, 0x3ff, v0
	s_lshl_b64 s[12:13], s[2:3], 2
	v_bfe_u32 v0, v0, 10, 10
	s_waitcnt lgkmcnt(0)
	s_add_u32 s8, s8, s12
	s_addc_u32 s9, s9, s13
	s_load_b32 s16, s[8:9], 0x0
	s_waitcnt lgkmcnt(0)
	s_ashr_i32 s17, s16, 31
	s_delay_alu instid0(SALU_CYCLE_1) | instskip(NEXT) | instid1(SALU_CYCLE_1)
	s_lshl_b64 s[8:9], s[16:17], 2
	s_add_u32 s12, s4, s8
	s_addc_u32 s13, s5, s9
	s_load_b32 s28, s[12:13], 0x0
	s_load_b32 s17, s[0:1], 0x48
	s_waitcnt lgkmcnt(0)
	s_cmp_lg_u32 s28, -1
	s_cbranch_scc0 .LBB36_131
; %bb.1:
	s_clause 0x1
	s_load_b128 s[12:15], s[0:1], 0x10
	s_load_b64 s[18:19], s[0:1], 0x20
	v_lshlrev_b32_e32 v1, 2, v0
	s_waitcnt lgkmcnt(0)
	s_add_u32 s2, s12, s8
	s_addc_u32 s3, s13, s9
	s_load_b32 s2, s[2:3], 0x0
	s_waitcnt lgkmcnt(0)
	s_sub_i32 s3, s2, s17
	s_mov_b32 s2, exec_lo
	v_add3_u32 v1, v1, v12, s3
	s_delay_alu instid0(VALU_DEP_1)
	v_cmpx_ge_i32_e64 s28, v1
	s_cbranch_execz .LBB36_4
; %bb.2:
	v_lshlrev_b32_e32 v2, 4, v0
	v_lshlrev_b32_e32 v3, 2, v12
	s_mov_b32 s20, 0
	s_delay_alu instid0(VALU_DEP_1)
	v_add3_u32 v3, v2, v3, 0x2600
	.p2align	6
.LBB36_3:                               ; =>This Inner Loop Header: Depth=1
	v_ashrrev_i32_e32 v2, 31, v1
	s_delay_alu instid0(VALU_DEP_1) | instskip(SKIP_1) | instid1(VALU_DEP_2)
	v_lshlrev_b64 v[4:5], 2, v[1:2]
	v_add_nc_u32_e32 v1, 64, v1
	v_add_co_u32 v4, vcc_lo, s14, v4
	s_delay_alu instid0(VALU_DEP_3) | instskip(NEXT) | instid1(VALU_DEP_3)
	v_add_co_ci_u32_e32 v5, vcc_lo, s15, v5, vcc_lo
	v_cmp_lt_i32_e32 vcc_lo, s28, v1
	global_load_b32 v2, v[4:5], off
	s_or_b32 s20, vcc_lo, s20
	s_waitcnt vmcnt(0)
	v_subrev_nc_u32_e32 v2, s17, v2
	ds_store_b32 v3, v2
	v_add_nc_u32_e32 v3, 0x100, v3
	s_and_not1_b32 exec_lo, exec_lo, s20
	s_cbranch_execnz .LBB36_3
.LBB36_4:
	s_or_b32 exec_lo, exec_lo, s2
	v_mul_u32_u24_e32 v13, 0x88, v0
	v_lshlrev_b32_e32 v14, 3, v12
	s_mov_b32 s2, exec_lo
	v_cmpx_gt_u32_e32 16, v12
	s_cbranch_execz .LBB36_7
; %bb.5:
	v_mov_b32_e32 v1, 0
	v_add_nc_u32_e32 v3, -4, v12
	v_add3_u32 v4, v13, v14, 0x1980
	s_mov_b32 s20, 0
	s_delay_alu instid0(VALU_DEP_3)
	v_mov_b32_e32 v2, v1
.LBB36_6:                               ; =>This Inner Loop Header: Depth=1
	s_delay_alu instid0(VALU_DEP_3) | instskip(SKIP_4) | instid1(SALU_CYCLE_1)
	v_add_nc_u32_e32 v3, 4, v3
	ds_store_b64 v4, v[1:2]
	v_add_nc_u32_e32 v4, 32, v4
	v_cmp_lt_u32_e32 vcc_lo, 11, v3
	s_or_b32 s20, vcc_lo, s20
	s_and_not1_b32 exec_lo, exec_lo, s20
	s_cbranch_execnz .LBB36_6
.LBB36_7:
	s_or_b32 exec_lo, exec_lo, s2
	s_clause 0x1
	s_load_b32 s29, s[0:1], 0x8
	s_load_b32 s30, s[0:1], 0x0
	s_cmp_ge_i32 s3, s28
	s_waitcnt lgkmcnt(0)
	buffer_gl0_inv
	v_cmp_gt_i32_e64 s0, s29, v12
	s_cbranch_scc1 .LBB36_92
; %bb.8:
	v_mad_u64_u32 v[1:2], null, s29, s3, v[0:1]
	v_or_b32_e32 v2, v12, v0
	v_mad_u32_u24 v15, 0x88, v0, v14
	v_mul_lo_u32 v16, v0, s29
	v_mul_lo_u32 v18, v12, s29
	s_movk_i32 s20, 0x1100
	s_cmp_lg_u32 s30, 0
	v_mul_lo_u32 v20, s29, v1
	v_cmp_gt_i32_e64 s1, s29, v0
	v_cmp_ne_u32_e64 s2, 0, v2
	v_add_nc_u32_e32 v17, 0x880, v15
	v_mad_u32_u24 v19, 0x88, v0, s20
	v_mad_u32_u24 v21, 0x88, v12, s20
	v_dual_mov_b32 v1, 0 :: v_dual_add_nc_u32 v22, 0x1980, v15
	v_add_nc_u32_e32 v23, 0x1100, v15
	s_cselect_b32 s31, -1, 0
	s_cmp_gt_i32 s29, 0
	s_mul_i32 s34, s29, s29
	s_cselect_b32 s33, -1, 0
	s_lshl_b32 s35, s29, 2
	s_mov_b32 s20, s3
	s_branch .LBB36_10
.LBB36_9:                               ;   in Loop: Header=BB36_10 Depth=1
	s_set_inst_prefetch_distance 0x2
	s_or_b32 exec_lo, exec_lo, s22
	s_add_i32 s20, s20, 1
	v_add_nc_u32_e32 v20, s34, v20
	s_cmp_ge_i32 s20, s28
	s_waitcnt_vscnt null, 0x0
	buffer_gl1_inv
	buffer_gl0_inv
	s_cselect_b32 s21, -1, 0
	s_delay_alu instid0(SALU_CYCLE_1)
	s_and_b32 vcc_lo, exec_lo, s21
	s_cbranch_vccnz .LBB36_92
.LBB36_10:                              ; =>This Loop Header: Depth=1
                                        ;     Child Loop BB36_14 Depth 2
                                        ;     Child Loop BB36_27 Depth 2
                                        ;     Child Loop BB36_38 Depth 2
                                        ;     Child Loop BB36_42 Depth 2
                                        ;     Child Loop BB36_56 Depth 2
                                        ;       Child Loop BB36_59 Depth 3
                                        ;     Child Loop BB36_72 Depth 2
                                        ;       Child Loop BB36_78 Depth 3
                                        ;       Child Loop BB36_81 Depth 3
                                        ;     Child Loop BB36_86 Depth 2
	s_ashr_i32 s21, s20, 31
	s_delay_alu instid0(SALU_CYCLE_1) | instskip(NEXT) | instid1(SALU_CYCLE_1)
	s_lshl_b64 s[22:23], s[20:21], 2
	s_add_u32 s22, s14, s22
	s_addc_u32 s23, s15, s23
	s_load_b32 s36, s[22:23], 0x0
	s_waitcnt lgkmcnt(0)
	s_sub_i32 s24, s36, s17
	s_delay_alu instid0(SALU_CYCLE_1) | instskip(NEXT) | instid1(SALU_CYCLE_1)
	s_ashr_i32 s25, s24, 31
	s_lshl_b64 s[22:23], s[24:25], 2
	s_delay_alu instid0(SALU_CYCLE_1)
	s_add_u32 s26, s4, s22
	s_addc_u32 s27, s5, s23
	s_load_b32 s25, s[26:27], 0x0
	s_waitcnt lgkmcnt(0)
	s_cmp_eq_u32 s25, -1
	s_cbranch_scc1 .LBB36_91
; %bb.11:                               ;   in Loop: Header=BB36_10 Depth=1
	s_add_u32 s26, s12, s22
	s_addc_u32 s27, s13, s23
	s_mul_i32 s21, s20, s29
	s_load_b32 s37, s[26:27], 0x0
	s_and_saveexec_b32 s38, s0
	s_cbranch_execz .LBB36_24
; %bb.12:                               ;   in Loop: Header=BB36_10 Depth=1
	v_dual_mov_b32 v5, v17 :: v_dual_mov_b32 v6, v12
	s_mov_b32 s39, 0
	s_branch .LBB36_14
.LBB36_13:                              ;   in Loop: Header=BB36_14 Depth=2
	s_or_b32 exec_lo, exec_lo, s26
	v_add_nc_u32_e32 v6, 4, v6
	v_mov_b32_e32 v2, v1
	s_waitcnt vmcnt(0)
	ds_store_b64 v5, v[3:4] offset:2176
	ds_store_b64 v5, v[1:2]
	v_add_nc_u32_e32 v5, 32, v5
	v_cmp_le_i32_e32 vcc_lo, s29, v6
	s_or_b32 s39, vcc_lo, s39
	s_delay_alu instid0(SALU_CYCLE_1)
	s_and_not1_b32 exec_lo, exec_lo, s39
	s_cbranch_execz .LBB36_24
.LBB36_14:                              ;   Parent Loop BB36_10 Depth=1
                                        ; =>  This Inner Loop Header: Depth=2
	s_and_b32 vcc_lo, exec_lo, s31
	s_cbranch_vccz .LBB36_19
; %bb.15:                               ;   in Loop: Header=BB36_14 Depth=2
	s_mov_b32 s41, 0
	s_mov_b32 s40, 0
                                        ; implicit-def: $vgpr2
	s_and_saveexec_b32 s26, s1
	s_delay_alu instid0(SALU_CYCLE_1)
	s_xor_b32 s26, exec_lo, s26
; %bb.16:                               ;   in Loop: Header=BB36_14 Depth=2
	v_add_nc_u32_e32 v4, s21, v6
	s_mov_b32 s40, exec_lo
	s_delay_alu instid0(VALU_DEP_1)
	v_mad_u64_u32 v[2:3], null, v4, s29, v[0:1]
; %bb.17:                               ;   in Loop: Header=BB36_14 Depth=2
	s_or_b32 exec_lo, exec_lo, s26
	s_mov_b64 s[26:27], 0
	s_and_b32 vcc_lo, exec_lo, s41
	s_cbranch_vccnz .LBB36_20
.LBB36_18:                              ;   in Loop: Header=BB36_14 Depth=2
	v_dual_mov_b32 v3, s26 :: v_dual_mov_b32 v4, s27
	s_and_saveexec_b32 s26, s40
	s_cbranch_execz .LBB36_13
	s_branch .LBB36_23
.LBB36_19:                              ;   in Loop: Header=BB36_14 Depth=2
	s_mov_b32 s40, 0
                                        ; implicit-def: $vgpr2
                                        ; implicit-def: $sgpr26_sgpr27
	s_cbranch_execz .LBB36_18
.LBB36_20:                              ;   in Loop: Header=BB36_14 Depth=2
                                        ; implicit-def: $vgpr2
	s_and_saveexec_b32 s26, s1
; %bb.21:                               ;   in Loop: Header=BB36_14 Depth=2
	v_add_nc_u32_e32 v2, v20, v6
	s_or_b32 s40, s40, exec_lo
; %bb.22:                               ;   in Loop: Header=BB36_14 Depth=2
	s_or_b32 exec_lo, exec_lo, s26
	s_mov_b64 s[26:27], 0
	s_delay_alu instid0(SALU_CYCLE_1)
	v_dual_mov_b32 v3, s26 :: v_dual_mov_b32 v4, s27
	s_and_saveexec_b32 s26, s40
	s_cbranch_execz .LBB36_13
.LBB36_23:                              ;   in Loop: Header=BB36_14 Depth=2
	v_ashrrev_i32_e32 v3, 31, v2
	s_delay_alu instid0(VALU_DEP_1) | instskip(NEXT) | instid1(VALU_DEP_1)
	v_lshlrev_b64 v[2:3], 3, v[2:3]
	v_add_co_u32 v2, vcc_lo, s18, v2
	s_delay_alu instid0(VALU_DEP_2)
	v_add_co_ci_u32_e32 v3, vcc_lo, s19, v3, vcc_lo
	global_load_b64 v[3:4], v[2:3], off
	s_branch .LBB36_13
.LBB36_24:                              ;   in Loop: Header=BB36_10 Depth=1
	s_or_b32 exec_lo, exec_lo, s38
; %bb.25:                               ;   in Loop: Header=BB36_10 Depth=1
	ds_load_b32 v2, v1 offset:9728
	s_waitcnt lgkmcnt(0)
	s_sub_i32 s26, s37, s17
	s_delay_alu instid0(SALU_CYCLE_1) | instskip(SKIP_3) | instid1(SALU_CYCLE_1)
	s_cmp_le_i32 s26, s25
	s_cselect_b32 s27, -1, 0
	v_cmp_ge_i32_e32 vcc_lo, s24, v2
	s_and_b32 s27, s27, vcc_lo
	s_and_not1_b32 vcc_lo, exec_lo, s27
	s_mov_b32 s27, 0
	s_cbranch_vccnz .LBB36_37
; %bb.26:                               ;   in Loop: Header=BB36_10 Depth=1
	s_mov_b32 s37, 0
	s_mov_b32 s38, 0
.LBB36_27:                              ;   Parent Loop BB36_10 Depth=1
                                        ; =>  This Inner Loop Header: Depth=2
	s_ashr_i32 s27, s26, 31
	s_mov_b32 s42, -1
	s_lshl_b64 s[40:41], s[26:27], 2
	s_delay_alu instid0(SALU_CYCLE_1) | instskip(SKIP_2) | instid1(SALU_CYCLE_1)
	s_add_u32 s40, s14, s40
	s_addc_u32 s41, s15, s41
	s_lshl_b32 s27, s38, 2
	v_mov_b32_e32 v2, s27
	s_load_b32 s27, s[40:41], 0x0
                                        ; implicit-def: $sgpr41
                                        ; implicit-def: $sgpr40
	ds_load_b32 v2, v2 offset:9728
	s_waitcnt lgkmcnt(0)
	s_sub_i32 s43, s27, s17
                                        ; implicit-def: $sgpr27
	s_delay_alu instid0(SALU_CYCLE_1)
	v_cmp_ge_i32_e32 vcc_lo, s43, v2
	v_readfirstlane_b32 s39, v2
	s_cbranch_vccz .LBB36_33
; %bb.28:                               ;   in Loop: Header=BB36_27 Depth=2
	s_delay_alu instid0(VALU_DEP_1)
	s_cmp_le_i32 s43, s39
                                        ; implicit-def: $sgpr27
                                        ; implicit-def: $sgpr41
                                        ; implicit-def: $sgpr40
	s_cbranch_scc0 .LBB36_30
; %bb.29:                               ;   in Loop: Header=BB36_27 Depth=2
	s_add_i32 s27, s38, s3
	s_lshl_b32 s40, s37, 2
	s_mul_i32 s27, s27, s34
	s_delay_alu instid0(SALU_CYCLE_1)
	v_dual_mov_b32 v2, s40 :: v_dual_mov_b32 v3, s27
	s_mul_i32 s40, s26, s34
	s_add_i32 s41, s26, 1
	v_mov_b32_e32 v4, s40
	s_add_i32 s40, s38, 1
	s_add_i32 s27, s37, 1
	s_mov_b32 s42, 0
	ds_store_2addr_stride64_b32 v2, v4, v3 offset0:34 offset1:36
.LBB36_30:                              ;   in Loop: Header=BB36_27 Depth=2
	s_and_not1_b32 vcc_lo, exec_lo, s42
	s_cbranch_vccnz .LBB36_32
; %bb.31:                               ;   in Loop: Header=BB36_27 Depth=2
	s_add_i32 s40, s38, 1
	s_mov_b32 s27, s37
	s_mov_b32 s41, s26
.LBB36_32:                              ;   in Loop: Header=BB36_27 Depth=2
	s_mov_b32 s42, 0
.LBB36_33:                              ;   in Loop: Header=BB36_27 Depth=2
	s_delay_alu instid0(SALU_CYCLE_1)
	s_and_not1_b32 vcc_lo, exec_lo, s42
	s_cbranch_vccnz .LBB36_35
; %bb.34:                               ;   in Loop: Header=BB36_27 Depth=2
	s_add_i32 s41, s26, 1
	s_mov_b32 s40, s38
	s_mov_b32 s27, s37
.LBB36_35:                              ;   in Loop: Header=BB36_27 Depth=2
	s_cmp_le_i32 s41, s25
	s_cselect_b32 s26, -1, 0
	s_cmp_le_i32 s39, s24
	s_cselect_b32 s37, -1, 0
	s_delay_alu instid0(SALU_CYCLE_1) | instskip(NEXT) | instid1(SALU_CYCLE_1)
	s_and_b32 s26, s26, s37
	s_and_b32 vcc_lo, exec_lo, s26
	s_cbranch_vccz .LBB36_37
; %bb.36:                               ;   in Loop: Header=BB36_27 Depth=2
	s_mov_b32 s37, s27
	s_mov_b32 s26, s41
	;; [unrolled: 1-line block ×3, first 2 shown]
	s_branch .LBB36_27
.LBB36_37:                              ;   in Loop: Header=BB36_10 Depth=1
	s_add_u32 s22, s6, s22
	s_addc_u32 s23, s7, s23
	s_waitcnt lgkmcnt(0)
	buffer_gl0_inv
.LBB36_38:                              ;   Parent Loop BB36_10 Depth=1
                                        ; =>  This Inner Loop Header: Depth=2
	global_load_b32 v2, v1, s[22:23] glc
	s_waitcnt vmcnt(0)
	v_cmp_eq_u32_e32 vcc_lo, 0, v2
	s_cbranch_vccnz .LBB36_38
; %bb.39:                               ;   in Loop: Header=BB36_10 Depth=1
	buffer_gl1_inv
	buffer_gl0_inv
	s_and_saveexec_b32 s24, s0
	s_cbranch_execz .LBB36_52
; %bb.40:                               ;   in Loop: Header=BB36_10 Depth=1
	s_mul_i32 s25, s25, s29
	v_mov_b32_e32 v6, v15
	v_dual_mov_b32 v7, v12 :: v_dual_add_nc_u32 v2, s25, v0
	s_mov_b32 s26, 0
	s_delay_alu instid0(VALU_DEP_1)
	v_mul_lo_u32 v5, v2, s29
	s_branch .LBB36_42
.LBB36_41:                              ;   in Loop: Header=BB36_42 Depth=2
	s_or_b32 exec_lo, exec_lo, s22
	v_add_nc_u32_e32 v7, 4, v7
	s_waitcnt vmcnt(0)
	ds_store_b64 v6, v[3:4]
	v_add_nc_u32_e32 v6, 32, v6
	v_cmp_le_i32_e32 vcc_lo, s29, v7
	s_or_b32 s26, vcc_lo, s26
	s_delay_alu instid0(SALU_CYCLE_1)
	s_and_not1_b32 exec_lo, exec_lo, s26
	s_cbranch_execz .LBB36_52
.LBB36_42:                              ;   Parent Loop BB36_10 Depth=1
                                        ; =>  This Inner Loop Header: Depth=2
	s_and_b32 vcc_lo, exec_lo, s31
	s_cbranch_vccz .LBB36_47
; %bb.43:                               ;   in Loop: Header=BB36_42 Depth=2
	s_mov_b32 s38, 0
	s_mov_b32 s37, 0
                                        ; implicit-def: $vgpr2
	s_and_saveexec_b32 s22, s1
	s_delay_alu instid0(SALU_CYCLE_1)
	s_xor_b32 s22, exec_lo, s22
; %bb.44:                               ;   in Loop: Header=BB36_42 Depth=2
	v_add_nc_u32_e32 v4, s25, v7
	s_mov_b32 s37, exec_lo
	s_delay_alu instid0(VALU_DEP_1)
	v_mad_u64_u32 v[2:3], null, v4, s29, v[0:1]
; %bb.45:                               ;   in Loop: Header=BB36_42 Depth=2
	s_or_b32 exec_lo, exec_lo, s22
	s_mov_b64 s[22:23], 0
	s_and_b32 vcc_lo, exec_lo, s38
	s_cbranch_vccnz .LBB36_48
.LBB36_46:                              ;   in Loop: Header=BB36_42 Depth=2
	v_dual_mov_b32 v3, s22 :: v_dual_mov_b32 v4, s23
	s_and_saveexec_b32 s22, s37
	s_cbranch_execz .LBB36_41
	s_branch .LBB36_51
.LBB36_47:                              ;   in Loop: Header=BB36_42 Depth=2
	s_mov_b32 s37, 0
                                        ; implicit-def: $vgpr2
                                        ; implicit-def: $sgpr22_sgpr23
	s_cbranch_execz .LBB36_46
.LBB36_48:                              ;   in Loop: Header=BB36_42 Depth=2
                                        ; implicit-def: $vgpr2
	s_and_saveexec_b32 s22, s1
; %bb.49:                               ;   in Loop: Header=BB36_42 Depth=2
	s_delay_alu instid0(VALU_DEP_1)
	v_add_nc_u32_e32 v2, v5, v7
	s_or_b32 s37, s37, exec_lo
; %bb.50:                               ;   in Loop: Header=BB36_42 Depth=2
	s_or_b32 exec_lo, exec_lo, s22
	s_mov_b64 s[22:23], 0
	s_delay_alu instid0(SALU_CYCLE_1)
	v_dual_mov_b32 v3, s22 :: v_dual_mov_b32 v4, s23
	s_and_saveexec_b32 s22, s37
	s_cbranch_execz .LBB36_41
.LBB36_51:                              ;   in Loop: Header=BB36_42 Depth=2
	v_ashrrev_i32_e32 v3, 31, v2
	s_delay_alu instid0(VALU_DEP_1) | instskip(NEXT) | instid1(VALU_DEP_1)
	v_lshlrev_b64 v[2:3], 3, v[2:3]
	v_add_co_u32 v2, vcc_lo, s18, v2
	s_delay_alu instid0(VALU_DEP_2)
	v_add_co_ci_u32_e32 v3, vcc_lo, s19, v3, vcc_lo
	global_load_b64 v[3:4], v[2:3], off
	s_branch .LBB36_41
.LBB36_52:                              ;   in Loop: Header=BB36_10 Depth=1
	s_or_b32 exec_lo, exec_lo, s24
; %bb.53:                               ;   in Loop: Header=BB36_10 Depth=1
	s_cmp_lt_i32 s27, 2
	s_cbranch_scc1 .LBB36_69
; %bb.54:                               ;   in Loop: Header=BB36_10 Depth=1
	s_add_i32 s22, s27, -2
	s_mov_b32 s23, 0
	s_branch .LBB36_56
.LBB36_55:                              ;   in Loop: Header=BB36_56 Depth=2
	s_or_b32 exec_lo, exec_lo, s24
	s_add_i32 s24, s23, 1
	s_cmp_eq_u32 s23, s22
	s_mov_b32 s23, s24
	s_cbranch_scc1 .LBB36_69
.LBB36_56:                              ;   Parent Loop BB36_10 Depth=1
                                        ; =>  This Loop Header: Depth=2
                                        ;       Child Loop BB36_59 Depth 3
	s_and_saveexec_b32 s24, s0
	s_cbranch_execz .LBB36_55
; %bb.57:                               ;   in Loop: Header=BB36_56 Depth=2
	s_lshl_b32 s25, s23, 2
	v_mov_b32_e32 v28, v12
	v_mov_b32_e32 v2, s25
	s_mov_b32 s25, 0
	ds_load_2addr_stride64_b32 v[2:3], v2 offset0:34 offset1:36
	s_waitcnt lgkmcnt(0)
	v_add_nc_u32_e32 v25, v0, v3
	v_add_nc_u32_e32 v24, v3, v16
	;; [unrolled: 1-line block ×4, first 2 shown]
	s_branch .LBB36_59
.LBB36_58:                              ;   in Loop: Header=BB36_59 Depth=3
	v_lshlrev_b32_e32 v2, 3, v28
	v_add_nc_u32_e32 v28, 4, v28
	v_add_nc_u32_e32 v26, 4, v26
	;; [unrolled: 1-line block ×3, first 2 shown]
	s_delay_alu instid0(VALU_DEP_4) | instskip(NEXT) | instid1(VALU_DEP_4)
	v_mad_u32_u24 v4, 0x88, v0, v2
	v_cmp_le_i32_e32 vcc_lo, s29, v28
	ds_load_b64 v[2:3], v4 offset:2176
	s_or_b32 s25, vcc_lo, s25
	s_waitcnt lgkmcnt(0)
	v_add_f64 v[2:3], v[8:9], v[2:3]
	ds_store_b64 v4, v[2:3] offset:2176
	s_and_not1_b32 exec_lo, exec_lo, s25
	s_cbranch_execz .LBB36_55
.LBB36_59:                              ;   Parent Loop BB36_10 Depth=1
                                        ;     Parent Loop BB36_56 Depth=2
                                        ; =>    This Inner Loop Header: Depth=3
	v_mov_b32_e32 v6, 0
	s_delay_alu instid0(VALU_DEP_3)
	v_dual_mov_b32 v7, 0 :: v_dual_mov_b32 v2, v26
	v_mov_b32_e32 v4, v25
	s_mov_b32 s26, 0
	s_and_b32 vcc_lo, exec_lo, s31
	s_cbranch_vccz .LBB36_63
.LBB36_60:                              ;   in Loop: Header=BB36_59 Depth=3
	v_ashrrev_i32_e32 v3, 31, v2
	v_mov_b32_e32 v10, 0
	v_mov_b32_e32 v11, 0
	s_delay_alu instid0(VALU_DEP_3) | instskip(NEXT) | instid1(VALU_DEP_1)
	v_lshlrev_b64 v[8:9], 3, v[2:3]
	v_add_co_u32 v8, vcc_lo, s18, v8
	s_delay_alu instid0(VALU_DEP_2)
	v_add_co_ci_u32_e32 v9, vcc_lo, s19, v9, vcc_lo
	global_load_b64 v[8:9], v[8:9], off
	s_and_saveexec_b32 s27, s1
	s_cbranch_execz .LBB36_62
; %bb.61:                               ;   in Loop: Header=BB36_59 Depth=3
	v_ashrrev_i32_e32 v5, 31, v4
	s_delay_alu instid0(VALU_DEP_1) | instskip(NEXT) | instid1(VALU_DEP_1)
	v_lshlrev_b64 v[10:11], 3, v[4:5]
	v_add_co_u32 v10, vcc_lo, s18, v10
	s_delay_alu instid0(VALU_DEP_2)
	v_add_co_ci_u32_e32 v11, vcc_lo, s19, v11, vcc_lo
	global_load_b64 v[10:11], v[10:11], off
.LBB36_62:                              ;   in Loop: Header=BB36_59 Depth=3
	s_or_b32 exec_lo, exec_lo, s27
	s_waitcnt vmcnt(0)
	v_fma_f64 v[8:9], v[8:9], v[10:11], v[6:7]
	s_branch .LBB36_67
.LBB36_63:                              ;   in Loop: Header=BB36_59 Depth=3
                                        ; implicit-def: $vgpr8_vgpr9
	s_cbranch_execz .LBB36_67
; %bb.64:                               ;   in Loop: Header=BB36_59 Depth=3
	v_add_nc_u32_e32 v8, s26, v27
	v_mov_b32_e32 v10, 0
	v_mov_b32_e32 v11, 0
	s_delay_alu instid0(VALU_DEP_3) | instskip(NEXT) | instid1(VALU_DEP_1)
	v_ashrrev_i32_e32 v9, 31, v8
	v_lshlrev_b64 v[8:9], 3, v[8:9]
	s_delay_alu instid0(VALU_DEP_1) | instskip(NEXT) | instid1(VALU_DEP_2)
	v_add_co_u32 v8, vcc_lo, s18, v8
	v_add_co_ci_u32_e32 v9, vcc_lo, s19, v9, vcc_lo
	global_load_b64 v[8:9], v[8:9], off
	s_and_saveexec_b32 s27, s1
	s_cbranch_execz .LBB36_66
; %bb.65:                               ;   in Loop: Header=BB36_59 Depth=3
	v_add_nc_u32_e32 v10, s26, v24
	s_delay_alu instid0(VALU_DEP_1) | instskip(NEXT) | instid1(VALU_DEP_1)
	v_ashrrev_i32_e32 v11, 31, v10
	v_lshlrev_b64 v[10:11], 3, v[10:11]
	s_delay_alu instid0(VALU_DEP_1) | instskip(NEXT) | instid1(VALU_DEP_2)
	v_add_co_u32 v10, vcc_lo, s18, v10
	v_add_co_ci_u32_e32 v11, vcc_lo, s19, v11, vcc_lo
	global_load_b64 v[10:11], v[10:11], off
.LBB36_66:                              ;   in Loop: Header=BB36_59 Depth=3
	s_or_b32 exec_lo, exec_lo, s27
	s_waitcnt vmcnt(0)
	v_fma_f64 v[8:9], v[8:9], v[10:11], v[6:7]
.LBB36_67:                              ;   in Loop: Header=BB36_59 Depth=3
	v_add_nc_u32_e32 v4, s29, v4
	v_add_nc_u32_e32 v2, s29, v2
	s_add_i32 s26, s26, 1
	s_delay_alu instid0(SALU_CYCLE_1)
	s_cmp_eq_u32 s29, s26
	s_cbranch_scc1 .LBB36_58
; %bb.68:                               ;   in Loop: Header=BB36_59 Depth=3
	s_delay_alu instid0(VALU_DEP_3)
	v_dual_mov_b32 v6, v8 :: v_dual_mov_b32 v7, v9
	s_and_b32 vcc_lo, exec_lo, s31
	s_cbranch_vccnz .LBB36_60
	s_branch .LBB36_63
.LBB36_69:                              ;   in Loop: Header=BB36_10 Depth=1
	s_and_not1_b32 vcc_lo, exec_lo, s33
	s_waitcnt lgkmcnt(0)
	buffer_gl0_inv
	s_cbranch_vccnz .LBB36_82
; %bb.70:                               ;   in Loop: Header=BB36_10 Depth=1
	v_mov_b32_e32 v8, v21
	s_mov_b32 s22, 0
	s_mov_b32 s23, 0
	s_branch .LBB36_72
.LBB36_71:                              ;   in Loop: Header=BB36_72 Depth=2
	s_or_b32 exec_lo, exec_lo, s24
	v_add_nc_u32_e32 v8, 8, v8
	s_add_i32 s23, s23, 1
	s_addk_i32 s22, 0x88
	s_cmp_eq_u32 s23, s29
	s_waitcnt lgkmcnt(0)
	buffer_gl0_inv
	s_cbranch_scc1 .LBB36_82
.LBB36_72:                              ;   Parent Loop BB36_10 Depth=1
                                        ; =>  This Loop Header: Depth=2
                                        ;       Child Loop BB36_78 Depth 3
                                        ;       Child Loop BB36_81 Depth 3
	s_lshl_b32 s24, s23, 3
	s_mul_i32 s25, s23, 0x88
	v_mad_u32_u24 v9, 0x88, v0, s24
	s_add_i32 s25, s24, s25
	s_delay_alu instid0(SALU_CYCLE_1)
	v_mov_b32_e32 v2, s25
	ds_load_b64 v[4:5], v2
	ds_load_b64 v[2:3], v9 offset:4352
	s_waitcnt lgkmcnt(1)
	v_cmp_neq_f64_e32 vcc_lo, 0, v[4:5]
	v_cndmask_b32_e32 v5, 0x3ff00000, v5, vcc_lo
	v_cndmask_b32_e32 v4, 0, v4, vcc_lo
	s_or_b32 s24, vcc_lo, s2
	s_delay_alu instid0(SALU_CYCLE_1) | instskip(NEXT) | instid1(SALU_CYCLE_1)
	s_xor_b32 s25, s24, -1
	s_and_saveexec_b32 s24, s25
	s_cbranch_execz .LBB36_76
; %bb.73:                               ;   in Loop: Header=BB36_72 Depth=2
	v_mbcnt_lo_u32_b32 v4, exec_lo, 0
	s_mov_b32 s25, exec_lo
	s_delay_alu instid0(VALU_DEP_1)
	v_cmpx_eq_u32_e32 0, v4
	s_cbranch_execz .LBB36_75
; %bb.74:                               ;   in Loop: Header=BB36_72 Depth=2
	v_mov_b32_e32 v4, s36
	global_atomic_min_i32 v1, v4, s[10:11]
.LBB36_75:                              ;   in Loop: Header=BB36_72 Depth=2
	s_or_b32 exec_lo, exec_lo, s25
	v_mov_b32_e32 v4, 0
	v_mov_b32_e32 v5, 0x3ff00000
.LBB36_76:                              ;   in Loop: Header=BB36_72 Depth=2
	s_or_b32 exec_lo, exec_lo, s24
	v_lshl_add_u32 v6, s23, 3, v13
	s_cmp_eq_u32 s23, 0
	ds_load_b64 v[6:7], v6 offset:2176
	s_cbranch_scc1 .LBB36_79
; %bb.77:                               ;   in Loop: Header=BB36_72 Depth=2
	v_mov_b32_e32 v10, v19
	s_mov_b32 s24, 0
	s_mov_b32 s25, s22
.LBB36_78:                              ;   Parent Loop BB36_10 Depth=1
                                        ;     Parent Loop BB36_72 Depth=2
                                        ; =>    This Inner Loop Header: Depth=3
	s_delay_alu instid0(SALU_CYCLE_1)
	v_mov_b32_e32 v11, s25
	s_add_i32 s24, s24, 1
	s_add_i32 s25, s25, 8
	s_cmp_ge_u32 s24, s23
	ds_load_b64 v[24:25], v10
	ds_load_b64 v[26:27], v11
	v_add_nc_u32_e32 v10, 8, v10
	s_waitcnt lgkmcnt(0)
	v_fma_f64 v[6:7], v[26:27], v[24:25], v[6:7]
	s_cbranch_scc0 .LBB36_78
.LBB36_79:                              ;   in Loop: Header=BB36_72 Depth=2
	s_waitcnt lgkmcnt(0)
	s_delay_alu instid0(VALU_DEP_1) | instskip(SKIP_1) | instid1(VALU_DEP_2)
	v_add_f64 v[2:3], v[2:3], -v[6:7]
	v_add_nc_u32_e32 v9, 0x1100, v9
	v_div_scale_f64 v[6:7], null, v[4:5], v[4:5], v[2:3]
	v_div_scale_f64 v[26:27], vcc_lo, v[2:3], v[4:5], v[2:3]
	s_delay_alu instid0(VALU_DEP_2) | instskip(SKIP_2) | instid1(VALU_DEP_1)
	v_rcp_f64_e32 v[10:11], v[6:7]
	s_waitcnt_depctr 0xfff
	v_fma_f64 v[24:25], -v[6:7], v[10:11], 1.0
	v_fma_f64 v[10:11], v[10:11], v[24:25], v[10:11]
	s_delay_alu instid0(VALU_DEP_1) | instskip(NEXT) | instid1(VALU_DEP_1)
	v_fma_f64 v[24:25], -v[6:7], v[10:11], 1.0
	v_fma_f64 v[10:11], v[10:11], v[24:25], v[10:11]
	s_delay_alu instid0(VALU_DEP_1) | instskip(NEXT) | instid1(VALU_DEP_1)
	v_mul_f64 v[24:25], v[26:27], v[10:11]
	v_fma_f64 v[6:7], -v[6:7], v[24:25], v[26:27]
	s_delay_alu instid0(VALU_DEP_1) | instskip(NEXT) | instid1(VALU_DEP_1)
	v_div_fmas_f64 v[6:7], v[6:7], v[10:11], v[24:25]
	v_div_fixup_f64 v[2:3], v[6:7], v[4:5], v[2:3]
	ds_store_b64 v9, v[2:3]
	s_waitcnt lgkmcnt(0)
	s_waitcnt_vscnt null, 0x0
	buffer_gl0_inv
	s_and_saveexec_b32 s24, s0
	s_cbranch_execz .LBB36_71
; %bb.80:                               ;   in Loop: Header=BB36_72 Depth=2
	v_dual_mov_b32 v4, v22 :: v_dual_mov_b32 v5, v8
	v_mov_b32_e32 v6, v12
	s_mov_b32 s25, 0
	.p2align	6
.LBB36_81:                              ;   Parent Loop BB36_10 Depth=1
                                        ;     Parent Loop BB36_72 Depth=2
                                        ; =>    This Inner Loop Header: Depth=3
	ds_load_b64 v[9:10], v5
	ds_load_b64 v[24:25], v4
	v_add_nc_u32_e32 v6, 4, v6
	v_add_nc_u32_e32 v5, 0x220, v5
	s_delay_alu instid0(VALU_DEP_2)
	v_cmp_le_i32_e32 vcc_lo, s29, v6
	s_or_b32 s25, vcc_lo, s25
	s_waitcnt lgkmcnt(0)
	v_fma_f64 v[9:10], v[2:3], v[9:10], v[24:25]
	ds_store_b64 v4, v[9:10]
	v_add_nc_u32_e32 v4, 32, v4
	s_and_not1_b32 exec_lo, exec_lo, s25
	s_cbranch_execnz .LBB36_81
	s_branch .LBB36_71
.LBB36_82:                              ;   in Loop: Header=BB36_10 Depth=1
	s_and_saveexec_b32 s22, s0
	s_cbranch_execz .LBB36_9
; %bb.83:                               ;   in Loop: Header=BB36_10 Depth=1
	v_dual_mov_b32 v6, v23 :: v_dual_mov_b32 v7, v12
	s_mov_b32 s23, 0
	s_set_inst_prefetch_distance 0x1
	s_branch .LBB36_86
	.p2align	6
.LBB36_84:                              ;   in Loop: Header=BB36_86 Depth=2
	s_delay_alu instid0(VALU_DEP_1) | instskip(NEXT) | instid1(VALU_DEP_1)
	v_ashrrev_i32_e32 v5, 31, v4
	v_lshlrev_b64 v[4:5], 3, v[4:5]
	s_delay_alu instid0(VALU_DEP_1) | instskip(NEXT) | instid1(VALU_DEP_2)
	v_add_co_u32 v4, vcc_lo, s18, v4
	v_add_co_ci_u32_e32 v5, vcc_lo, s19, v5, vcc_lo
	s_waitcnt lgkmcnt(0)
	global_store_b64 v[4:5], v[2:3], off
.LBB36_85:                              ;   in Loop: Header=BB36_86 Depth=2
	s_or_b32 exec_lo, exec_lo, s24
	v_add_nc_u32_e32 v7, 4, v7
	v_add_nc_u32_e32 v6, 32, v6
	s_delay_alu instid0(VALU_DEP_2) | instskip(SKIP_1) | instid1(SALU_CYCLE_1)
	v_cmp_le_i32_e32 vcc_lo, s29, v7
	s_or_b32 s23, vcc_lo, s23
	s_and_not1_b32 exec_lo, exec_lo, s23
	s_cbranch_execz .LBB36_9
.LBB36_86:                              ;   Parent Loop BB36_10 Depth=1
                                        ; =>  This Inner Loop Header: Depth=2
	s_and_saveexec_b32 s24, s1
	s_cbranch_execz .LBB36_85
; %bb.87:                               ;   in Loop: Header=BB36_86 Depth=2
	ds_load_b64 v[2:3], v6
	s_and_b32 vcc_lo, exec_lo, s31
	s_cbranch_vccz .LBB36_89
; %bb.88:                               ;   in Loop: Header=BB36_86 Depth=2
	v_add_nc_u32_e32 v8, s21, v7
	s_delay_alu instid0(VALU_DEP_1)
	v_mad_u64_u32 v[4:5], null, v8, s29, v[0:1]
	s_cbranch_execnz .LBB36_84
	s_branch .LBB36_90
.LBB36_89:                              ;   in Loop: Header=BB36_86 Depth=2
                                        ; implicit-def: $vgpr4
.LBB36_90:                              ;   in Loop: Header=BB36_86 Depth=2
	v_add_nc_u32_e32 v4, v20, v7
	s_branch .LBB36_84
.LBB36_91:                              ;   in Loop: Header=BB36_10 Depth=1
                                        ; implicit-def: $sgpr20
                                        ; implicit-def: $vgpr20
	s_cbranch_execz .LBB36_10
.LBB36_92:
	v_cmp_gt_i32_e64 s0, s29, v12
	s_delay_alu instid0(VALU_DEP_1)
	s_and_saveexec_b32 s4, s0
	s_cbranch_execz .LBB36_105
; %bb.93:
	s_mul_i32 s5, s28, s29
	v_cmp_gt_i32_e64 s1, s29, v0
	v_dual_mov_b32 v6, v12 :: v_dual_add_nc_u32 v1, s5, v0
	v_add3_u32 v5, v13, v14, 0x1100
	s_cmp_lg_u32 s30, 0
	s_mov_b32 s12, 0
	s_delay_alu instid0(VALU_DEP_2)
	v_mul_lo_u32 v4, v1, s29
	s_cselect_b32 s13, -1, 0
	s_branch .LBB36_95
.LBB36_94:                              ;   in Loop: Header=BB36_95 Depth=1
	s_or_b32 exec_lo, exec_lo, s2
	v_add_nc_u32_e32 v6, 4, v6
	s_waitcnt vmcnt(0)
	ds_store_b64 v5, v[2:3]
	v_add_nc_u32_e32 v5, 32, v5
	v_cmp_le_i32_e32 vcc_lo, s29, v6
	s_or_b32 s12, vcc_lo, s12
	s_delay_alu instid0(SALU_CYCLE_1)
	s_and_not1_b32 exec_lo, exec_lo, s12
	s_cbranch_execz .LBB36_105
.LBB36_95:                              ; =>This Inner Loop Header: Depth=1
	s_and_b32 vcc_lo, exec_lo, s13
	s_cbranch_vccz .LBB36_100
; %bb.96:                               ;   in Loop: Header=BB36_95 Depth=1
	s_mov_b32 s15, 0
	s_mov_b32 s14, 0
                                        ; implicit-def: $vgpr1
	s_and_saveexec_b32 s2, s1
	s_delay_alu instid0(SALU_CYCLE_1)
	s_xor_b32 s2, exec_lo, s2
; %bb.97:                               ;   in Loop: Header=BB36_95 Depth=1
	v_add_nc_u32_e32 v3, s5, v6
	s_mov_b32 s14, exec_lo
	s_delay_alu instid0(VALU_DEP_1)
	v_mad_u64_u32 v[1:2], null, v3, s29, v[0:1]
; %bb.98:                               ;   in Loop: Header=BB36_95 Depth=1
	s_or_b32 exec_lo, exec_lo, s2
	s_mov_b64 s[2:3], 0
	s_and_b32 vcc_lo, exec_lo, s15
	s_cbranch_vccnz .LBB36_101
.LBB36_99:                              ;   in Loop: Header=BB36_95 Depth=1
	v_dual_mov_b32 v2, s2 :: v_dual_mov_b32 v3, s3
	s_and_saveexec_b32 s2, s14
	s_cbranch_execz .LBB36_94
	s_branch .LBB36_104
.LBB36_100:                             ;   in Loop: Header=BB36_95 Depth=1
	s_mov_b32 s14, 0
                                        ; implicit-def: $vgpr1
                                        ; implicit-def: $sgpr2_sgpr3
	s_cbranch_execz .LBB36_99
.LBB36_101:                             ;   in Loop: Header=BB36_95 Depth=1
                                        ; implicit-def: $vgpr1
	s_and_saveexec_b32 s2, s1
; %bb.102:                              ;   in Loop: Header=BB36_95 Depth=1
	v_add_nc_u32_e32 v1, v4, v6
	s_or_b32 s14, s14, exec_lo
; %bb.103:                              ;   in Loop: Header=BB36_95 Depth=1
	s_or_b32 exec_lo, exec_lo, s2
	s_mov_b64 s[2:3], 0
	s_delay_alu instid0(SALU_CYCLE_1)
	v_dual_mov_b32 v2, s2 :: v_dual_mov_b32 v3, s3
	s_and_saveexec_b32 s2, s14
	s_cbranch_execz .LBB36_94
.LBB36_104:                             ;   in Loop: Header=BB36_95 Depth=1
	v_ashrrev_i32_e32 v2, 31, v1
	s_delay_alu instid0(VALU_DEP_1) | instskip(NEXT) | instid1(VALU_DEP_1)
	v_lshlrev_b64 v[1:2], 3, v[1:2]
	v_add_co_u32 v1, vcc_lo, s18, v1
	s_delay_alu instid0(VALU_DEP_2)
	v_add_co_ci_u32_e32 v2, vcc_lo, s19, v2, vcc_lo
	global_load_b64 v[2:3], v[1:2], off
	s_branch .LBB36_94
.LBB36_105:
	s_or_b32 exec_lo, exec_lo, s4
; %bb.106:
	s_cmp_lt_i32 s29, 1
	s_waitcnt lgkmcnt(0)
	buffer_gl0_inv
	s_cbranch_scc1 .LBB36_119
; %bb.107:
	v_lshlrev_b32_e32 v1, 3, v0
	v_or_b32_e32 v2, v12, v0
	s_movk_i32 s1, 0x1100
	v_add3_u32 v5, v13, v14, 0x1980
	v_mad_u32_u24 v6, 0x88, v12, s1
	v_mad_u32_u24 v1, 0x88, v0, v1
	v_cmp_ne_u32_e64 s1, 0, v2
	s_mov_b32 s2, 0
	s_add_i32 s3, s16, s17
	v_mov_b32_e32 v9, 0
	v_add_nc_u32_e32 v7, 0x1100, v1
	v_add_nc_u32_e32 v8, 0x1980, v1
	s_branch .LBB36_109
.LBB36_108:                             ;   in Loop: Header=BB36_109 Depth=1
	s_or_b32 exec_lo, exec_lo, s4
	v_add_nc_u32_e32 v6, 8, v6
	s_add_i32 s2, s2, 1
	s_waitcnt lgkmcnt(0)
	s_waitcnt_vscnt null, 0x0
	buffer_gl0_inv
	s_cmp_eq_u32 s2, s29
	s_cbranch_scc1 .LBB36_119
.LBB36_109:                             ; =>This Loop Header: Depth=1
                                        ;     Child Loop BB36_118 Depth 2
	s_mov_b32 s4, exec_lo
	v_cmpx_eq_u32_e64 s2, v0
	s_cbranch_execz .LBB36_111
; %bb.110:                              ;   in Loop: Header=BB36_109 Depth=1
	ds_load_b64 v[1:2], v7
	ds_load_b64 v[3:4], v8
	s_waitcnt lgkmcnt(0)
	v_add_f64 v[1:2], v[1:2], -v[3:4]
	s_delay_alu instid0(VALU_DEP_1) | instskip(SKIP_1) | instid1(VALU_DEP_1)
	v_cmp_gt_f64_e32 vcc_lo, 0, v[1:2]
	v_xor_b32_e32 v3, 0x80000000, v2
	v_dual_cndmask_b32 v2, v2, v3 :: v_dual_cndmask_b32 v1, v1, v1
	s_delay_alu instid0(VALU_DEP_1) | instskip(SKIP_1) | instid1(VALU_DEP_1)
	v_cmp_gt_f64_e32 vcc_lo, 0x10000000, v[1:2]
	v_cndmask_b32_e64 v3, 0, 1, vcc_lo
	v_lshlrev_b32_e32 v3, 8, v3
	s_delay_alu instid0(VALU_DEP_1) | instskip(NEXT) | instid1(VALU_DEP_1)
	v_ldexp_f64 v[1:2], v[1:2], v3
	v_rsq_f64_e32 v[3:4], v[1:2]
	s_waitcnt_depctr 0xfff
	v_mul_f64 v[10:11], v[1:2], v[3:4]
	v_mul_f64 v[3:4], v[3:4], 0.5
	s_delay_alu instid0(VALU_DEP_1) | instskip(NEXT) | instid1(VALU_DEP_1)
	v_fma_f64 v[15:16], -v[3:4], v[10:11], 0.5
	v_fma_f64 v[10:11], v[10:11], v[15:16], v[10:11]
	v_fma_f64 v[3:4], v[3:4], v[15:16], v[3:4]
	s_delay_alu instid0(VALU_DEP_2) | instskip(NEXT) | instid1(VALU_DEP_1)
	v_fma_f64 v[15:16], -v[10:11], v[10:11], v[1:2]
	v_fma_f64 v[10:11], v[15:16], v[3:4], v[10:11]
	s_delay_alu instid0(VALU_DEP_1) | instskip(NEXT) | instid1(VALU_DEP_1)
	v_fma_f64 v[15:16], -v[10:11], v[10:11], v[1:2]
	v_fma_f64 v[3:4], v[15:16], v[3:4], v[10:11]
	v_cndmask_b32_e64 v10, 0, 0xffffff80, vcc_lo
	v_cmp_class_f64_e64 vcc_lo, v[1:2], 0x260
	s_delay_alu instid0(VALU_DEP_2) | instskip(NEXT) | instid1(VALU_DEP_1)
	v_ldexp_f64 v[3:4], v[3:4], v10
	v_dual_cndmask_b32 v2, v4, v2 :: v_dual_cndmask_b32 v1, v3, v1
	ds_store_b64 v7, v[1:2]
.LBB36_111:                             ;   in Loop: Header=BB36_109 Depth=1
	s_or_b32 exec_lo, exec_lo, s4
	s_lshl_b32 s4, s2, 3
	s_mul_i32 s5, s2, 0x88
	s_waitcnt lgkmcnt(0)
	buffer_gl0_inv
	s_add_i32 s5, s5, s4
	v_mad_u32_u24 v10, 0x88, v0, s4
	v_mov_b32_e32 v1, s5
	ds_load_b64 v[3:4], v1 offset:4352
	ds_load_b64 v[1:2], v10 offset:4352
	s_waitcnt lgkmcnt(1)
	v_cmp_neq_f64_e32 vcc_lo, 0, v[3:4]
	v_cndmask_b32_e32 v4, 0x3ff00000, v4, vcc_lo
	v_cndmask_b32_e32 v3, 0, v3, vcc_lo
	s_or_b32 s4, vcc_lo, s1
	s_delay_alu instid0(SALU_CYCLE_1) | instskip(NEXT) | instid1(SALU_CYCLE_1)
	s_xor_b32 s5, s4, -1
	s_and_saveexec_b32 s4, s5
	s_cbranch_execz .LBB36_115
; %bb.112:                              ;   in Loop: Header=BB36_109 Depth=1
	v_mbcnt_lo_u32_b32 v3, exec_lo, 0
	s_mov_b32 s5, exec_lo
	s_delay_alu instid0(VALU_DEP_1)
	v_cmpx_eq_u32_e32 0, v3
	s_cbranch_execz .LBB36_114
; %bb.113:                              ;   in Loop: Header=BB36_109 Depth=1
	v_mov_b32_e32 v3, s3
	global_atomic_min_i32 v9, v3, s[10:11]
.LBB36_114:                             ;   in Loop: Header=BB36_109 Depth=1
	s_or_b32 exec_lo, exec_lo, s5
	v_mov_b32_e32 v3, 0
	v_mov_b32_e32 v4, 0x3ff00000
.LBB36_115:                             ;   in Loop: Header=BB36_109 Depth=1
	s_or_b32 exec_lo, exec_lo, s4
	s_delay_alu instid0(SALU_CYCLE_1)
	s_mov_b32 s4, exec_lo
	v_cmpx_lt_u32_e64 s2, v0
	s_cbranch_execz .LBB36_108
; %bb.116:                              ;   in Loop: Header=BB36_109 Depth=1
	v_lshl_add_u32 v11, s2, 3, v13
	ds_load_b64 v[15:16], v11 offset:6528
	s_waitcnt lgkmcnt(0)
	v_add_f64 v[1:2], v[1:2], -v[15:16]
	s_delay_alu instid0(VALU_DEP_1) | instskip(SKIP_1) | instid1(VALU_DEP_2)
	v_div_scale_f64 v[15:16], null, v[3:4], v[3:4], v[1:2]
	v_div_scale_f64 v[21:22], vcc_lo, v[1:2], v[3:4], v[1:2]
	v_rcp_f64_e32 v[17:18], v[15:16]
	s_waitcnt_depctr 0xfff
	v_fma_f64 v[19:20], -v[15:16], v[17:18], 1.0
	s_delay_alu instid0(VALU_DEP_1) | instskip(NEXT) | instid1(VALU_DEP_1)
	v_fma_f64 v[17:18], v[17:18], v[19:20], v[17:18]
	v_fma_f64 v[19:20], -v[15:16], v[17:18], 1.0
	s_delay_alu instid0(VALU_DEP_1) | instskip(NEXT) | instid1(VALU_DEP_1)
	v_fma_f64 v[17:18], v[17:18], v[19:20], v[17:18]
	v_mul_f64 v[19:20], v[21:22], v[17:18]
	s_delay_alu instid0(VALU_DEP_1) | instskip(NEXT) | instid1(VALU_DEP_1)
	v_fma_f64 v[15:16], -v[15:16], v[19:20], v[21:22]
	v_div_fmas_f64 v[15:16], v[15:16], v[17:18], v[19:20]
	s_delay_alu instid0(VALU_DEP_1)
	v_div_fixup_f64 v[1:2], v[15:16], v[3:4], v[1:2]
	v_add_nc_u32_e32 v3, 0x1100, v10
	ds_store_b64 v3, v[1:2]
	s_waitcnt lgkmcnt(0)
	s_waitcnt_vscnt null, 0x0
	buffer_gl0_inv
	s_and_b32 exec_lo, exec_lo, s0
	s_cbranch_execz .LBB36_108
; %bb.117:                              ;   in Loop: Header=BB36_109 Depth=1
	v_dual_mov_b32 v3, v5 :: v_dual_mov_b32 v4, v6
	v_mov_b32_e32 v10, v12
	s_mov_b32 s5, 0
	.p2align	6
.LBB36_118:                             ;   Parent Loop BB36_109 Depth=1
                                        ; =>  This Inner Loop Header: Depth=2
	ds_load_b64 v[15:16], v4
	ds_load_b64 v[17:18], v3
	v_add_nc_u32_e32 v10, 4, v10
	v_add_nc_u32_e32 v4, 0x220, v4
	s_delay_alu instid0(VALU_DEP_2)
	v_cmp_le_i32_e32 vcc_lo, s29, v10
	s_or_b32 s5, vcc_lo, s5
	s_waitcnt lgkmcnt(0)
	v_fma_f64 v[15:16], v[1:2], v[15:16], v[17:18]
	ds_store_b64 v3, v[15:16]
	v_add_nc_u32_e32 v3, 32, v3
	s_and_not1_b32 exec_lo, exec_lo, s5
	s_cbranch_execnz .LBB36_118
	s_branch .LBB36_108
.LBB36_119:
	s_and_saveexec_b32 s1, s0
	s_cbranch_execz .LBB36_128
; %bb.120:
	s_mul_i32 s28, s28, s29
	v_cmp_gt_i32_e64 s0, s29, v0
	v_add_nc_u32_e32 v1, s28, v0
	v_add3_u32 v6, v13, v14, 0x1100
	v_mov_b32_e32 v7, v12
	s_cmp_lg_u32 s30, 0
	s_mov_b32 s2, 0
	v_mul_lo_u32 v5, v1, s29
	s_cselect_b32 s3, -1, 0
	s_set_inst_prefetch_distance 0x1
	s_branch .LBB36_123
	.p2align	6
.LBB36_121:                             ;   in Loop: Header=BB36_123 Depth=1
	s_delay_alu instid0(VALU_DEP_1) | instskip(NEXT) | instid1(VALU_DEP_1)
	v_ashrrev_i32_e32 v4, 31, v3
	v_lshlrev_b64 v[3:4], 3, v[3:4]
	s_delay_alu instid0(VALU_DEP_1) | instskip(NEXT) | instid1(VALU_DEP_2)
	v_add_co_u32 v3, vcc_lo, s18, v3
	v_add_co_ci_u32_e32 v4, vcc_lo, s19, v4, vcc_lo
	s_waitcnt lgkmcnt(0)
	global_store_b64 v[3:4], v[1:2], off
.LBB36_122:                             ;   in Loop: Header=BB36_123 Depth=1
	s_or_b32 exec_lo, exec_lo, s4
	v_add_nc_u32_e32 v7, 4, v7
	v_add_nc_u32_e32 v6, 32, v6
	s_delay_alu instid0(VALU_DEP_2) | instskip(SKIP_1) | instid1(SALU_CYCLE_1)
	v_cmp_le_i32_e32 vcc_lo, s29, v7
	s_or_b32 s2, vcc_lo, s2
	s_and_not1_b32 exec_lo, exec_lo, s2
	s_cbranch_execz .LBB36_128
.LBB36_123:                             ; =>This Inner Loop Header: Depth=1
	s_and_saveexec_b32 s4, s0
	s_cbranch_execz .LBB36_122
; %bb.124:                              ;   in Loop: Header=BB36_123 Depth=1
	ds_load_b64 v[1:2], v6
	s_and_b32 vcc_lo, exec_lo, s3
	s_cbranch_vccz .LBB36_126
; %bb.125:                              ;   in Loop: Header=BB36_123 Depth=1
	v_add_nc_u32_e32 v8, s28, v7
	s_waitcnt lgkmcnt(0)
	s_delay_alu instid0(VALU_DEP_1)
	v_mad_u64_u32 v[3:4], null, v8, s29, v[0:1]
	s_cbranch_execnz .LBB36_121
	s_branch .LBB36_127
.LBB36_126:                             ;   in Loop: Header=BB36_123 Depth=1
                                        ; implicit-def: $vgpr3
.LBB36_127:                             ;   in Loop: Header=BB36_123 Depth=1
	v_add_nc_u32_e32 v3, v5, v7
	s_branch .LBB36_121
.LBB36_128:
	s_set_inst_prefetch_distance 0x2
	s_or_b32 exec_lo, exec_lo, s1
	v_or_b32_e32 v1, v12, v0
	s_delay_alu instid0(VALU_DEP_1)
	v_cmp_eq_u32_e64 s3, 0, v1
.LBB36_129:
	s_delay_alu instid0(VALU_DEP_1)
	s_and_saveexec_b32 s0, s3
	s_cbranch_execnz .LBB36_137
.LBB36_130:
	s_nop 0
	s_sendmsg sendmsg(MSG_DEALLOC_VGPRS)
	s_endpgm
.LBB36_131:
	s_cbranch_execz .LBB36_129
; %bb.132:
	v_or_b32_e32 v0, v12, v0
	s_mov_b32 s0, exec_lo
	s_delay_alu instid0(VALU_DEP_1)
	v_cmpx_eq_u32_e32 0, v0
	s_cbranch_execz .LBB36_136
; %bb.133:
	v_mbcnt_lo_u32_b32 v0, exec_lo, 0
	s_mov_b32 s1, exec_lo
	s_delay_alu instid0(VALU_DEP_1)
	v_cmpx_eq_u32_e32 0, v0
	s_cbranch_execz .LBB36_135
; %bb.134:
	s_add_i32 s2, s16, s17
	s_delay_alu instid0(SALU_CYCLE_1)
	v_dual_mov_b32 v0, 0 :: v_dual_mov_b32 v1, s2
	global_atomic_min_i32 v0, v1, s[10:11]
.LBB36_135:
	s_or_b32 exec_lo, exec_lo, s1
	s_delay_alu instid0(SALU_CYCLE_1)
	s_or_b32 s3, s3, exec_lo
.LBB36_136:
	s_or_b32 exec_lo, exec_lo, s0
	s_and_saveexec_b32 s0, s3
	s_cbranch_execz .LBB36_130
.LBB36_137:
	v_dual_mov_b32 v0, 0 :: v_dual_mov_b32 v1, 1
	s_add_u32 s0, s6, s8
	s_addc_u32 s1, s7, s9
	s_waitcnt_vscnt null, 0x0
	global_store_b32 v0, v1, s[0:1]
	s_nop 0
	s_sendmsg sendmsg(MSG_DEALLOC_VGPRS)
	s_endpgm
	.section	.rodata,"a",@progbits
	.p2align	6, 0x0
	.amdhsa_kernel _ZN9rocsparseL18bsric0_9_16_kernelILi64ELi128ELi16EdEEv20rocsparse_direction_iiPKiS3_PT2_S3_PiS3_S6_21rocsparse_index_base_
		.amdhsa_group_segment_fixed_size 10240
		.amdhsa_private_segment_fixed_size 0
		.amdhsa_kernarg_size 76
		.amdhsa_user_sgpr_count 15
		.amdhsa_user_sgpr_dispatch_ptr 0
		.amdhsa_user_sgpr_queue_ptr 0
		.amdhsa_user_sgpr_kernarg_segment_ptr 1
		.amdhsa_user_sgpr_dispatch_id 0
		.amdhsa_user_sgpr_private_segment_size 0
		.amdhsa_wavefront_size32 1
		.amdhsa_uses_dynamic_stack 0
		.amdhsa_enable_private_segment 0
		.amdhsa_system_sgpr_workgroup_id_x 1
		.amdhsa_system_sgpr_workgroup_id_y 0
		.amdhsa_system_sgpr_workgroup_id_z 0
		.amdhsa_system_sgpr_workgroup_info 0
		.amdhsa_system_vgpr_workitem_id 1
		.amdhsa_next_free_vgpr 29
		.amdhsa_next_free_sgpr 44
		.amdhsa_reserve_vcc 1
		.amdhsa_float_round_mode_32 0
		.amdhsa_float_round_mode_16_64 0
		.amdhsa_float_denorm_mode_32 3
		.amdhsa_float_denorm_mode_16_64 3
		.amdhsa_dx10_clamp 1
		.amdhsa_ieee_mode 1
		.amdhsa_fp16_overflow 0
		.amdhsa_workgroup_processor_mode 1
		.amdhsa_memory_ordered 1
		.amdhsa_forward_progress 0
		.amdhsa_shared_vgpr_count 0
		.amdhsa_exception_fp_ieee_invalid_op 0
		.amdhsa_exception_fp_denorm_src 0
		.amdhsa_exception_fp_ieee_div_zero 0
		.amdhsa_exception_fp_ieee_overflow 0
		.amdhsa_exception_fp_ieee_underflow 0
		.amdhsa_exception_fp_ieee_inexact 0
		.amdhsa_exception_int_div_zero 0
	.end_amdhsa_kernel
	.section	.text._ZN9rocsparseL18bsric0_9_16_kernelILi64ELi128ELi16EdEEv20rocsparse_direction_iiPKiS3_PT2_S3_PiS3_S6_21rocsparse_index_base_,"axG",@progbits,_ZN9rocsparseL18bsric0_9_16_kernelILi64ELi128ELi16EdEEv20rocsparse_direction_iiPKiS3_PT2_S3_PiS3_S6_21rocsparse_index_base_,comdat
.Lfunc_end36:
	.size	_ZN9rocsparseL18bsric0_9_16_kernelILi64ELi128ELi16EdEEv20rocsparse_direction_iiPKiS3_PT2_S3_PiS3_S6_21rocsparse_index_base_, .Lfunc_end36-_ZN9rocsparseL18bsric0_9_16_kernelILi64ELi128ELi16EdEEv20rocsparse_direction_iiPKiS3_PT2_S3_PiS3_S6_21rocsparse_index_base_
                                        ; -- End function
	.section	.AMDGPU.csdata,"",@progbits
; Kernel info:
; codeLenInByte = 4388
; NumSgprs: 46
; NumVgprs: 29
; ScratchSize: 0
; MemoryBound: 0
; FloatMode: 240
; IeeeMode: 1
; LDSByteSize: 10240 bytes/workgroup (compile time only)
; SGPRBlocks: 5
; VGPRBlocks: 3
; NumSGPRsForWavesPerEU: 46
; NumVGPRsForWavesPerEU: 29
; Occupancy: 6
; WaveLimiterHint : 1
; COMPUTE_PGM_RSRC2:SCRATCH_EN: 0
; COMPUTE_PGM_RSRC2:USER_SGPR: 15
; COMPUTE_PGM_RSRC2:TRAP_HANDLER: 0
; COMPUTE_PGM_RSRC2:TGID_X_EN: 1
; COMPUTE_PGM_RSRC2:TGID_Y_EN: 0
; COMPUTE_PGM_RSRC2:TGID_Z_EN: 0
; COMPUTE_PGM_RSRC2:TIDIG_COMP_CNT: 1
	.section	.text._ZN9rocsparseL19bsric0_17_32_kernelILi64ELi128ELi32EdEEv20rocsparse_direction_iiPKiS3_PT2_S3_PiS3_S6_21rocsparse_index_base_,"axG",@progbits,_ZN9rocsparseL19bsric0_17_32_kernelILi64ELi128ELi32EdEEv20rocsparse_direction_iiPKiS3_PT2_S3_PiS3_S6_21rocsparse_index_base_,comdat
	.globl	_ZN9rocsparseL19bsric0_17_32_kernelILi64ELi128ELi32EdEEv20rocsparse_direction_iiPKiS3_PT2_S3_PiS3_S6_21rocsparse_index_base_ ; -- Begin function _ZN9rocsparseL19bsric0_17_32_kernelILi64ELi128ELi32EdEEv20rocsparse_direction_iiPKiS3_PT2_S3_PiS3_S6_21rocsparse_index_base_
	.p2align	8
	.type	_ZN9rocsparseL19bsric0_17_32_kernelILi64ELi128ELi32EdEEv20rocsparse_direction_iiPKiS3_PT2_S3_PiS3_S6_21rocsparse_index_base_,@function
_ZN9rocsparseL19bsric0_17_32_kernelILi64ELi128ELi32EdEEv20rocsparse_direction_iiPKiS3_PT2_S3_PiS3_S6_21rocsparse_index_base_: ; @_ZN9rocsparseL19bsric0_17_32_kernelILi64ELi128ELi32EdEEv20rocsparse_direction_iiPKiS3_PT2_S3_PiS3_S6_21rocsparse_index_base_
; %bb.0:
	s_load_b256 s[4:11], s[0:1], 0x28
	s_mov_b32 s2, s15
	s_mov_b32 s3, 0
	v_and_b32_e32 v12, 0x3ff, v0
	s_lshl_b64 s[12:13], s[2:3], 2
	v_bfe_u32 v0, v0, 10, 10
	s_waitcnt lgkmcnt(0)
	s_add_u32 s8, s8, s12
	s_addc_u32 s9, s9, s13
	s_load_b32 s16, s[8:9], 0x0
	s_waitcnt lgkmcnt(0)
	s_ashr_i32 s17, s16, 31
	s_delay_alu instid0(SALU_CYCLE_1) | instskip(NEXT) | instid1(SALU_CYCLE_1)
	s_lshl_b64 s[8:9], s[16:17], 2
	s_add_u32 s12, s4, s8
	s_addc_u32 s13, s5, s9
	s_load_b32 s28, s[12:13], 0x0
	s_load_b32 s17, s[0:1], 0x48
	s_waitcnt lgkmcnt(0)
	s_cmp_lg_u32 s28, -1
	s_cbranch_scc0 .LBB37_119
; %bb.1:
	s_clause 0x1
	s_load_b128 s[12:15], s[0:1], 0x10
	s_load_b64 s[18:19], s[0:1], 0x20
	v_lshlrev_b32_e32 v1, 1, v0
	v_lshlrev_b32_e32 v15, 3, v0
	s_waitcnt lgkmcnt(0)
	s_add_u32 s2, s12, s8
	s_addc_u32 s3, s13, s9
	s_load_b32 s2, s[2:3], 0x0
	s_waitcnt lgkmcnt(0)
	s_sub_i32 s3, s2, s17
	s_mov_b32 s2, exec_lo
	v_add3_u32 v1, v1, v12, s3
	s_delay_alu instid0(VALU_DEP_1)
	v_cmpx_ge_i32_e64 s28, v1
	s_cbranch_execz .LBB37_4
; %bb.2:
	v_lshlrev_b32_e32 v2, 2, v12
	s_mov_b32 s20, 0
	s_delay_alu instid0(VALU_DEP_1)
	v_add3_u32 v3, v15, v2, 0x6700
	.p2align	6
.LBB37_3:                               ; =>This Inner Loop Header: Depth=1
	v_ashrrev_i32_e32 v2, 31, v1
	s_delay_alu instid0(VALU_DEP_1) | instskip(SKIP_1) | instid1(VALU_DEP_2)
	v_lshlrev_b64 v[4:5], 2, v[1:2]
	v_add_nc_u32_e32 v1, 64, v1
	v_add_co_u32 v4, vcc_lo, s14, v4
	s_delay_alu instid0(VALU_DEP_3) | instskip(NEXT) | instid1(VALU_DEP_3)
	v_add_co_ci_u32_e32 v5, vcc_lo, s15, v5, vcc_lo
	v_cmp_lt_i32_e32 vcc_lo, s28, v1
	global_load_b32 v2, v[4:5], off
	s_or_b32 s20, vcc_lo, s20
	s_waitcnt vmcnt(0)
	v_subrev_nc_u32_e32 v2, s17, v2
	ds_store_b32 v3, v2
	v_add_nc_u32_e32 v3, 0x100, v3
	s_and_not1_b32 exec_lo, exec_lo, s20
	s_cbranch_execnz .LBB37_3
.LBB37_4:
	s_or_b32 exec_lo, exec_lo, s2
	v_mul_u32_u24_e32 v13, 0x108, v0
	v_lshlrev_b32_e32 v14, 3, v12
	s_mov_b32 s2, exec_lo
	v_cmpx_gt_u32_e32 32, v12
	s_cbranch_execz .LBB37_7
; %bb.5:
	v_mov_b32_e32 v1, 0
	v_add_nc_u32_e32 v3, -2, v12
	v_add3_u32 v4, v13, v14, 0x4200
	s_mov_b32 s20, 0
	s_delay_alu instid0(VALU_DEP_3)
	v_mov_b32_e32 v2, v1
.LBB37_6:                               ; =>This Inner Loop Header: Depth=1
	s_delay_alu instid0(VALU_DEP_3) | instskip(SKIP_4) | instid1(SALU_CYCLE_1)
	v_add_nc_u32_e32 v3, 2, v3
	ds_store_b64 v4, v[1:2]
	v_add_nc_u32_e32 v4, 16, v4
	v_cmp_lt_u32_e32 vcc_lo, 29, v3
	s_or_b32 s20, vcc_lo, s20
	s_and_not1_b32 exec_lo, exec_lo, s20
	s_cbranch_execnz .LBB37_6
.LBB37_7:
	s_or_b32 exec_lo, exec_lo, s2
	s_clause 0x1
	s_load_b32 s29, s[0:1], 0x8
	s_load_b32 s30, s[0:1], 0x0
	s_cmp_ge_i32 s3, s28
	s_waitcnt lgkmcnt(0)
	buffer_gl0_inv
	v_cmp_gt_i32_e64 s0, s29, v12
	s_cbranch_scc1 .LBB37_80
; %bb.8:
	v_mad_u64_u32 v[1:2], null, s29, s3, v[0:1]
	v_or_b32_e32 v2, v12, v0
	v_mad_u32_u24 v17, 0x108, v0, v14
	s_cmp_eq_u32 s30, 0
	v_mul_lo_u32 v16, v0, s29
	v_mul_lo_u32 v18, v12, s29
	s_movk_i32 s20, 0x2100
	v_mul_lo_u32 v20, s29, v1
	s_cselect_b32 s31, -1, 0
	s_cmp_lg_u32 s30, 0
	v_cmp_gt_i32_e64 s1, s29, v0
	v_cmp_ne_u32_e64 s2, 0, v2
	v_mad_u32_u24 v19, 0x108, v0, s20
	v_mad_u32_u24 v21, 0x108, v12, s20
	v_dual_mov_b32 v1, 0 :: v_dual_add_nc_u32 v22, 0x4200, v17
	v_add_nc_u32_e32 v23, 0x2100, v17
	s_cselect_b32 s33, -1, 0
	s_cmp_gt_i32 s29, 0
	s_mul_i32 s35, s29, s29
	s_cselect_b32 s34, -1, 0
	s_lshl_b32 s36, s29, 1
	s_mov_b32 s20, s3
	s_branch .LBB37_10
.LBB37_9:                               ;   in Loop: Header=BB37_10 Depth=1
	s_set_inst_prefetch_distance 0x2
	s_or_b32 exec_lo, exec_lo, s22
	s_add_i32 s20, s20, 1
	v_add_nc_u32_e32 v20, s35, v20
	s_cmp_ge_i32 s20, s28
	s_waitcnt_vscnt null, 0x0
	buffer_gl1_inv
	buffer_gl0_inv
	s_cselect_b32 s21, -1, 0
	s_delay_alu instid0(SALU_CYCLE_1)
	s_and_b32 vcc_lo, exec_lo, s21
	s_cbranch_vccnz .LBB37_80
.LBB37_10:                              ; =>This Loop Header: Depth=1
                                        ;     Child Loop BB37_14 Depth 2
                                        ;     Child Loop BB37_27 Depth 2
	;; [unrolled: 1-line block ×4, first 2 shown]
                                        ;       Child Loop BB37_45 Depth 3
                                        ;     Child Loop BB37_58 Depth 2
                                        ;       Child Loop BB37_65 Depth 3
                                        ;       Child Loop BB37_69 Depth 3
                                        ;     Child Loop BB37_74 Depth 2
	s_ashr_i32 s21, s20, 31
	s_delay_alu instid0(SALU_CYCLE_1) | instskip(NEXT) | instid1(SALU_CYCLE_1)
	s_lshl_b64 s[22:23], s[20:21], 2
	s_add_u32 s22, s14, s22
	s_addc_u32 s23, s15, s23
	s_load_b32 s37, s[22:23], 0x0
	s_waitcnt lgkmcnt(0)
	s_sub_i32 s24, s37, s17
	s_delay_alu instid0(SALU_CYCLE_1) | instskip(NEXT) | instid1(SALU_CYCLE_1)
	s_ashr_i32 s25, s24, 31
	s_lshl_b64 s[22:23], s[24:25], 2
	s_delay_alu instid0(SALU_CYCLE_1)
	s_add_u32 s26, s4, s22
	s_addc_u32 s27, s5, s23
	s_load_b32 s25, s[26:27], 0x0
	s_waitcnt lgkmcnt(0)
	s_cmp_eq_u32 s25, -1
	s_cbranch_scc1 .LBB37_79
; %bb.11:                               ;   in Loop: Header=BB37_10 Depth=1
	s_add_u32 s26, s12, s22
	s_addc_u32 s27, s13, s23
	s_mul_i32 s21, s20, s29
	s_load_b32 s38, s[26:27], 0x0
	s_and_saveexec_b32 s39, s0
	s_cbranch_execz .LBB37_24
; %bb.12:                               ;   in Loop: Header=BB37_10 Depth=1
	v_dual_mov_b32 v5, v17 :: v_dual_mov_b32 v6, v12
	s_mov_b32 s40, 0
	s_branch .LBB37_14
.LBB37_13:                              ;   in Loop: Header=BB37_14 Depth=2
	s_or_b32 exec_lo, exec_lo, s26
	v_add_nc_u32_e32 v6, 2, v6
	v_mov_b32_e32 v2, v1
	s_waitcnt vmcnt(0)
	ds_store_b64 v5, v[3:4] offset:8448
	ds_store_b64 v5, v[1:2]
	v_add_nc_u32_e32 v5, 16, v5
	v_cmp_le_i32_e32 vcc_lo, s29, v6
	s_or_b32 s40, vcc_lo, s40
	s_delay_alu instid0(SALU_CYCLE_1)
	s_and_not1_b32 exec_lo, exec_lo, s40
	s_cbranch_execz .LBB37_24
.LBB37_14:                              ;   Parent Loop BB37_10 Depth=1
                                        ; =>  This Inner Loop Header: Depth=2
	s_and_b32 vcc_lo, exec_lo, s33
	s_cbranch_vccz .LBB37_18
; %bb.15:                               ;   in Loop: Header=BB37_14 Depth=2
	s_mov_b32 s42, 0
	s_mov_b32 s41, 0
                                        ; implicit-def: $vgpr2
	s_and_saveexec_b32 s26, s1
	s_delay_alu instid0(SALU_CYCLE_1)
	s_xor_b32 s26, exec_lo, s26
; %bb.16:                               ;   in Loop: Header=BB37_14 Depth=2
	v_add_nc_u32_e32 v4, s21, v6
	s_mov_b32 s41, exec_lo
	s_delay_alu instid0(VALU_DEP_1)
	v_mad_u64_u32 v[2:3], null, v4, s29, v[0:1]
; %bb.17:                               ;   in Loop: Header=BB37_14 Depth=2
	s_or_b32 exec_lo, exec_lo, s26
	s_mov_b64 s[26:27], 0
	s_and_b32 vcc_lo, exec_lo, s42
	s_cbranch_vccnz .LBB37_19
	s_branch .LBB37_22
.LBB37_18:                              ;   in Loop: Header=BB37_14 Depth=2
	s_mov_b32 s41, 0
                                        ; implicit-def: $vgpr2
                                        ; implicit-def: $sgpr26_sgpr27
	s_cbranch_execz .LBB37_22
.LBB37_19:                              ;   in Loop: Header=BB37_14 Depth=2
                                        ; implicit-def: $vgpr2
	s_and_saveexec_b32 s26, s1
; %bb.20:                               ;   in Loop: Header=BB37_14 Depth=2
	v_add_nc_u32_e32 v2, v20, v6
	s_or_b32 s41, s41, exec_lo
; %bb.21:                               ;   in Loop: Header=BB37_14 Depth=2
	s_or_b32 exec_lo, exec_lo, s26
	s_mov_b64 s[26:27], 0
.LBB37_22:                              ;   in Loop: Header=BB37_14 Depth=2
	s_delay_alu instid0(SALU_CYCLE_1)
	v_dual_mov_b32 v3, s26 :: v_dual_mov_b32 v4, s27
	s_and_saveexec_b32 s26, s41
	s_cbranch_execz .LBB37_13
; %bb.23:                               ;   in Loop: Header=BB37_14 Depth=2
	v_ashrrev_i32_e32 v3, 31, v2
	s_delay_alu instid0(VALU_DEP_1) | instskip(NEXT) | instid1(VALU_DEP_1)
	v_lshlrev_b64 v[2:3], 3, v[2:3]
	v_add_co_u32 v2, vcc_lo, s18, v2
	s_delay_alu instid0(VALU_DEP_2)
	v_add_co_ci_u32_e32 v3, vcc_lo, s19, v3, vcc_lo
	global_load_b64 v[3:4], v[2:3], off
	s_branch .LBB37_13
.LBB37_24:                              ;   in Loop: Header=BB37_10 Depth=1
	s_or_b32 exec_lo, exec_lo, s39
; %bb.25:                               ;   in Loop: Header=BB37_10 Depth=1
	ds_load_b32 v2, v1 offset:26368
	s_waitcnt lgkmcnt(0)
	s_sub_i32 s26, s38, s17
	s_delay_alu instid0(SALU_CYCLE_1) | instskip(SKIP_3) | instid1(SALU_CYCLE_1)
	s_cmp_le_i32 s26, s25
	s_cselect_b32 s27, -1, 0
	v_cmp_ge_i32_e32 vcc_lo, s24, v2
	s_and_b32 s27, s27, vcc_lo
	s_and_not1_b32 vcc_lo, exec_lo, s27
	s_mov_b32 s27, 0
	s_cbranch_vccnz .LBB37_37
; %bb.26:                               ;   in Loop: Header=BB37_10 Depth=1
	s_mov_b32 s38, 0
	s_mov_b32 s39, 0
.LBB37_27:                              ;   Parent Loop BB37_10 Depth=1
                                        ; =>  This Inner Loop Header: Depth=2
	s_ashr_i32 s27, s26, 31
	s_mov_b32 s43, -1
	s_lshl_b64 s[40:41], s[26:27], 2
                                        ; implicit-def: $sgpr42
	s_delay_alu instid0(SALU_CYCLE_1) | instskip(SKIP_2) | instid1(SALU_CYCLE_1)
	s_add_u32 s40, s14, s40
	s_addc_u32 s41, s15, s41
	s_lshl_b32 s27, s39, 2
	v_mov_b32_e32 v2, s27
	s_load_b32 s27, s[40:41], 0x0
                                        ; implicit-def: $sgpr41
	ds_load_b32 v2, v2 offset:26368
	s_waitcnt lgkmcnt(0)
	s_sub_i32 s44, s27, s17
                                        ; implicit-def: $sgpr27
	s_delay_alu instid0(SALU_CYCLE_1)
	v_cmp_ge_i32_e32 vcc_lo, s44, v2
	v_readfirstlane_b32 s40, v2
	s_cbranch_vccz .LBB37_33
; %bb.28:                               ;   in Loop: Header=BB37_27 Depth=2
	s_delay_alu instid0(VALU_DEP_1)
	s_cmp_le_i32 s44, s40
                                        ; implicit-def: $sgpr27
                                        ; implicit-def: $sgpr42
                                        ; implicit-def: $sgpr41
	s_cbranch_scc0 .LBB37_30
; %bb.29:                               ;   in Loop: Header=BB37_27 Depth=2
	s_add_i32 s27, s39, s3
	s_lshl_b32 s41, s38, 2
	s_mul_i32 s27, s27, s35
	s_delay_alu instid0(SALU_CYCLE_1)
	v_dual_mov_b32 v2, s41 :: v_dual_mov_b32 v3, s27
	s_mul_i32 s41, s26, s35
	s_add_i32 s42, s26, 1
	v_mov_b32_e32 v4, s41
	s_add_i32 s41, s39, 1
	s_add_i32 s27, s38, 1
	s_mov_b32 s43, 0
	ds_store_2addr_stride64_b32 v2, v4, v3 offset0:99 offset1:101
.LBB37_30:                              ;   in Loop: Header=BB37_27 Depth=2
	s_and_not1_b32 vcc_lo, exec_lo, s43
	s_cbranch_vccnz .LBB37_32
; %bb.31:                               ;   in Loop: Header=BB37_27 Depth=2
	s_add_i32 s41, s39, 1
	s_mov_b32 s27, s38
	s_mov_b32 s42, s26
.LBB37_32:                              ;   in Loop: Header=BB37_27 Depth=2
	s_mov_b32 s43, 0
.LBB37_33:                              ;   in Loop: Header=BB37_27 Depth=2
	s_delay_alu instid0(SALU_CYCLE_1)
	s_and_not1_b32 vcc_lo, exec_lo, s43
	s_cbranch_vccnz .LBB37_35
; %bb.34:                               ;   in Loop: Header=BB37_27 Depth=2
	s_add_i32 s42, s26, 1
	s_mov_b32 s41, s39
	s_mov_b32 s27, s38
.LBB37_35:                              ;   in Loop: Header=BB37_27 Depth=2
	s_cmp_le_i32 s42, s25
	s_cselect_b32 s26, -1, 0
	s_cmp_le_i32 s40, s24
	s_cselect_b32 s38, -1, 0
	s_delay_alu instid0(SALU_CYCLE_1) | instskip(NEXT) | instid1(SALU_CYCLE_1)
	s_and_b32 s26, s26, s38
	s_and_b32 vcc_lo, exec_lo, s26
	s_cbranch_vccz .LBB37_37
; %bb.36:                               ;   in Loop: Header=BB37_27 Depth=2
	s_mov_b32 s38, s27
	s_mov_b32 s26, s42
	s_mov_b32 s39, s41
	s_branch .LBB37_27
.LBB37_37:                              ;   in Loop: Header=BB37_10 Depth=1
	s_add_u32 s22, s6, s22
	s_addc_u32 s23, s7, s23
	s_waitcnt lgkmcnt(0)
	buffer_gl0_inv
.LBB37_38:                              ;   Parent Loop BB37_10 Depth=1
                                        ; =>  This Inner Loop Header: Depth=2
	global_load_b32 v2, v1, s[22:23] glc
	s_waitcnt vmcnt(0)
	v_cmp_eq_u32_e32 vcc_lo, 0, v2
	s_cbranch_vccnz .LBB37_38
; %bb.39:                               ;   in Loop: Header=BB37_10 Depth=1
	s_cmp_lt_i32 s27, 2
	buffer_gl1_inv
	buffer_gl0_inv
	s_cbranch_scc1 .LBB37_55
; %bb.40:                               ;   in Loop: Header=BB37_10 Depth=1
	s_add_i32 s22, s27, -2
	s_mov_b32 s23, 0
	s_branch .LBB37_42
.LBB37_41:                              ;   in Loop: Header=BB37_42 Depth=2
	s_or_b32 exec_lo, exec_lo, s24
	s_add_i32 s24, s23, 1
	s_cmp_eq_u32 s23, s22
	s_mov_b32 s23, s24
	s_cbranch_scc1 .LBB37_55
.LBB37_42:                              ;   Parent Loop BB37_10 Depth=1
                                        ; =>  This Loop Header: Depth=2
                                        ;       Child Loop BB37_45 Depth 3
	s_and_saveexec_b32 s24, s0
	s_cbranch_execz .LBB37_41
; %bb.43:                               ;   in Loop: Header=BB37_42 Depth=2
	s_lshl_b32 s26, s23, 2
	v_mov_b32_e32 v28, v12
	v_mov_b32_e32 v2, s26
	s_mov_b32 s26, 0
	ds_load_2addr_stride64_b32 v[2:3], v2 offset0:99 offset1:101
	s_waitcnt lgkmcnt(0)
	v_add_nc_u32_e32 v25, v0, v3
	v_add_nc_u32_e32 v24, v3, v16
	;; [unrolled: 1-line block ×4, first 2 shown]
	s_branch .LBB37_45
.LBB37_44:                              ;   in Loop: Header=BB37_45 Depth=3
	v_lshlrev_b32_e32 v2, 3, v28
	v_add_nc_u32_e32 v28, 2, v28
	v_add_nc_u32_e32 v26, 2, v26
	;; [unrolled: 1-line block ×3, first 2 shown]
	s_delay_alu instid0(VALU_DEP_4) | instskip(NEXT) | instid1(VALU_DEP_4)
	v_mad_u32_u24 v4, 0x108, v0, v2
	v_cmp_le_i32_e32 vcc_lo, s29, v28
	ds_load_b64 v[2:3], v4
	s_or_b32 s26, vcc_lo, s26
	s_waitcnt lgkmcnt(0)
	v_add_f64 v[2:3], v[8:9], v[2:3]
	ds_store_b64 v4, v[2:3]
	s_and_not1_b32 exec_lo, exec_lo, s26
	s_cbranch_execz .LBB37_41
.LBB37_45:                              ;   Parent Loop BB37_10 Depth=1
                                        ;     Parent Loop BB37_42 Depth=2
                                        ; =>    This Inner Loop Header: Depth=3
	v_mov_b32_e32 v6, 0
	s_delay_alu instid0(VALU_DEP_3)
	v_dual_mov_b32 v7, 0 :: v_dual_mov_b32 v2, v26
	v_mov_b32_e32 v4, v25
	s_mov_b32 s27, 0
	s_and_b32 vcc_lo, exec_lo, s33
	s_cbranch_vccz .LBB37_49
.LBB37_46:                              ;   in Loop: Header=BB37_45 Depth=3
	v_ashrrev_i32_e32 v3, 31, v2
	v_mov_b32_e32 v10, 0
	v_mov_b32_e32 v11, 0
	s_delay_alu instid0(VALU_DEP_3) | instskip(NEXT) | instid1(VALU_DEP_1)
	v_lshlrev_b64 v[8:9], 3, v[2:3]
	v_add_co_u32 v8, vcc_lo, s18, v8
	s_delay_alu instid0(VALU_DEP_2)
	v_add_co_ci_u32_e32 v9, vcc_lo, s19, v9, vcc_lo
	global_load_b64 v[8:9], v[8:9], off
	s_and_saveexec_b32 s38, s1
	s_cbranch_execz .LBB37_48
; %bb.47:                               ;   in Loop: Header=BB37_45 Depth=3
	v_ashrrev_i32_e32 v5, 31, v4
	s_delay_alu instid0(VALU_DEP_1) | instskip(NEXT) | instid1(VALU_DEP_1)
	v_lshlrev_b64 v[10:11], 3, v[4:5]
	v_add_co_u32 v10, vcc_lo, s18, v10
	s_delay_alu instid0(VALU_DEP_2)
	v_add_co_ci_u32_e32 v11, vcc_lo, s19, v11, vcc_lo
	global_load_b64 v[10:11], v[10:11], off
.LBB37_48:                              ;   in Loop: Header=BB37_45 Depth=3
	s_or_b32 exec_lo, exec_lo, s38
	s_waitcnt vmcnt(0)
	v_fma_f64 v[8:9], v[8:9], v[10:11], v[6:7]
	s_branch .LBB37_53
.LBB37_49:                              ;   in Loop: Header=BB37_45 Depth=3
                                        ; implicit-def: $vgpr8_vgpr9
	s_cbranch_execz .LBB37_53
; %bb.50:                               ;   in Loop: Header=BB37_45 Depth=3
	v_add_nc_u32_e32 v8, s27, v27
	v_mov_b32_e32 v10, 0
	v_mov_b32_e32 v11, 0
	s_delay_alu instid0(VALU_DEP_3) | instskip(NEXT) | instid1(VALU_DEP_1)
	v_ashrrev_i32_e32 v9, 31, v8
	v_lshlrev_b64 v[8:9], 3, v[8:9]
	s_delay_alu instid0(VALU_DEP_1) | instskip(NEXT) | instid1(VALU_DEP_2)
	v_add_co_u32 v8, vcc_lo, s18, v8
	v_add_co_ci_u32_e32 v9, vcc_lo, s19, v9, vcc_lo
	global_load_b64 v[8:9], v[8:9], off
	s_and_saveexec_b32 s38, s1
	s_cbranch_execz .LBB37_52
; %bb.51:                               ;   in Loop: Header=BB37_45 Depth=3
	v_add_nc_u32_e32 v10, s27, v24
	s_delay_alu instid0(VALU_DEP_1) | instskip(NEXT) | instid1(VALU_DEP_1)
	v_ashrrev_i32_e32 v11, 31, v10
	v_lshlrev_b64 v[10:11], 3, v[10:11]
	s_delay_alu instid0(VALU_DEP_1) | instskip(NEXT) | instid1(VALU_DEP_2)
	v_add_co_u32 v10, vcc_lo, s18, v10
	v_add_co_ci_u32_e32 v11, vcc_lo, s19, v11, vcc_lo
	global_load_b64 v[10:11], v[10:11], off
.LBB37_52:                              ;   in Loop: Header=BB37_45 Depth=3
	s_or_b32 exec_lo, exec_lo, s38
	s_waitcnt vmcnt(0)
	v_fma_f64 v[8:9], v[8:9], v[10:11], v[6:7]
.LBB37_53:                              ;   in Loop: Header=BB37_45 Depth=3
	v_add_nc_u32_e32 v4, s29, v4
	v_add_nc_u32_e32 v2, s29, v2
	s_add_i32 s27, s27, 1
	s_delay_alu instid0(SALU_CYCLE_1)
	s_cmp_eq_u32 s29, s27
	s_cbranch_scc1 .LBB37_44
; %bb.54:                               ;   in Loop: Header=BB37_45 Depth=3
	s_delay_alu instid0(VALU_DEP_3)
	v_dual_mov_b32 v6, v8 :: v_dual_mov_b32 v7, v9
	s_and_b32 vcc_lo, exec_lo, s33
	s_cbranch_vccz .LBB37_49
	s_branch .LBB37_46
.LBB37_55:                              ;   in Loop: Header=BB37_10 Depth=1
	s_and_not1_b32 vcc_lo, exec_lo, s34
	s_waitcnt lgkmcnt(0)
	buffer_gl0_inv
	s_cbranch_vccnz .LBB37_70
; %bb.56:                               ;   in Loop: Header=BB37_10 Depth=1
	v_mov_b32_e32 v8, v21
	s_mul_i32 s24, s35, s25
	s_mov_b32 s25, 0
	s_mov_b32 s26, s24
	s_branch .LBB37_58
.LBB37_57:                              ;   in Loop: Header=BB37_58 Depth=2
	s_or_b32 exec_lo, exec_lo, s22
	v_add_nc_u32_e32 v8, 8, v8
	s_add_i32 s25, s25, 1
	s_add_i32 s26, s26, 1
	s_cmp_eq_u32 s25, s29
	s_waitcnt lgkmcnt(0)
	buffer_gl0_inv
	s_cbranch_scc1 .LBB37_70
.LBB37_58:                              ;   Parent Loop BB37_10 Depth=1
                                        ; =>  This Loop Header: Depth=2
                                        ;       Child Loop BB37_65 Depth 3
                                        ;       Child Loop BB37_69 Depth 3
	s_mul_i32 s27, s25, s29
	v_lshl_add_u32 v9, s25, 3, v13
	s_add_i32 s27, s27, s24
	s_delay_alu instid0(SALU_CYCLE_1) | instskip(SKIP_2) | instid1(SALU_CYCLE_1)
	s_add_i32 s22, s27, s25
	ds_load_b64 v[2:3], v9 offset:8448
	s_ashr_i32 s23, s22, 31
	s_lshl_b64 s[22:23], s[22:23], 3
	s_delay_alu instid0(SALU_CYCLE_1)
	s_add_u32 s22, s18, s22
	s_addc_u32 s23, s19, s23
	global_load_b64 v[4:5], v1, s[22:23]
	s_waitcnt vmcnt(0)
	v_cmp_neq_f64_e32 vcc_lo, 0, v[4:5]
	v_cndmask_b32_e32 v5, 0x3ff00000, v5, vcc_lo
	v_cndmask_b32_e32 v4, 0, v4, vcc_lo
	s_or_b32 s22, vcc_lo, s2
	s_delay_alu instid0(SALU_CYCLE_1) | instskip(NEXT) | instid1(SALU_CYCLE_1)
	s_xor_b32 s23, s22, -1
	s_and_saveexec_b32 s22, s23
	s_cbranch_execz .LBB37_62
; %bb.59:                               ;   in Loop: Header=BB37_58 Depth=2
	v_mbcnt_lo_u32_b32 v4, exec_lo, 0
	s_mov_b32 s23, exec_lo
	s_delay_alu instid0(VALU_DEP_1)
	v_cmpx_eq_u32_e32 0, v4
	s_cbranch_execz .LBB37_61
; %bb.60:                               ;   in Loop: Header=BB37_58 Depth=2
	v_mov_b32_e32 v4, s37
	global_atomic_min_i32 v1, v4, s[10:11]
.LBB37_61:                              ;   in Loop: Header=BB37_58 Depth=2
	s_or_b32 exec_lo, exec_lo, s23
	v_mov_b32_e32 v4, 0
	v_mov_b32_e32 v5, 0x3ff00000
.LBB37_62:                              ;   in Loop: Header=BB37_58 Depth=2
	s_or_b32 exec_lo, exec_lo, s22
	ds_load_b64 v[6:7], v9
	s_cmp_eq_u32 s25, 0
	s_cbranch_scc1 .LBB37_67
; %bb.63:                               ;   in Loop: Header=BB37_58 Depth=2
	v_mov_b32_e32 v10, v19
	s_mov_b32 s38, 0
	s_mov_b32 s39, s26
	s_branch .LBB37_65
	.p2align	6
.LBB37_64:                              ;   in Loop: Header=BB37_65 Depth=3
	s_ashr_i32 s23, s22, 31
	ds_load_b64 v[26:27], v10
	s_lshl_b64 s[22:23], s[22:23], 3
	v_add_nc_u32_e32 v10, 8, v10
	s_add_u32 s22, s18, s22
	s_addc_u32 s23, s19, s23
	s_add_i32 s38, s38, 1
	global_load_b64 v[24:25], v1, s[22:23]
	s_add_i32 s39, s39, s29
	s_cmp_ge_u32 s38, s25
	s_waitcnt vmcnt(0) lgkmcnt(0)
	v_fma_f64 v[6:7], v[24:25], v[26:27], v[6:7]
	s_cbranch_scc1 .LBB37_67
.LBB37_65:                              ;   Parent Loop BB37_10 Depth=1
                                        ;     Parent Loop BB37_58 Depth=2
                                        ; =>    This Inner Loop Header: Depth=3
	s_and_not1_b32 vcc_lo, exec_lo, s31
	s_mov_b32 s22, s39
	s_cbranch_vccnz .LBB37_64
; %bb.66:                               ;   in Loop: Header=BB37_65 Depth=3
	s_add_i32 s22, s38, s27
	s_branch .LBB37_64
.LBB37_67:                              ;   in Loop: Header=BB37_58 Depth=2
	s_waitcnt lgkmcnt(0)
	s_delay_alu instid0(VALU_DEP_1) | instskip(SKIP_1) | instid1(VALU_DEP_2)
	v_add_f64 v[2:3], v[2:3], -v[6:7]
	v_add_nc_u32_e32 v9, 0x2100, v9
	v_div_scale_f64 v[6:7], null, v[4:5], v[4:5], v[2:3]
	v_div_scale_f64 v[26:27], vcc_lo, v[2:3], v[4:5], v[2:3]
	s_delay_alu instid0(VALU_DEP_2) | instskip(SKIP_2) | instid1(VALU_DEP_1)
	v_rcp_f64_e32 v[10:11], v[6:7]
	s_waitcnt_depctr 0xfff
	v_fma_f64 v[24:25], -v[6:7], v[10:11], 1.0
	v_fma_f64 v[10:11], v[10:11], v[24:25], v[10:11]
	s_delay_alu instid0(VALU_DEP_1) | instskip(NEXT) | instid1(VALU_DEP_1)
	v_fma_f64 v[24:25], -v[6:7], v[10:11], 1.0
	v_fma_f64 v[10:11], v[10:11], v[24:25], v[10:11]
	s_delay_alu instid0(VALU_DEP_1) | instskip(NEXT) | instid1(VALU_DEP_1)
	v_mul_f64 v[24:25], v[26:27], v[10:11]
	v_fma_f64 v[6:7], -v[6:7], v[24:25], v[26:27]
	s_delay_alu instid0(VALU_DEP_1) | instskip(NEXT) | instid1(VALU_DEP_1)
	v_div_fmas_f64 v[6:7], v[6:7], v[10:11], v[24:25]
	v_div_fixup_f64 v[2:3], v[6:7], v[4:5], v[2:3]
	ds_store_b64 v9, v[2:3]
	s_waitcnt lgkmcnt(0)
	s_waitcnt_vscnt null, 0x0
	buffer_gl0_inv
	s_and_saveexec_b32 s22, s0
	s_cbranch_execz .LBB37_57
; %bb.68:                               ;   in Loop: Header=BB37_58 Depth=2
	v_dual_mov_b32 v4, v22 :: v_dual_mov_b32 v5, v8
	v_mov_b32_e32 v6, v12
	s_mov_b32 s23, 0
	.p2align	6
.LBB37_69:                              ;   Parent Loop BB37_10 Depth=1
                                        ;     Parent Loop BB37_58 Depth=2
                                        ; =>    This Inner Loop Header: Depth=3
	ds_load_b64 v[9:10], v5
	ds_load_b64 v[24:25], v4
	v_add_nc_u32_e32 v6, 2, v6
	v_add_nc_u32_e32 v5, 0x210, v5
	s_delay_alu instid0(VALU_DEP_2)
	v_cmp_le_i32_e32 vcc_lo, s29, v6
	s_or_b32 s23, vcc_lo, s23
	s_waitcnt lgkmcnt(0)
	v_fma_f64 v[9:10], v[2:3], v[9:10], v[24:25]
	ds_store_b64 v4, v[9:10]
	v_add_nc_u32_e32 v4, 16, v4
	s_and_not1_b32 exec_lo, exec_lo, s23
	s_cbranch_execnz .LBB37_69
	s_branch .LBB37_57
.LBB37_70:                              ;   in Loop: Header=BB37_10 Depth=1
	s_and_saveexec_b32 s22, s0
	s_cbranch_execz .LBB37_9
; %bb.71:                               ;   in Loop: Header=BB37_10 Depth=1
	v_dual_mov_b32 v6, v23 :: v_dual_mov_b32 v7, v12
	s_mov_b32 s23, 0
	s_set_inst_prefetch_distance 0x1
	s_branch .LBB37_74
	.p2align	6
.LBB37_72:                              ;   in Loop: Header=BB37_74 Depth=2
	s_delay_alu instid0(VALU_DEP_1) | instskip(NEXT) | instid1(VALU_DEP_1)
	v_ashrrev_i32_e32 v5, 31, v4
	v_lshlrev_b64 v[4:5], 3, v[4:5]
	s_delay_alu instid0(VALU_DEP_1) | instskip(NEXT) | instid1(VALU_DEP_2)
	v_add_co_u32 v4, vcc_lo, s18, v4
	v_add_co_ci_u32_e32 v5, vcc_lo, s19, v5, vcc_lo
	s_waitcnt lgkmcnt(0)
	global_store_b64 v[4:5], v[2:3], off
.LBB37_73:                              ;   in Loop: Header=BB37_74 Depth=2
	s_or_b32 exec_lo, exec_lo, s24
	v_add_nc_u32_e32 v7, 2, v7
	v_add_nc_u32_e32 v6, 16, v6
	s_delay_alu instid0(VALU_DEP_2) | instskip(SKIP_1) | instid1(SALU_CYCLE_1)
	v_cmp_le_i32_e32 vcc_lo, s29, v7
	s_or_b32 s23, vcc_lo, s23
	s_and_not1_b32 exec_lo, exec_lo, s23
	s_cbranch_execz .LBB37_9
.LBB37_74:                              ;   Parent Loop BB37_10 Depth=1
                                        ; =>  This Inner Loop Header: Depth=2
	s_and_saveexec_b32 s24, s1
	s_cbranch_execz .LBB37_73
; %bb.75:                               ;   in Loop: Header=BB37_74 Depth=2
	ds_load_b64 v[2:3], v6
	s_and_b32 vcc_lo, exec_lo, s33
	s_cbranch_vccz .LBB37_77
; %bb.76:                               ;   in Loop: Header=BB37_74 Depth=2
	v_add_nc_u32_e32 v8, s21, v7
	s_delay_alu instid0(VALU_DEP_1)
	v_mad_u64_u32 v[4:5], null, v8, s29, v[0:1]
	s_cbranch_execnz .LBB37_72
	s_branch .LBB37_78
	.p2align	6
.LBB37_77:                              ;   in Loop: Header=BB37_74 Depth=2
                                        ; implicit-def: $vgpr4
.LBB37_78:                              ;   in Loop: Header=BB37_74 Depth=2
	v_add_nc_u32_e32 v4, v20, v7
	s_branch .LBB37_72
.LBB37_79:                              ;   in Loop: Header=BB37_10 Depth=1
                                        ; implicit-def: $sgpr20
                                        ; implicit-def: $vgpr20
	s_cbranch_execz .LBB37_10
.LBB37_80:
	v_cmp_gt_i32_e64 s0, s29, v12
	s_delay_alu instid0(VALU_DEP_1)
	s_and_saveexec_b32 s4, s0
	s_cbranch_execz .LBB37_93
; %bb.81:
	s_mul_i32 s5, s28, s29
	v_cmp_gt_i32_e64 s1, s29, v0
	v_dual_mov_b32 v6, v12 :: v_dual_add_nc_u32 v1, s5, v0
	v_add3_u32 v5, v13, v14, 0x2100
	s_cmp_lg_u32 s30, 0
	s_mov_b32 s12, 0
	s_delay_alu instid0(VALU_DEP_2)
	v_mul_lo_u32 v4, v1, s29
	s_cselect_b32 s13, -1, 0
	s_branch .LBB37_83
.LBB37_82:                              ;   in Loop: Header=BB37_83 Depth=1
	s_or_b32 exec_lo, exec_lo, s2
	v_add_nc_u32_e32 v6, 2, v6
	s_waitcnt vmcnt(0)
	ds_store_b64 v5, v[2:3]
	v_add_nc_u32_e32 v5, 16, v5
	v_cmp_le_i32_e32 vcc_lo, s29, v6
	s_or_b32 s12, vcc_lo, s12
	s_delay_alu instid0(SALU_CYCLE_1)
	s_and_not1_b32 exec_lo, exec_lo, s12
	s_cbranch_execz .LBB37_93
.LBB37_83:                              ; =>This Inner Loop Header: Depth=1
	s_and_b32 vcc_lo, exec_lo, s13
	s_cbranch_vccz .LBB37_88
; %bb.84:                               ;   in Loop: Header=BB37_83 Depth=1
	s_mov_b32 s15, 0
	s_mov_b32 s14, 0
                                        ; implicit-def: $vgpr1
	s_and_saveexec_b32 s2, s1
	s_delay_alu instid0(SALU_CYCLE_1)
	s_xor_b32 s2, exec_lo, s2
; %bb.85:                               ;   in Loop: Header=BB37_83 Depth=1
	v_add_nc_u32_e32 v3, s5, v6
	s_mov_b32 s14, exec_lo
	s_delay_alu instid0(VALU_DEP_1)
	v_mad_u64_u32 v[1:2], null, v3, s29, v[0:1]
; %bb.86:                               ;   in Loop: Header=BB37_83 Depth=1
	s_or_b32 exec_lo, exec_lo, s2
	s_mov_b64 s[2:3], 0
	s_and_b32 vcc_lo, exec_lo, s15
	s_cbranch_vccnz .LBB37_89
.LBB37_87:                              ;   in Loop: Header=BB37_83 Depth=1
	v_dual_mov_b32 v2, s2 :: v_dual_mov_b32 v3, s3
	s_and_saveexec_b32 s2, s14
	s_cbranch_execz .LBB37_82
	s_branch .LBB37_92
.LBB37_88:                              ;   in Loop: Header=BB37_83 Depth=1
	s_mov_b32 s14, 0
                                        ; implicit-def: $vgpr1
                                        ; implicit-def: $sgpr2_sgpr3
	s_cbranch_execz .LBB37_87
.LBB37_89:                              ;   in Loop: Header=BB37_83 Depth=1
                                        ; implicit-def: $vgpr1
	s_and_saveexec_b32 s2, s1
; %bb.90:                               ;   in Loop: Header=BB37_83 Depth=1
	v_add_nc_u32_e32 v1, v4, v6
	s_or_b32 s14, s14, exec_lo
; %bb.91:                               ;   in Loop: Header=BB37_83 Depth=1
	s_or_b32 exec_lo, exec_lo, s2
	s_mov_b64 s[2:3], 0
	s_delay_alu instid0(SALU_CYCLE_1)
	v_dual_mov_b32 v2, s2 :: v_dual_mov_b32 v3, s3
	s_and_saveexec_b32 s2, s14
	s_cbranch_execz .LBB37_82
.LBB37_92:                              ;   in Loop: Header=BB37_83 Depth=1
	v_ashrrev_i32_e32 v2, 31, v1
	s_delay_alu instid0(VALU_DEP_1) | instskip(NEXT) | instid1(VALU_DEP_1)
	v_lshlrev_b64 v[1:2], 3, v[1:2]
	v_add_co_u32 v1, vcc_lo, s18, v1
	s_delay_alu instid0(VALU_DEP_2)
	v_add_co_ci_u32_e32 v2, vcc_lo, s19, v2, vcc_lo
	global_load_b64 v[2:3], v[1:2], off
	s_branch .LBB37_82
.LBB37_93:
	s_or_b32 exec_lo, exec_lo, s4
; %bb.94:
	s_cmp_lt_i32 s29, 1
	s_waitcnt lgkmcnt(0)
	buffer_gl0_inv
	s_cbranch_scc1 .LBB37_107
; %bb.95:
	v_or_b32_e32 v1, v12, v0
	v_mad_u32_u24 v2, 0x108, v0, v15
	s_movk_i32 s2, 0x2100
	v_add3_u32 v8, v13, v14, 0x4200
	v_mad_u32_u24 v7, 0x108, v12, s2
	v_cmp_ne_u32_e64 s1, 0, v1
	v_add_nc_u32_e32 v5, 0x2100, v2
	v_dual_mov_b32 v9, 0 :: v_dual_add_nc_u32 v6, 0x4200, v2
	s_mov_b32 s2, 0
	s_add_i32 s3, s16, s17
	s_branch .LBB37_97
.LBB37_96:                              ;   in Loop: Header=BB37_97 Depth=1
	s_or_b32 exec_lo, exec_lo, s4
	v_add_nc_u32_e32 v7, 8, v7
	s_add_i32 s2, s2, 1
	s_waitcnt lgkmcnt(0)
	s_waitcnt_vscnt null, 0x0
	buffer_gl0_inv
	s_cmp_eq_u32 s2, s29
	s_cbranch_scc1 .LBB37_107
.LBB37_97:                              ; =>This Loop Header: Depth=1
                                        ;     Child Loop BB37_106 Depth 2
	s_mov_b32 s4, exec_lo
	v_cmpx_eq_u32_e64 s2, v0
	s_cbranch_execz .LBB37_99
; %bb.98:                               ;   in Loop: Header=BB37_97 Depth=1
	ds_load_b64 v[1:2], v5
	ds_load_b64 v[3:4], v6
	s_waitcnt lgkmcnt(0)
	v_add_f64 v[1:2], v[1:2], -v[3:4]
	s_delay_alu instid0(VALU_DEP_1) | instskip(SKIP_1) | instid1(VALU_DEP_1)
	v_cmp_gt_f64_e32 vcc_lo, 0, v[1:2]
	v_xor_b32_e32 v3, 0x80000000, v2
	v_dual_cndmask_b32 v2, v2, v3 :: v_dual_cndmask_b32 v1, v1, v1
	s_delay_alu instid0(VALU_DEP_1) | instskip(SKIP_1) | instid1(VALU_DEP_1)
	v_cmp_gt_f64_e32 vcc_lo, 0x10000000, v[1:2]
	v_cndmask_b32_e64 v3, 0, 1, vcc_lo
	v_lshlrev_b32_e32 v3, 8, v3
	s_delay_alu instid0(VALU_DEP_1) | instskip(NEXT) | instid1(VALU_DEP_1)
	v_ldexp_f64 v[1:2], v[1:2], v3
	v_rsq_f64_e32 v[3:4], v[1:2]
	s_waitcnt_depctr 0xfff
	v_mul_f64 v[10:11], v[1:2], v[3:4]
	v_mul_f64 v[3:4], v[3:4], 0.5
	s_delay_alu instid0(VALU_DEP_1) | instskip(NEXT) | instid1(VALU_DEP_1)
	v_fma_f64 v[15:16], -v[3:4], v[10:11], 0.5
	v_fma_f64 v[10:11], v[10:11], v[15:16], v[10:11]
	v_fma_f64 v[3:4], v[3:4], v[15:16], v[3:4]
	s_delay_alu instid0(VALU_DEP_2) | instskip(NEXT) | instid1(VALU_DEP_1)
	v_fma_f64 v[15:16], -v[10:11], v[10:11], v[1:2]
	v_fma_f64 v[10:11], v[15:16], v[3:4], v[10:11]
	s_delay_alu instid0(VALU_DEP_1) | instskip(NEXT) | instid1(VALU_DEP_1)
	v_fma_f64 v[15:16], -v[10:11], v[10:11], v[1:2]
	v_fma_f64 v[3:4], v[15:16], v[3:4], v[10:11]
	v_cndmask_b32_e64 v10, 0, 0xffffff80, vcc_lo
	v_cmp_class_f64_e64 vcc_lo, v[1:2], 0x260
	s_delay_alu instid0(VALU_DEP_2) | instskip(NEXT) | instid1(VALU_DEP_1)
	v_ldexp_f64 v[3:4], v[3:4], v10
	v_dual_cndmask_b32 v2, v4, v2 :: v_dual_cndmask_b32 v1, v3, v1
	ds_store_b64 v5, v[1:2]
.LBB37_99:                              ;   in Loop: Header=BB37_97 Depth=1
	s_or_b32 exec_lo, exec_lo, s4
	s_lshl_b32 s4, s2, 3
	s_mul_i32 s5, s2, 0x108
	s_waitcnt lgkmcnt(0)
	buffer_gl0_inv
	s_add_i32 s5, s5, s4
	v_mad_u32_u24 v10, 0x108, v0, s4
	v_mov_b32_e32 v1, s5
	ds_load_b64 v[3:4], v1 offset:8448
	ds_load_b64 v[1:2], v10 offset:8448
	s_waitcnt lgkmcnt(1)
	v_cmp_neq_f64_e32 vcc_lo, 0, v[3:4]
	v_cndmask_b32_e32 v4, 0x3ff00000, v4, vcc_lo
	v_cndmask_b32_e32 v3, 0, v3, vcc_lo
	s_or_b32 s4, vcc_lo, s1
	s_delay_alu instid0(SALU_CYCLE_1) | instskip(NEXT) | instid1(SALU_CYCLE_1)
	s_xor_b32 s5, s4, -1
	s_and_saveexec_b32 s4, s5
	s_cbranch_execz .LBB37_103
; %bb.100:                              ;   in Loop: Header=BB37_97 Depth=1
	v_mbcnt_lo_u32_b32 v3, exec_lo, 0
	s_mov_b32 s5, exec_lo
	s_delay_alu instid0(VALU_DEP_1)
	v_cmpx_eq_u32_e32 0, v3
	s_cbranch_execz .LBB37_102
; %bb.101:                              ;   in Loop: Header=BB37_97 Depth=1
	v_mov_b32_e32 v3, s3
	global_atomic_min_i32 v9, v3, s[10:11]
.LBB37_102:                             ;   in Loop: Header=BB37_97 Depth=1
	s_or_b32 exec_lo, exec_lo, s5
	v_mov_b32_e32 v3, 0
	v_mov_b32_e32 v4, 0x3ff00000
.LBB37_103:                             ;   in Loop: Header=BB37_97 Depth=1
	s_or_b32 exec_lo, exec_lo, s4
	s_delay_alu instid0(SALU_CYCLE_1)
	s_mov_b32 s4, exec_lo
	v_cmpx_lt_u32_e64 s2, v0
	s_cbranch_execz .LBB37_96
; %bb.104:                              ;   in Loop: Header=BB37_97 Depth=1
	v_lshl_add_u32 v11, s2, 3, v13
	ds_load_b64 v[15:16], v11 offset:16896
	s_waitcnt lgkmcnt(0)
	v_add_f64 v[1:2], v[1:2], -v[15:16]
	s_delay_alu instid0(VALU_DEP_1) | instskip(SKIP_1) | instid1(VALU_DEP_2)
	v_div_scale_f64 v[15:16], null, v[3:4], v[3:4], v[1:2]
	v_div_scale_f64 v[21:22], vcc_lo, v[1:2], v[3:4], v[1:2]
	v_rcp_f64_e32 v[17:18], v[15:16]
	s_waitcnt_depctr 0xfff
	v_fma_f64 v[19:20], -v[15:16], v[17:18], 1.0
	s_delay_alu instid0(VALU_DEP_1) | instskip(NEXT) | instid1(VALU_DEP_1)
	v_fma_f64 v[17:18], v[17:18], v[19:20], v[17:18]
	v_fma_f64 v[19:20], -v[15:16], v[17:18], 1.0
	s_delay_alu instid0(VALU_DEP_1) | instskip(NEXT) | instid1(VALU_DEP_1)
	v_fma_f64 v[17:18], v[17:18], v[19:20], v[17:18]
	v_mul_f64 v[19:20], v[21:22], v[17:18]
	s_delay_alu instid0(VALU_DEP_1) | instskip(NEXT) | instid1(VALU_DEP_1)
	v_fma_f64 v[15:16], -v[15:16], v[19:20], v[21:22]
	v_div_fmas_f64 v[15:16], v[15:16], v[17:18], v[19:20]
	s_delay_alu instid0(VALU_DEP_1)
	v_div_fixup_f64 v[1:2], v[15:16], v[3:4], v[1:2]
	v_add_nc_u32_e32 v3, 0x2100, v10
	ds_store_b64 v3, v[1:2]
	s_waitcnt lgkmcnt(0)
	s_waitcnt_vscnt null, 0x0
	buffer_gl0_inv
	s_and_b32 exec_lo, exec_lo, s0
	s_cbranch_execz .LBB37_96
; %bb.105:                              ;   in Loop: Header=BB37_97 Depth=1
	v_dual_mov_b32 v3, v8 :: v_dual_mov_b32 v4, v7
	v_mov_b32_e32 v10, v12
	s_mov_b32 s5, 0
	.p2align	6
.LBB37_106:                             ;   Parent Loop BB37_97 Depth=1
                                        ; =>  This Inner Loop Header: Depth=2
	ds_load_b64 v[15:16], v4
	ds_load_b64 v[17:18], v3
	v_add_nc_u32_e32 v10, 2, v10
	v_add_nc_u32_e32 v4, 0x210, v4
	s_delay_alu instid0(VALU_DEP_2)
	v_cmp_le_i32_e32 vcc_lo, s29, v10
	s_or_b32 s5, vcc_lo, s5
	s_waitcnt lgkmcnt(0)
	v_fma_f64 v[15:16], v[1:2], v[15:16], v[17:18]
	ds_store_b64 v3, v[15:16]
	v_add_nc_u32_e32 v3, 16, v3
	s_and_not1_b32 exec_lo, exec_lo, s5
	s_cbranch_execnz .LBB37_106
	s_branch .LBB37_96
.LBB37_107:
	s_and_saveexec_b32 s1, s0
	s_cbranch_execz .LBB37_116
; %bb.108:
	s_mul_i32 s28, s28, s29
	v_cmp_gt_i32_e64 s0, s29, v0
	v_add_nc_u32_e32 v1, s28, v0
	v_add3_u32 v6, v13, v14, 0x2100
	v_mov_b32_e32 v7, v12
	s_cmp_lg_u32 s30, 0
	s_mov_b32 s2, 0
	v_mul_lo_u32 v5, v1, s29
	s_cselect_b32 s3, -1, 0
	s_set_inst_prefetch_distance 0x1
	s_branch .LBB37_111
	.p2align	6
.LBB37_109:                             ;   in Loop: Header=BB37_111 Depth=1
	s_delay_alu instid0(VALU_DEP_1) | instskip(NEXT) | instid1(VALU_DEP_1)
	v_ashrrev_i32_e32 v4, 31, v3
	v_lshlrev_b64 v[3:4], 3, v[3:4]
	s_delay_alu instid0(VALU_DEP_1) | instskip(NEXT) | instid1(VALU_DEP_2)
	v_add_co_u32 v3, vcc_lo, s18, v3
	v_add_co_ci_u32_e32 v4, vcc_lo, s19, v4, vcc_lo
	s_waitcnt lgkmcnt(0)
	global_store_b64 v[3:4], v[1:2], off
.LBB37_110:                             ;   in Loop: Header=BB37_111 Depth=1
	s_or_b32 exec_lo, exec_lo, s4
	v_add_nc_u32_e32 v7, 2, v7
	v_add_nc_u32_e32 v6, 16, v6
	s_delay_alu instid0(VALU_DEP_2) | instskip(SKIP_1) | instid1(SALU_CYCLE_1)
	v_cmp_le_i32_e32 vcc_lo, s29, v7
	s_or_b32 s2, vcc_lo, s2
	s_and_not1_b32 exec_lo, exec_lo, s2
	s_cbranch_execz .LBB37_116
.LBB37_111:                             ; =>This Inner Loop Header: Depth=1
	s_and_saveexec_b32 s4, s0
	s_cbranch_execz .LBB37_110
; %bb.112:                              ;   in Loop: Header=BB37_111 Depth=1
	ds_load_b64 v[1:2], v6
	s_and_b32 vcc_lo, exec_lo, s3
	s_cbranch_vccz .LBB37_114
; %bb.113:                              ;   in Loop: Header=BB37_111 Depth=1
	v_add_nc_u32_e32 v8, s28, v7
	s_waitcnt lgkmcnt(0)
	s_delay_alu instid0(VALU_DEP_1)
	v_mad_u64_u32 v[3:4], null, v8, s29, v[0:1]
	s_cbranch_execnz .LBB37_109
	s_branch .LBB37_115
.LBB37_114:                             ;   in Loop: Header=BB37_111 Depth=1
                                        ; implicit-def: $vgpr3
.LBB37_115:                             ;   in Loop: Header=BB37_111 Depth=1
	v_add_nc_u32_e32 v3, v5, v7
	s_branch .LBB37_109
.LBB37_116:
	s_set_inst_prefetch_distance 0x2
	s_or_b32 exec_lo, exec_lo, s1
	v_or_b32_e32 v1, v12, v0
	s_delay_alu instid0(VALU_DEP_1)
	v_cmp_eq_u32_e64 s3, 0, v1
.LBB37_117:
	s_delay_alu instid0(VALU_DEP_1)
	s_and_saveexec_b32 s0, s3
	s_cbranch_execnz .LBB37_125
.LBB37_118:
	s_nop 0
	s_sendmsg sendmsg(MSG_DEALLOC_VGPRS)
	s_endpgm
.LBB37_119:
	s_cbranch_execz .LBB37_117
; %bb.120:
	v_or_b32_e32 v0, v12, v0
	s_mov_b32 s0, exec_lo
	s_delay_alu instid0(VALU_DEP_1)
	v_cmpx_eq_u32_e32 0, v0
	s_cbranch_execz .LBB37_124
; %bb.121:
	v_mbcnt_lo_u32_b32 v0, exec_lo, 0
	s_mov_b32 s1, exec_lo
	s_delay_alu instid0(VALU_DEP_1)
	v_cmpx_eq_u32_e32 0, v0
	s_cbranch_execz .LBB37_123
; %bb.122:
	s_add_i32 s2, s16, s17
	s_delay_alu instid0(SALU_CYCLE_1)
	v_dual_mov_b32 v0, 0 :: v_dual_mov_b32 v1, s2
	global_atomic_min_i32 v0, v1, s[10:11]
.LBB37_123:
	s_or_b32 exec_lo, exec_lo, s1
	s_delay_alu instid0(SALU_CYCLE_1)
	s_or_b32 s3, s3, exec_lo
.LBB37_124:
	s_or_b32 exec_lo, exec_lo, s0
	s_and_saveexec_b32 s0, s3
	s_cbranch_execz .LBB37_118
.LBB37_125:
	v_dual_mov_b32 v0, 0 :: v_dual_mov_b32 v1, 1
	s_add_u32 s0, s6, s8
	s_addc_u32 s1, s7, s9
	s_waitcnt_vscnt null, 0x0
	global_store_b32 v0, v1, s[0:1]
	s_nop 0
	s_sendmsg sendmsg(MSG_DEALLOC_VGPRS)
	s_endpgm
	.section	.rodata,"a",@progbits
	.p2align	6, 0x0
	.amdhsa_kernel _ZN9rocsparseL19bsric0_17_32_kernelILi64ELi128ELi32EdEEv20rocsparse_direction_iiPKiS3_PT2_S3_PiS3_S6_21rocsparse_index_base_
		.amdhsa_group_segment_fixed_size 26880
		.amdhsa_private_segment_fixed_size 0
		.amdhsa_kernarg_size 76
		.amdhsa_user_sgpr_count 15
		.amdhsa_user_sgpr_dispatch_ptr 0
		.amdhsa_user_sgpr_queue_ptr 0
		.amdhsa_user_sgpr_kernarg_segment_ptr 1
		.amdhsa_user_sgpr_dispatch_id 0
		.amdhsa_user_sgpr_private_segment_size 0
		.amdhsa_wavefront_size32 1
		.amdhsa_uses_dynamic_stack 0
		.amdhsa_enable_private_segment 0
		.amdhsa_system_sgpr_workgroup_id_x 1
		.amdhsa_system_sgpr_workgroup_id_y 0
		.amdhsa_system_sgpr_workgroup_id_z 0
		.amdhsa_system_sgpr_workgroup_info 0
		.amdhsa_system_vgpr_workitem_id 1
		.amdhsa_next_free_vgpr 29
		.amdhsa_next_free_sgpr 45
		.amdhsa_reserve_vcc 1
		.amdhsa_float_round_mode_32 0
		.amdhsa_float_round_mode_16_64 0
		.amdhsa_float_denorm_mode_32 3
		.amdhsa_float_denorm_mode_16_64 3
		.amdhsa_dx10_clamp 1
		.amdhsa_ieee_mode 1
		.amdhsa_fp16_overflow 0
		.amdhsa_workgroup_processor_mode 1
		.amdhsa_memory_ordered 1
		.amdhsa_forward_progress 0
		.amdhsa_shared_vgpr_count 0
		.amdhsa_exception_fp_ieee_invalid_op 0
		.amdhsa_exception_fp_denorm_src 0
		.amdhsa_exception_fp_ieee_div_zero 0
		.amdhsa_exception_fp_ieee_overflow 0
		.amdhsa_exception_fp_ieee_underflow 0
		.amdhsa_exception_fp_ieee_inexact 0
		.amdhsa_exception_int_div_zero 0
	.end_amdhsa_kernel
	.section	.text._ZN9rocsparseL19bsric0_17_32_kernelILi64ELi128ELi32EdEEv20rocsparse_direction_iiPKiS3_PT2_S3_PiS3_S6_21rocsparse_index_base_,"axG",@progbits,_ZN9rocsparseL19bsric0_17_32_kernelILi64ELi128ELi32EdEEv20rocsparse_direction_iiPKiS3_PT2_S3_PiS3_S6_21rocsparse_index_base_,comdat
.Lfunc_end37:
	.size	_ZN9rocsparseL19bsric0_17_32_kernelILi64ELi128ELi32EdEEv20rocsparse_direction_iiPKiS3_PT2_S3_PiS3_S6_21rocsparse_index_base_, .Lfunc_end37-_ZN9rocsparseL19bsric0_17_32_kernelILi64ELi128ELi32EdEEv20rocsparse_direction_iiPKiS3_PT2_S3_PiS3_S6_21rocsparse_index_base_
                                        ; -- End function
	.section	.AMDGPU.csdata,"",@progbits
; Kernel info:
; codeLenInByte = 4132
; NumSgprs: 47
; NumVgprs: 29
; ScratchSize: 0
; MemoryBound: 0
; FloatMode: 240
; IeeeMode: 1
; LDSByteSize: 26880 bytes/workgroup (compile time only)
; SGPRBlocks: 5
; VGPRBlocks: 3
; NumSGPRsForWavesPerEU: 47
; NumVGPRsForWavesPerEU: 29
; Occupancy: 2
; WaveLimiterHint : 1
; COMPUTE_PGM_RSRC2:SCRATCH_EN: 0
; COMPUTE_PGM_RSRC2:USER_SGPR: 15
; COMPUTE_PGM_RSRC2:TRAP_HANDLER: 0
; COMPUTE_PGM_RSRC2:TGID_X_EN: 1
; COMPUTE_PGM_RSRC2:TGID_Y_EN: 0
; COMPUTE_PGM_RSRC2:TGID_Z_EN: 0
; COMPUTE_PGM_RSRC2:TIDIG_COMP_CNT: 1
	.section	.text._ZN9rocsparseL23bsric0_binsearch_kernelILj32ELj32ELb0E21rocsparse_complex_numIfEEEv20rocsparse_direction_iiPKiS5_PT2_S5_PiS5_S8_21rocsparse_index_base_,"axG",@progbits,_ZN9rocsparseL23bsric0_binsearch_kernelILj32ELj32ELb0E21rocsparse_complex_numIfEEEv20rocsparse_direction_iiPKiS5_PT2_S5_PiS5_S8_21rocsparse_index_base_,comdat
	.globl	_ZN9rocsparseL23bsric0_binsearch_kernelILj32ELj32ELb0E21rocsparse_complex_numIfEEEv20rocsparse_direction_iiPKiS5_PT2_S5_PiS5_S8_21rocsparse_index_base_ ; -- Begin function _ZN9rocsparseL23bsric0_binsearch_kernelILj32ELj32ELb0E21rocsparse_complex_numIfEEEv20rocsparse_direction_iiPKiS5_PT2_S5_PiS5_S8_21rocsparse_index_base_
	.p2align	8
	.type	_ZN9rocsparseL23bsric0_binsearch_kernelILj32ELj32ELb0E21rocsparse_complex_numIfEEEv20rocsparse_direction_iiPKiS5_PT2_S5_PiS5_S8_21rocsparse_index_base_,@function
_ZN9rocsparseL23bsric0_binsearch_kernelILj32ELj32ELb0E21rocsparse_complex_numIfEEEv20rocsparse_direction_iiPKiS5_PT2_S5_PiS5_S8_21rocsparse_index_base_: ; @_ZN9rocsparseL23bsric0_binsearch_kernelILj32ELj32ELb0E21rocsparse_complex_numIfEEEv20rocsparse_direction_iiPKiS5_PT2_S5_PiS5_S8_21rocsparse_index_base_
; %bb.0:
	s_mov_b32 s2, s15
	s_load_b256 s[8:15], s[0:1], 0x28
	s_ashr_i32 s3, s2, 31
	s_delay_alu instid0(SALU_CYCLE_1)
	s_lshl_b64 s[2:3], s[2:3], 2
	s_waitcnt lgkmcnt(0)
	s_add_u32 s2, s12, s2
	s_addc_u32 s3, s13, s3
	s_load_b32 s12, s[2:3], 0x0
	s_waitcnt lgkmcnt(0)
	s_ashr_i32 s13, s12, 31
	s_delay_alu instid0(SALU_CYCLE_1) | instskip(SKIP_1) | instid1(SALU_CYCLE_1)
	v_dual_mov_b32 v2, s12 :: v_dual_mov_b32 v3, s13
	s_lshl_b64 s[2:3], s[12:13], 2
	s_add_u32 s2, s8, s2
	s_addc_u32 s3, s9, s3
	s_load_b32 s24, s[2:3], 0x0
	s_load_b32 s7, s[0:1], 0x48
	s_mov_b32 s2, 0
	s_waitcnt lgkmcnt(0)
	s_cmp_lg_u32 s24, -1
	s_cselect_b32 s3, -1, 0
	s_delay_alu instid0(SALU_CYCLE_1) | instskip(NEXT) | instid1(SALU_CYCLE_1)
	s_and_saveexec_b32 s4, s3
	s_xor_b32 s23, exec_lo, s4
	s_cbranch_execnz .LBB38_4
; %bb.1:
	s_and_not1_saveexec_b32 s0, s23
	s_cbranch_execnz .LBB38_77
.LBB38_2:
	s_or_b32 exec_lo, exec_lo, s0
	s_and_saveexec_b32 s0, s2
	s_cbranch_execnz .LBB38_84
.LBB38_3:
	s_nop 0
	s_sendmsg sendmsg(MSG_DEALLOC_VGPRS)
	s_endpgm
.LBB38_4:
	s_load_b32 s25, s[0:1], 0x8
	s_mov_b32 s26, exec_lo
	s_waitcnt lgkmcnt(0)
	v_cmpx_gt_i32_e64 s25, v0
	s_cbranch_execz .LBB38_76
; %bb.5:
	s_clause 0x1
	s_load_b128 s[16:19], s[0:1], 0x10
	s_load_b32 s5, s[0:1], 0x0
	v_lshlrev_b64 v[3:4], 2, s[12:13]
	s_load_b64 s[20:21], s[0:1], 0x20
	v_add_nc_u32_e32 v19, s7, v2
	s_mul_i32 s27, s25, s25
	v_cmp_ne_u32_e64 s0, 0, v0
	v_mul_lo_u32 v21, s24, s27
	v_mov_b32_e32 v23, v0
	s_mov_b32 s28, 0
	s_waitcnt lgkmcnt(0)
	v_add_co_u32 v3, vcc_lo, s16, v3
	v_add_co_ci_u32_e32 v4, vcc_lo, s17, v4, vcc_lo
	s_cmp_eq_u32 s5, 0
	s_cselect_b32 s1, -1, 0
	global_load_b64 v[3:4], v[3:4], off
	s_cmp_lg_u32 s5, 0
	s_cselect_b32 s29, -1, 0
	s_waitcnt vmcnt(0)
	v_subrev_nc_u32_e32 v17, s7, v3
	v_xad_u32 v18, s7, -1, v4
	s_delay_alu instid0(VALU_DEP_2) | instskip(NEXT) | instid1(VALU_DEP_2)
	v_mul_lo_u32 v20, s27, v17
	v_add_nc_u32_e32 v1, v18, v17
	v_mov_b32_e32 v3, 0
	v_cmp_gt_i32_e64 s2, s24, v17
	v_cmp_le_i32_e64 s3, s24, v17
	v_cmp_lt_i32_e64 s4, v17, v18
	v_ashrrev_i32_e32 v1, 1, v1
	v_add_nc_u32_e32 v22, v20, v0
	s_delay_alu instid0(VALU_DEP_2) | instskip(NEXT) | instid1(VALU_DEP_1)
	v_ashrrev_i32_e32 v2, 31, v1
	v_lshlrev_b64 v[4:5], 2, v[1:2]
	s_delay_alu instid0(VALU_DEP_1) | instskip(NEXT) | instid1(VALU_DEP_2)
	v_add_co_u32 v4, vcc_lo, s18, v4
	v_add_co_ci_u32_e32 v5, vcc_lo, s19, v5, vcc_lo
	s_branch .LBB38_7
.LBB38_6:                               ;   in Loop: Header=BB38_7 Depth=1
	v_add_nc_u32_e32 v23, 32, v23
	v_add_nc_u32_e32 v22, 32, v22
	s_delay_alu instid0(VALU_DEP_2) | instskip(SKIP_1) | instid1(SALU_CYCLE_1)
	v_cmp_le_i32_e32 vcc_lo, s25, v23
	s_or_b32 s28, vcc_lo, s28
	s_and_not1_b32 exec_lo, exec_lo, s28
	s_cbranch_execz .LBB38_76
.LBB38_7:                               ; =>This Loop Header: Depth=1
                                        ;     Child Loop BB38_13 Depth 2
                                        ;       Child Loop BB38_16 Depth 3
                                        ;       Child Loop BB38_20 Depth 3
                                        ;         Child Loop BB38_22 Depth 4
                                        ;         Child Loop BB38_29 Depth 4
                                        ;           Child Loop BB38_31 Depth 5
                                        ;           Child Loop BB38_37 Depth 5
                                        ;     Child Loop BB38_44 Depth 2
                                        ;       Child Loop BB38_54 Depth 3
                                        ;       Child Loop BB38_62 Depth 3
                                        ;         Child Loop BB38_64 Depth 4
                                        ;       Child Loop BB38_72 Depth 3
	v_mul_lo_u32 v24, v23, s25
                                        ; implicit-def: $sgpr5
	s_and_saveexec_b32 s6, s3
	s_delay_alu instid0(SALU_CYCLE_1)
	s_xor_b32 s6, exec_lo, s6
; %bb.8:                                ;   in Loop: Header=BB38_7 Depth=1
	v_mul_lo_u32 v24, v23, s25
	s_mov_b32 s5, 0
; %bb.9:                                ;   in Loop: Header=BB38_7 Depth=1
	s_or_saveexec_b32 s30, s6
	v_dual_mov_b32 v25, s5 :: v_dual_mov_b32 v26, s5
	s_xor_b32 exec_lo, exec_lo, s30
	s_cbranch_execz .LBB38_41
; %bb.10:                               ;   in Loop: Header=BB38_7 Depth=1
	v_dual_mov_b32 v25, 0 :: v_dual_mov_b32 v6, v17
	v_mov_b32_e32 v26, 0
	s_mov_b32 s31, 0
                                        ; implicit-def: $sgpr33
	s_branch .LBB38_13
.LBB38_11:                              ;   in Loop: Header=BB38_13 Depth=2
	v_add_nc_u32_e32 v6, 1, v6
	s_and_not1_b32 s5, s33, exec_lo
	s_delay_alu instid0(VALU_DEP_1) | instskip(SKIP_1) | instid1(SALU_CYCLE_1)
	v_cmp_le_i32_e32 vcc_lo, s24, v6
	s_and_b32 s6, vcc_lo, exec_lo
	s_or_b32 s33, s5, s6
.LBB38_12:                              ;   in Loop: Header=BB38_13 Depth=2
	s_or_b32 exec_lo, exec_lo, s34
	s_delay_alu instid0(SALU_CYCLE_1) | instskip(NEXT) | instid1(SALU_CYCLE_1)
	s_and_b32 s5, exec_lo, s33
	s_or_b32 s31, s5, s31
	s_delay_alu instid0(SALU_CYCLE_1)
	s_and_not1_b32 exec_lo, exec_lo, s31
	s_cbranch_execz .LBB38_40
.LBB38_13:                              ;   Parent Loop BB38_7 Depth=1
                                        ; =>  This Loop Header: Depth=2
                                        ;       Child Loop BB38_16 Depth 3
                                        ;       Child Loop BB38_20 Depth 3
                                        ;         Child Loop BB38_22 Depth 4
                                        ;         Child Loop BB38_29 Depth 4
                                        ;           Child Loop BB38_31 Depth 5
                                        ;           Child Loop BB38_37 Depth 5
	s_delay_alu instid0(VALU_DEP_2) | instskip(SKIP_2) | instid1(VALU_DEP_1)
	v_ashrrev_i32_e32 v7, 31, v6
	s_or_b32 s33, s33, exec_lo
	s_mov_b32 s34, exec_lo
	v_lshlrev_b64 v[7:8], 2, v[6:7]
	s_delay_alu instid0(VALU_DEP_1) | instskip(NEXT) | instid1(VALU_DEP_2)
	v_add_co_u32 v7, vcc_lo, s18, v7
	v_add_co_ci_u32_e32 v8, vcc_lo, s19, v8, vcc_lo
	global_load_b32 v2, v[7:8], off
	s_waitcnt vmcnt(0)
	v_subrev_nc_u32_e32 v7, s7, v2
	s_delay_alu instid0(VALU_DEP_1) | instskip(NEXT) | instid1(VALU_DEP_1)
	v_ashrrev_i32_e32 v8, 31, v7
	v_lshlrev_b64 v[8:9], 2, v[7:8]
	s_delay_alu instid0(VALU_DEP_1) | instskip(NEXT) | instid1(VALU_DEP_2)
	v_add_co_u32 v10, vcc_lo, s8, v8
	v_add_co_ci_u32_e32 v11, vcc_lo, s9, v9, vcc_lo
	global_load_b32 v27, v[10:11], off
	s_waitcnt vmcnt(0)
	v_cmpx_ne_u32_e32 -1, v27
	s_cbranch_execz .LBB38_12
; %bb.14:                               ;   in Loop: Header=BB38_13 Depth=2
	v_add_co_u32 v10, vcc_lo, s16, v8
	v_add_co_ci_u32_e32 v11, vcc_lo, s17, v9, vcc_lo
	v_add_co_u32 v8, vcc_lo, s10, v8
	v_add_co_ci_u32_e32 v9, vcc_lo, s11, v9, vcc_lo
	s_mov_b32 s5, exec_lo
	global_load_b32 v10, v[10:11], off
	global_load_b32 v11, v[8:9], off glc
	s_waitcnt vmcnt(0)
	v_cmpx_eq_u32_e32 0, v11
	s_cbranch_execz .LBB38_17
; %bb.15:                               ;   in Loop: Header=BB38_13 Depth=2
	s_mov_b32 s6, 0
.LBB38_16:                              ;   Parent Loop BB38_7 Depth=1
                                        ;     Parent Loop BB38_13 Depth=2
                                        ; =>    This Inner Loop Header: Depth=3
	global_load_b32 v11, v[8:9], off glc
	s_waitcnt vmcnt(0)
	v_cmp_ne_u32_e32 vcc_lo, 0, v11
	s_or_b32 s6, vcc_lo, s6
	s_delay_alu instid0(SALU_CYCLE_1)
	s_and_not1_b32 exec_lo, exec_lo, s6
	s_cbranch_execnz .LBB38_16
.LBB38_17:                              ;   in Loop: Header=BB38_13 Depth=2
	s_or_b32 exec_lo, exec_lo, s5
	v_mul_lo_u32 v8, v6, s27
	v_subrev_nc_u32_e32 v28, s7, v10
	v_mul_lo_u32 v29, v7, s25
	v_mul_lo_u32 v30, v27, s27
	s_mov_b32 s35, 0
	buffer_gl1_inv
	buffer_gl0_inv
	v_mul_lo_u32 v31, s27, v28
	v_cmp_le_i32_e64 s5, v28, v27
	v_add_nc_u32_e32 v32, v8, v23
	v_add_nc_u32_e32 v33, v8, v24
	s_branch .LBB38_20
.LBB38_18:                              ;   in Loop: Header=BB38_20 Depth=3
	s_or_b32 exec_lo, exec_lo, s36
.LBB38_19:                              ;   in Loop: Header=BB38_20 Depth=3
	s_delay_alu instid0(SALU_CYCLE_1)
	s_or_b32 exec_lo, exec_lo, s6
	s_waitcnt vmcnt(0)
	v_dual_mul_f32 v11, v35, v35 :: v_dual_sub_f32 v10, v10, v36
	v_sub_f32_e32 v9, v9, v37
	v_add_nc_u32_e32 v31, 1, v31
	s_add_i32 s35, s35, 1
	s_delay_alu instid0(VALU_DEP_3) | instskip(SKIP_1) | instid1(VALU_DEP_1)
	v_fmac_f32_e32 v11, v34, v34
	s_cmp_eq_u32 s35, s25
	v_div_scale_f32 v12, null, v11, v11, 1.0
	v_div_scale_f32 v15, vcc_lo, 1.0, v11, 1.0
	s_delay_alu instid0(VALU_DEP_2) | instskip(SKIP_2) | instid1(VALU_DEP_1)
	v_rcp_f32_e32 v13, v12
	s_waitcnt_depctr 0xfff
	v_fma_f32 v14, -v12, v13, 1.0
	v_fmac_f32_e32 v13, v14, v13
	s_delay_alu instid0(VALU_DEP_1) | instskip(NEXT) | instid1(VALU_DEP_1)
	v_mul_f32_e32 v14, v15, v13
	v_fma_f32 v16, -v12, v14, v15
	s_delay_alu instid0(VALU_DEP_1) | instskip(NEXT) | instid1(VALU_DEP_1)
	v_fmac_f32_e32 v14, v16, v13
	v_fma_f32 v12, -v12, v14, v15
	v_mul_f32_e32 v15, v35, v10
	s_delay_alu instid0(VALU_DEP_2) | instskip(SKIP_1) | instid1(VALU_DEP_2)
	v_div_fmas_f32 v12, v12, v13, v14
	v_mul_f32_e64 v13, v35, -v9
	v_div_fixup_f32 v11, v12, v11, 1.0
	s_delay_alu instid0(VALU_DEP_2) | instskip(NEXT) | instid1(VALU_DEP_1)
	v_fmac_f32_e32 v13, v10, v34
	v_dual_fmac_f32 v15, v9, v34 :: v_dual_mul_f32 v10, v11, v13
	s_delay_alu instid0(VALU_DEP_1) | instskip(NEXT) | instid1(VALU_DEP_1)
	v_mul_f32_e32 v9, v11, v15
	v_fmac_f32_e32 v26, v9, v9
	s_delay_alu instid0(VALU_DEP_1)
	v_fmac_f32_e32 v26, v10, v10
	v_fmac_f32_e32 v25, v10, v9
	global_store_b64 v[7:8], v[9:10], off
	v_fma_f32 v25, v9, -v10, v25
	s_cbranch_scc1 .LBB38_11
.LBB38_20:                              ;   Parent Loop BB38_7 Depth=1
                                        ;     Parent Loop BB38_13 Depth=2
                                        ; =>    This Loop Header: Depth=3
                                        ;         Child Loop BB38_22 Depth 4
                                        ;         Child Loop BB38_29 Depth 4
                                        ;           Child Loop BB38_31 Depth 5
                                        ;           Child Loop BB38_37 Depth 5
	s_mul_i32 s22, s35, s25
	s_delay_alu instid0(SALU_CYCLE_1) | instskip(NEXT) | instid1(VALU_DEP_1)
	v_add3_u32 v7, s22, s35, v30
	v_ashrrev_i32_e32 v8, 31, v7
	s_delay_alu instid0(VALU_DEP_1) | instskip(NEXT) | instid1(VALU_DEP_1)
	v_lshlrev_b64 v[7:8], 3, v[7:8]
	v_add_co_u32 v7, vcc_lo, s20, v7
	s_delay_alu instid0(VALU_DEP_2) | instskip(SKIP_4) | instid1(VALU_DEP_1)
	v_add_co_ci_u32_e32 v8, vcc_lo, s21, v8, vcc_lo
	global_load_b64 v[7:8], v[7:8], off
	s_waitcnt vmcnt(0)
	v_cmp_neq_f32_e32 vcc_lo, 0, v7
	v_cmp_neq_f32_e64 s6, 0, v8
	s_or_b32 vcc_lo, vcc_lo, s6
	v_dual_cndmask_b32 v34, 1.0, v7 :: v_dual_cndmask_b32 v35, 0, v8
	s_or_b32 s6, vcc_lo, s0
	s_delay_alu instid0(SALU_CYCLE_1) | instskip(NEXT) | instid1(SALU_CYCLE_1)
	s_xor_b32 s36, s6, -1
	s_and_saveexec_b32 s6, s36
	s_cbranch_execz .LBB38_26
; %bb.21:                               ;   in Loop: Header=BB38_20 Depth=3
	s_mov_b32 s37, exec_lo
	s_brev_b32 s36, -2
.LBB38_22:                              ;   Parent Loop BB38_7 Depth=1
                                        ;     Parent Loop BB38_13 Depth=2
                                        ;       Parent Loop BB38_20 Depth=3
                                        ; =>      This Inner Loop Header: Depth=4
	s_ctz_i32_b32 s38, s37
	s_delay_alu instid0(SALU_CYCLE_1) | instskip(SKIP_1) | instid1(SALU_CYCLE_1)
	v_readlane_b32 s39, v2, s38
	s_lshl_b32 s38, 1, s38
	s_and_not1_b32 s37, s37, s38
	s_delay_alu instid0(VALU_DEP_1)
	s_min_i32 s36, s36, s39
	s_cmp_lg_u32 s37, 0
	s_cbranch_scc1 .LBB38_22
; %bb.23:                               ;   in Loop: Header=BB38_20 Depth=3
	v_mbcnt_lo_u32_b32 v7, exec_lo, 0
	s_mov_b32 s37, exec_lo
	s_delay_alu instid0(VALU_DEP_1)
	v_cmpx_eq_u32_e32 0, v7
	s_xor_b32 s37, exec_lo, s37
	s_cbranch_execz .LBB38_25
; %bb.24:                               ;   in Loop: Header=BB38_20 Depth=3
	v_mov_b32_e32 v7, s36
	global_atomic_min_i32 v3, v7, s[14:15]
.LBB38_25:                              ;   in Loop: Header=BB38_20 Depth=3
	s_or_b32 exec_lo, exec_lo, s37
	v_dual_mov_b32 v35, 0 :: v_dual_mov_b32 v34, 1.0
.LBB38_26:                              ;   in Loop: Header=BB38_20 Depth=3
	s_or_b32 exec_lo, exec_lo, s6
	v_dual_mov_b32 v36, 0 :: v_dual_add_nc_u32 v7, s35, v33
	v_dual_mov_b32 v37, 0 :: v_dual_add_nc_u32 v8, s22, v32
	s_delay_alu instid0(VALU_DEP_1) | instskip(NEXT) | instid1(VALU_DEP_1)
	v_cndmask_b32_e64 v7, v8, v7, s1
	v_ashrrev_i32_e32 v8, 31, v7
	s_delay_alu instid0(VALU_DEP_1) | instskip(NEXT) | instid1(VALU_DEP_1)
	v_lshlrev_b64 v[7:8], 3, v[7:8]
	v_add_co_u32 v7, vcc_lo, s20, v7
	s_delay_alu instid0(VALU_DEP_2)
	v_add_co_ci_u32_e32 v8, vcc_lo, s21, v8, vcc_lo
	global_load_b64 v[9:10], v[7:8], off
	s_and_saveexec_b32 s6, s5
	s_cbranch_execz .LBB38_19
; %bb.27:                               ;   in Loop: Header=BB38_20 Depth=3
	global_load_b32 v38, v[4:5], off
	v_dual_mov_b32 v36, 0 :: v_dual_add_nc_u32 v39, s35, v29
	v_dual_mov_b32 v40, v31 :: v_dual_mov_b32 v11, v28
	v_mov_b32_e32 v37, 0
	s_mov_b32 s36, 0
	s_branch .LBB38_29
.LBB38_28:                              ;   in Loop: Header=BB38_29 Depth=4
	s_set_inst_prefetch_distance 0x2
	s_or_b32 exec_lo, exec_lo, s37
	v_add_nc_u32_e32 v12, 1, v11
	v_cmp_ge_i32_e32 vcc_lo, v11, v27
	s_delay_alu instid0(VALU_DEP_2) | instskip(SKIP_1) | instid1(SALU_CYCLE_1)
	v_dual_mov_b32 v11, v12 :: v_dual_add_nc_u32 v40, s27, v40
	s_or_b32 s36, vcc_lo, s36
	s_and_not1_b32 exec_lo, exec_lo, s36
	s_cbranch_execz .LBB38_18
.LBB38_29:                              ;   Parent Loop BB38_7 Depth=1
                                        ;     Parent Loop BB38_13 Depth=2
                                        ;       Parent Loop BB38_20 Depth=3
                                        ; =>      This Loop Header: Depth=4
                                        ;           Child Loop BB38_31 Depth 5
                                        ;           Child Loop BB38_37 Depth 5
	s_delay_alu instid0(VALU_DEP_1) | instskip(NEXT) | instid1(VALU_DEP_1)
	v_ashrrev_i32_e32 v12, 31, v11
	v_lshlrev_b64 v[12:13], 2, v[11:12]
	s_delay_alu instid0(VALU_DEP_1) | instskip(NEXT) | instid1(VALU_DEP_2)
	v_add_co_u32 v12, vcc_lo, s18, v12
	v_add_co_ci_u32_e32 v13, vcc_lo, s19, v13, vcc_lo
	global_load_b32 v14, v[12:13], off
	s_waitcnt vmcnt(1)
	v_dual_mov_b32 v13, v38 :: v_dual_mov_b32 v12, v1
	s_and_saveexec_b32 s37, s4
	s_cbranch_execz .LBB38_33
; %bb.30:                               ;   in Loop: Header=BB38_29 Depth=4
	v_dual_mov_b32 v13, v38 :: v_dual_mov_b32 v12, v1
	v_dual_mov_b32 v15, v17 :: v_dual_mov_b32 v16, v18
	s_mov_b32 s38, 0
	.p2align	6
.LBB38_31:                              ;   Parent Loop BB38_7 Depth=1
                                        ;     Parent Loop BB38_13 Depth=2
                                        ;       Parent Loop BB38_20 Depth=3
                                        ;         Parent Loop BB38_29 Depth=4
                                        ; =>        This Inner Loop Header: Depth=5
	s_delay_alu instid0(VALU_DEP_2) | instskip(SKIP_2) | instid1(VALU_DEP_2)
	v_add_nc_u32_e32 v41, 1, v12
	s_waitcnt vmcnt(0)
	v_cmp_lt_i32_e32 vcc_lo, v13, v14
	v_dual_cndmask_b32 v16, v12, v16 :: v_dual_cndmask_b32 v15, v15, v41
	s_delay_alu instid0(VALU_DEP_1) | instskip(NEXT) | instid1(VALU_DEP_1)
	v_add_nc_u32_e32 v12, v16, v15
	v_ashrrev_i32_e32 v12, 1, v12
	s_delay_alu instid0(VALU_DEP_1) | instskip(NEXT) | instid1(VALU_DEP_1)
	v_ashrrev_i32_e32 v13, 31, v12
	v_lshlrev_b64 v[41:42], 2, v[12:13]
	s_delay_alu instid0(VALU_DEP_1) | instskip(NEXT) | instid1(VALU_DEP_2)
	v_add_co_u32 v41, vcc_lo, s18, v41
	v_add_co_ci_u32_e32 v42, vcc_lo, s19, v42, vcc_lo
	v_cmp_ge_i32_e32 vcc_lo, v15, v16
	global_load_b32 v13, v[41:42], off
	s_or_b32 s38, vcc_lo, s38
	s_delay_alu instid0(SALU_CYCLE_1)
	s_and_not1_b32 exec_lo, exec_lo, s38
	s_cbranch_execnz .LBB38_31
; %bb.32:                               ;   in Loop: Header=BB38_29 Depth=4
	s_or_b32 exec_lo, exec_lo, s38
.LBB38_33:                              ;   in Loop: Header=BB38_29 Depth=4
	s_delay_alu instid0(SALU_CYCLE_1) | instskip(NEXT) | instid1(SALU_CYCLE_1)
	s_or_b32 exec_lo, exec_lo, s37
	s_mov_b32 s37, exec_lo
	s_waitcnt vmcnt(0)
	v_cmpx_eq_u32_e64 v13, v14
	s_cbranch_execz .LBB38_28
; %bb.34:                               ;   in Loop: Header=BB38_29 Depth=4
	v_mul_lo_u32 v15, v12, s27
	v_subrev_nc_u32_e32 v14, s7, v14
	v_mad_u64_u32 v[12:13], null, v11, s27, s[22:23]
	s_mov_b32 s38, 0
	v_mov_b32_e32 v44, v40
	s_delay_alu instid0(VALU_DEP_3)
	v_mul_lo_u32 v41, v14, s25
	v_add_nc_u32_e32 v42, v15, v24
	v_add_nc_u32_e32 v43, v23, v15
	s_set_inst_prefetch_distance 0x1
	s_branch .LBB38_37
	.p2align	6
.LBB38_35:                              ;   in Loop: Header=BB38_37 Depth=5
	s_delay_alu instid0(VALU_DEP_2) | instskip(NEXT) | instid1(VALU_DEP_2)
	v_ashrrev_i32_e32 v16, 31, v15
	v_ashrrev_i32_e32 v14, 31, v13
	s_delay_alu instid0(VALU_DEP_2) | instskip(NEXT) | instid1(VALU_DEP_2)
	v_lshlrev_b64 v[15:16], 3, v[15:16]
	v_lshlrev_b64 v[13:14], 3, v[13:14]
	s_delay_alu instid0(VALU_DEP_2) | instskip(NEXT) | instid1(VALU_DEP_3)
	v_add_co_u32 v15, vcc_lo, s20, v15
	v_add_co_ci_u32_e32 v16, vcc_lo, s21, v16, vcc_lo
	s_delay_alu instid0(VALU_DEP_3) | instskip(NEXT) | instid1(VALU_DEP_4)
	v_add_co_u32 v13, vcc_lo, s20, v13
	v_add_co_ci_u32_e32 v14, vcc_lo, s21, v14, vcc_lo
	s_clause 0x1
	global_load_b64 v[15:16], v[15:16], off
	global_load_b64 v[13:14], v[13:14], off
	s_waitcnt vmcnt(0)
	v_fmac_f32_e32 v37, v15, v13
	v_fmac_f32_e32 v36, v16, v13
	s_delay_alu instid0(VALU_DEP_2) | instskip(NEXT) | instid1(VALU_DEP_2)
	v_fmac_f32_e32 v37, v16, v14
	v_fma_f32 v36, v15, -v14, v36
.LBB38_36:                              ;   in Loop: Header=BB38_37 Depth=5
	s_or_b32 exec_lo, exec_lo, s39
	v_add_nc_u32_e32 v43, s25, v43
	v_add_nc_u32_e32 v44, s25, v44
	s_add_i32 s38, s38, 1
	s_delay_alu instid0(SALU_CYCLE_1)
	s_cmp_lg_u32 s25, s38
	s_cbranch_scc0 .LBB38_28
.LBB38_37:                              ;   Parent Loop BB38_7 Depth=1
                                        ;     Parent Loop BB38_13 Depth=2
                                        ;       Parent Loop BB38_20 Depth=3
                                        ;         Parent Loop BB38_29 Depth=4
                                        ; =>        This Inner Loop Header: Depth=5
	s_delay_alu instid0(VALU_DEP_3) | instskip(SKIP_1) | instid1(VALU_DEP_1)
	v_add_nc_u32_e32 v13, s38, v41
	s_mov_b32 s39, exec_lo
	v_cmpx_lt_i32_e64 v13, v39
	s_cbranch_execz .LBB38_36
; %bb.38:                               ;   in Loop: Header=BB38_37 Depth=5
	v_mov_b32_e32 v15, v44
	v_mov_b32_e32 v13, v43
	s_and_not1_b32 vcc_lo, exec_lo, s1
	s_cbranch_vccnz .LBB38_35
; %bb.39:                               ;   in Loop: Header=BB38_37 Depth=5
	v_add_nc_u32_e32 v15, s38, v12
	v_add_nc_u32_e32 v13, s38, v42
	s_branch .LBB38_35
.LBB38_40:                              ;   in Loop: Header=BB38_7 Depth=1
	s_or_b32 exec_lo, exec_lo, s31
.LBB38_41:                              ;   in Loop: Header=BB38_7 Depth=1
	s_delay_alu instid0(SALU_CYCLE_1) | instskip(NEXT) | instid1(VALU_DEP_2)
	s_or_b32 exec_lo, exec_lo, s30
	v_add_nc_u32_e32 v14, v24, v21
	v_mov_b32_e32 v15, v20
	s_mov_b32 s6, 0
	s_branch .LBB38_44
.LBB38_42:                              ;   in Loop: Header=BB38_44 Depth=2
	s_set_inst_prefetch_distance 0x2
	v_mul_f32_e32 v10, v27, v27
	s_waitcnt vmcnt(0)
	v_dual_sub_f32 v8, v8, v28 :: v_dual_sub_f32 v9, v9, v29
	s_delay_alu instid0(VALU_DEP_2) | instskip(NEXT) | instid1(VALU_DEP_1)
	v_fmac_f32_e32 v10, v2, v2
	v_div_scale_f32 v11, null, v10, v10, 1.0
	v_div_scale_f32 v16, vcc_lo, 1.0, v10, 1.0
	s_delay_alu instid0(VALU_DEP_2) | instskip(SKIP_2) | instid1(VALU_DEP_1)
	v_rcp_f32_e32 v12, v11
	s_waitcnt_depctr 0xfff
	v_fma_f32 v13, -v11, v12, 1.0
	v_fmac_f32_e32 v12, v13, v12
	s_delay_alu instid0(VALU_DEP_1) | instskip(NEXT) | instid1(VALU_DEP_1)
	v_mul_f32_e32 v13, v16, v12
	v_fma_f32 v30, -v11, v13, v16
	s_delay_alu instid0(VALU_DEP_1) | instskip(NEXT) | instid1(VALU_DEP_1)
	v_fmac_f32_e32 v13, v30, v12
	v_fma_f32 v11, -v11, v13, v16
	v_mul_f32_e32 v16, v27, v9
	s_delay_alu instid0(VALU_DEP_2) | instskip(SKIP_1) | instid1(VALU_DEP_2)
	v_div_fmas_f32 v11, v11, v12, v13
	v_mul_f32_e64 v12, v27, -v8
	v_div_fixup_f32 v10, v11, v10, 1.0
	s_delay_alu instid0(VALU_DEP_2) | instskip(NEXT) | instid1(VALU_DEP_1)
	v_fmac_f32_e32 v12, v9, v2
	v_dual_fmac_f32 v16, v8, v2 :: v_dual_mul_f32 v9, v10, v12
	s_delay_alu instid0(VALU_DEP_1) | instskip(NEXT) | instid1(VALU_DEP_1)
	v_mul_f32_e32 v8, v10, v16
	v_fmac_f32_e32 v26, v8, v8
	s_delay_alu instid0(VALU_DEP_3)
	v_fmac_f32_e32 v25, v9, v8
	global_store_b64 v[6:7], v[8:9], off
	v_fmac_f32_e32 v26, v9, v9
	v_fma_f32 v25, v8, -v9, v25
.LBB38_43:                              ;   in Loop: Header=BB38_44 Depth=2
	s_or_b32 exec_lo, exec_lo, s5
	v_add_nc_u32_e32 v15, 1, v15
	s_add_i32 s6, s6, 1
	s_waitcnt_vscnt null, 0x0
	buffer_gl1_inv
	buffer_gl0_inv
	s_cmp_eq_u32 s6, s25
	s_cbranch_scc1 .LBB38_6
.LBB38_44:                              ;   Parent Loop BB38_7 Depth=1
                                        ; =>  This Loop Header: Depth=2
                                        ;       Child Loop BB38_54 Depth 3
                                        ;       Child Loop BB38_62 Depth 3
                                        ;         Child Loop BB38_64 Depth 4
                                        ;       Child Loop BB38_72 Depth 3
	s_mul_i32 s22, s6, s25
	s_mov_b32 s30, exec_lo
	v_add_nc_u32_e32 v16, s22, v21
	s_delay_alu instid0(VALU_DEP_1) | instskip(NEXT) | instid1(VALU_DEP_1)
	v_add_nc_u32_e32 v6, s6, v16
	v_ashrrev_i32_e32 v7, 31, v6
	s_delay_alu instid0(VALU_DEP_1)
	v_lshlrev_b64 v[6:7], 3, v[6:7]
	v_cmpx_eq_u32_e64 s6, v23
	s_cbranch_execz .LBB38_52
; %bb.45:                               ;   in Loop: Header=BB38_44 Depth=2
	s_delay_alu instid0(VALU_DEP_2) | instskip(NEXT) | instid1(VALU_DEP_3)
	v_add_co_u32 v8, vcc_lo, s20, v6
	v_add_co_ci_u32_e32 v9, vcc_lo, s21, v7, vcc_lo
	s_mov_b32 s5, exec_lo
	global_load_b64 v[10:11], v[8:9], off
	s_waitcnt vmcnt(0)
	v_sub_f32_e32 v2, v10, v26
	v_sub_f32_e32 v12, v11, v25
                                        ; implicit-def: $vgpr11
	s_delay_alu instid0(VALU_DEP_2) | instskip(SKIP_1) | instid1(VALU_DEP_3)
	v_cmp_gt_f32_e32 vcc_lo, 0, v2
	v_cndmask_b32_e64 v2, v2, -v2, vcc_lo
	v_cmp_gt_f32_e32 vcc_lo, 0, v12
	v_cndmask_b32_e64 v10, v12, -v12, vcc_lo
	s_delay_alu instid0(VALU_DEP_1)
	v_cmpx_ngt_f32_e32 v2, v10
	s_xor_b32 s31, exec_lo, s5
	s_cbranch_execz .LBB38_49
; %bb.46:                               ;   in Loop: Header=BB38_44 Depth=2
	v_mov_b32_e32 v11, 0
	s_mov_b32 s33, exec_lo
	v_cmpx_neq_f32_e32 0, v12
	s_cbranch_execz .LBB38_48
; %bb.47:                               ;   in Loop: Header=BB38_44 Depth=2
	v_div_scale_f32 v11, null, v10, v10, v2
	v_div_scale_f32 v27, vcc_lo, v2, v10, v2
	s_delay_alu instid0(VALU_DEP_2) | instskip(SKIP_2) | instid1(VALU_DEP_1)
	v_rcp_f32_e32 v12, v11
	s_waitcnt_depctr 0xfff
	v_fma_f32 v13, -v11, v12, 1.0
	v_fmac_f32_e32 v12, v13, v12
	s_delay_alu instid0(VALU_DEP_1) | instskip(NEXT) | instid1(VALU_DEP_1)
	v_mul_f32_e32 v13, v27, v12
	v_fma_f32 v28, -v11, v13, v27
	s_delay_alu instid0(VALU_DEP_1) | instskip(NEXT) | instid1(VALU_DEP_1)
	v_fmac_f32_e32 v13, v28, v12
	v_fma_f32 v11, -v11, v13, v27
	s_delay_alu instid0(VALU_DEP_1) | instskip(NEXT) | instid1(VALU_DEP_1)
	v_div_fmas_f32 v11, v11, v12, v13
	v_div_fixup_f32 v2, v11, v10, v2
	s_delay_alu instid0(VALU_DEP_1) | instskip(NEXT) | instid1(VALU_DEP_1)
	v_fma_f32 v2, v2, v2, 1.0
	v_mul_f32_e32 v11, 0x4f800000, v2
	v_cmp_gt_f32_e32 vcc_lo, 0xf800000, v2
	s_delay_alu instid0(VALU_DEP_2) | instskip(NEXT) | instid1(VALU_DEP_1)
	v_cndmask_b32_e32 v2, v2, v11, vcc_lo
	v_sqrt_f32_e32 v11, v2
	s_waitcnt_depctr 0xfff
	v_add_nc_u32_e32 v12, -1, v11
	v_add_nc_u32_e32 v13, 1, v11
	s_delay_alu instid0(VALU_DEP_2) | instskip(NEXT) | instid1(VALU_DEP_2)
	v_fma_f32 v27, -v12, v11, v2
	v_fma_f32 v28, -v13, v11, v2
	s_delay_alu instid0(VALU_DEP_2) | instskip(NEXT) | instid1(VALU_DEP_1)
	v_cmp_ge_f32_e64 s5, 0, v27
	v_cndmask_b32_e64 v11, v11, v12, s5
	s_delay_alu instid0(VALU_DEP_3) | instskip(NEXT) | instid1(VALU_DEP_1)
	v_cmp_lt_f32_e64 s5, 0, v28
	v_cndmask_b32_e64 v11, v11, v13, s5
	s_delay_alu instid0(VALU_DEP_1) | instskip(NEXT) | instid1(VALU_DEP_1)
	v_mul_f32_e32 v12, 0x37800000, v11
	v_cndmask_b32_e32 v11, v11, v12, vcc_lo
	v_cmp_class_f32_e64 vcc_lo, v2, 0x260
	s_delay_alu instid0(VALU_DEP_2) | instskip(NEXT) | instid1(VALU_DEP_1)
	v_cndmask_b32_e32 v2, v11, v2, vcc_lo
	v_mul_f32_e32 v11, v10, v2
.LBB38_48:                              ;   in Loop: Header=BB38_44 Depth=2
	s_or_b32 exec_lo, exec_lo, s33
                                        ; implicit-def: $vgpr2
                                        ; implicit-def: $vgpr10
.LBB38_49:                              ;   in Loop: Header=BB38_44 Depth=2
	s_and_not1_saveexec_b32 s31, s31
	s_cbranch_execz .LBB38_51
; %bb.50:                               ;   in Loop: Header=BB38_44 Depth=2
	v_div_scale_f32 v11, null, v2, v2, v10
	v_div_scale_f32 v27, vcc_lo, v10, v2, v10
	s_delay_alu instid0(VALU_DEP_2) | instskip(SKIP_2) | instid1(VALU_DEP_1)
	v_rcp_f32_e32 v12, v11
	s_waitcnt_depctr 0xfff
	v_fma_f32 v13, -v11, v12, 1.0
	v_fmac_f32_e32 v12, v13, v12
	s_delay_alu instid0(VALU_DEP_1) | instskip(NEXT) | instid1(VALU_DEP_1)
	v_mul_f32_e32 v13, v27, v12
	v_fma_f32 v28, -v11, v13, v27
	s_delay_alu instid0(VALU_DEP_1) | instskip(NEXT) | instid1(VALU_DEP_1)
	v_fmac_f32_e32 v13, v28, v12
	v_fma_f32 v11, -v11, v13, v27
	s_delay_alu instid0(VALU_DEP_1) | instskip(NEXT) | instid1(VALU_DEP_1)
	v_div_fmas_f32 v11, v11, v12, v13
	v_div_fixup_f32 v10, v11, v2, v10
	s_delay_alu instid0(VALU_DEP_1) | instskip(NEXT) | instid1(VALU_DEP_1)
	v_fma_f32 v10, v10, v10, 1.0
	v_mul_f32_e32 v11, 0x4f800000, v10
	v_cmp_gt_f32_e32 vcc_lo, 0xf800000, v10
	s_delay_alu instid0(VALU_DEP_2) | instskip(NEXT) | instid1(VALU_DEP_1)
	v_cndmask_b32_e32 v10, v10, v11, vcc_lo
	v_sqrt_f32_e32 v11, v10
	s_waitcnt_depctr 0xfff
	v_add_nc_u32_e32 v12, -1, v11
	v_add_nc_u32_e32 v13, 1, v11
	s_delay_alu instid0(VALU_DEP_2) | instskip(NEXT) | instid1(VALU_DEP_2)
	v_fma_f32 v27, -v12, v11, v10
	v_fma_f32 v28, -v13, v11, v10
	s_delay_alu instid0(VALU_DEP_2) | instskip(NEXT) | instid1(VALU_DEP_1)
	v_cmp_ge_f32_e64 s5, 0, v27
	v_cndmask_b32_e64 v11, v11, v12, s5
	s_delay_alu instid0(VALU_DEP_3) | instskip(NEXT) | instid1(VALU_DEP_1)
	v_cmp_lt_f32_e64 s5, 0, v28
	v_cndmask_b32_e64 v11, v11, v13, s5
	s_delay_alu instid0(VALU_DEP_1) | instskip(NEXT) | instid1(VALU_DEP_1)
	v_mul_f32_e32 v12, 0x37800000, v11
	v_cndmask_b32_e32 v11, v11, v12, vcc_lo
	v_cmp_class_f32_e64 vcc_lo, v10, 0x260
	s_delay_alu instid0(VALU_DEP_2) | instskip(NEXT) | instid1(VALU_DEP_1)
	v_cndmask_b32_e32 v10, v11, v10, vcc_lo
	v_mul_f32_e32 v11, v2, v10
.LBB38_51:                              ;   in Loop: Header=BB38_44 Depth=2
	s_or_b32 exec_lo, exec_lo, s31
	s_delay_alu instid0(VALU_DEP_1) | instskip(SKIP_1) | instid1(VALU_DEP_2)
	v_mul_f32_e32 v2, 0x4f800000, v11
	v_cmp_gt_f32_e32 vcc_lo, 0xf800000, v11
	v_cndmask_b32_e32 v2, v11, v2, vcc_lo
	s_delay_alu instid0(VALU_DEP_1) | instskip(SKIP_3) | instid1(VALU_DEP_2)
	v_sqrt_f32_e32 v10, v2
	s_waitcnt_depctr 0xfff
	v_add_nc_u32_e32 v11, -1, v10
	v_add_nc_u32_e32 v12, 1, v10
	v_fma_f32 v13, -v11, v10, v2
	s_delay_alu instid0(VALU_DEP_2) | instskip(NEXT) | instid1(VALU_DEP_2)
	v_fma_f32 v27, -v12, v10, v2
	v_cmp_ge_f32_e64 s5, 0, v13
	s_delay_alu instid0(VALU_DEP_1) | instskip(NEXT) | instid1(VALU_DEP_3)
	v_cndmask_b32_e64 v10, v10, v11, s5
	v_cmp_lt_f32_e64 s5, 0, v27
	s_delay_alu instid0(VALU_DEP_1) | instskip(NEXT) | instid1(VALU_DEP_1)
	v_cndmask_b32_e64 v10, v10, v12, s5
	v_mul_f32_e32 v11, 0x37800000, v10
	s_delay_alu instid0(VALU_DEP_1) | instskip(SKIP_1) | instid1(VALU_DEP_2)
	v_cndmask_b32_e32 v10, v10, v11, vcc_lo
	v_cmp_class_f32_e64 vcc_lo, v2, 0x260
	v_cndmask_b32_e32 v2, v10, v2, vcc_lo
	global_store_b64 v[8:9], v[2:3], off
.LBB38_52:                              ;   in Loop: Header=BB38_44 Depth=2
	s_or_b32 exec_lo, exec_lo, s30
	s_delay_alu instid0(VALU_DEP_2) | instskip(NEXT) | instid1(VALU_DEP_3)
	v_add_co_u32 v6, vcc_lo, s20, v6
	v_add_co_ci_u32_e32 v7, vcc_lo, s21, v7, vcc_lo
	s_waitcnt_vscnt null, 0x0
	buffer_gl1_inv
	buffer_gl0_inv
	global_load_b64 v[6:7], v[6:7], off
	s_waitcnt vmcnt(0)
	v_cmp_neq_f32_e32 vcc_lo, 0, v6
	v_cmp_neq_f32_e64 s5, 0, v7
	s_delay_alu instid0(VALU_DEP_1) | instskip(SKIP_2) | instid1(SALU_CYCLE_1)
	s_or_b32 vcc_lo, vcc_lo, s5
	v_dual_cndmask_b32 v27, 0, v7 :: v_dual_cndmask_b32 v2, 1.0, v6
	s_or_b32 s5, vcc_lo, s0
	s_xor_b32 s30, s5, -1
	s_delay_alu instid0(SALU_CYCLE_1)
	s_and_saveexec_b32 s5, s30
	s_cbranch_execz .LBB38_58
; %bb.53:                               ;   in Loop: Header=BB38_44 Depth=2
	s_mov_b32 s31, exec_lo
	s_brev_b32 s30, -2
.LBB38_54:                              ;   Parent Loop BB38_7 Depth=1
                                        ;     Parent Loop BB38_44 Depth=2
                                        ; =>    This Inner Loop Header: Depth=3
	s_ctz_i32_b32 s33, s31
	s_delay_alu instid0(SALU_CYCLE_1) | instskip(SKIP_1) | instid1(SALU_CYCLE_1)
	v_readlane_b32 s34, v19, s33
	s_lshl_b32 s33, 1, s33
	s_and_not1_b32 s31, s31, s33
	s_delay_alu instid0(VALU_DEP_1)
	s_min_i32 s30, s30, s34
	s_cmp_lg_u32 s31, 0
	s_cbranch_scc1 .LBB38_54
; %bb.55:                               ;   in Loop: Header=BB38_44 Depth=2
	v_mbcnt_lo_u32_b32 v2, exec_lo, 0
	s_mov_b32 s31, exec_lo
	s_delay_alu instid0(VALU_DEP_1)
	v_cmpx_eq_u32_e32 0, v2
	s_xor_b32 s31, exec_lo, s31
	s_cbranch_execz .LBB38_57
; %bb.56:                               ;   in Loop: Header=BB38_44 Depth=2
	v_mov_b32_e32 v2, s30
	global_atomic_min_i32 v3, v2, s[14:15]
.LBB38_57:                              ;   in Loop: Header=BB38_44 Depth=2
	s_or_b32 exec_lo, exec_lo, s31
	v_dual_mov_b32 v2, 1.0 :: v_dual_mov_b32 v27, 0
.LBB38_58:                              ;   in Loop: Header=BB38_44 Depth=2
	s_or_b32 exec_lo, exec_lo, s5
	s_delay_alu instid0(SALU_CYCLE_1)
	s_mov_b32 s5, exec_lo
	v_cmpx_lt_i32_e64 s6, v23
	s_cbranch_execz .LBB38_43
; %bb.59:                               ;   in Loop: Header=BB38_44 Depth=2
	v_dual_mov_b32 v29, 0 :: v_dual_add_nc_u32 v6, s6, v14
	v_dual_mov_b32 v28, 0 :: v_dual_add_nc_u32 v7, v16, v23
	s_delay_alu instid0(VALU_DEP_1) | instskip(NEXT) | instid1(VALU_DEP_1)
	v_cndmask_b32_e64 v6, v7, v6, s1
	v_ashrrev_i32_e32 v7, 31, v6
	s_delay_alu instid0(VALU_DEP_1) | instskip(NEXT) | instid1(VALU_DEP_1)
	v_lshlrev_b64 v[6:7], 3, v[6:7]
	v_add_co_u32 v6, vcc_lo, s20, v6
	s_delay_alu instid0(VALU_DEP_2)
	v_add_co_ci_u32_e32 v7, vcc_lo, s21, v7, vcc_lo
	global_load_b64 v[8:9], v[6:7], off
	s_and_saveexec_b32 s30, s2
	s_cbranch_execz .LBB38_69
; %bb.60:                               ;   in Loop: Header=BB38_44 Depth=2
	v_dual_mov_b32 v28, 0 :: v_dual_mov_b32 v31, v22
	v_dual_mov_b32 v30, v15 :: v_dual_mov_b32 v29, 0
	v_mov_b32_e32 v32, v17
	s_mov_b32 s31, 0
	s_branch .LBB38_62
.LBB38_61:                              ;   in Loop: Header=BB38_62 Depth=3
	s_set_inst_prefetch_distance 0x2
	v_add_nc_u32_e32 v32, 1, v32
	v_add_nc_u32_e32 v31, s27, v31
	;; [unrolled: 1-line block ×3, first 2 shown]
	s_delay_alu instid0(VALU_DEP_3) | instskip(SKIP_1) | instid1(SALU_CYCLE_1)
	v_cmp_le_i32_e32 vcc_lo, s24, v32
	s_or_b32 s31, vcc_lo, s31
	s_and_not1_b32 exec_lo, exec_lo, s31
	s_cbranch_execz .LBB38_68
.LBB38_62:                              ;   Parent Loop BB38_7 Depth=1
                                        ;     Parent Loop BB38_44 Depth=2
                                        ; =>    This Loop Header: Depth=3
                                        ;         Child Loop BB38_64 Depth 4
	s_delay_alu instid0(VALU_DEP_1) | instskip(SKIP_3) | instid1(VALU_DEP_1)
	v_mul_lo_u32 v10, v32, s27
	s_mov_b32 s33, s25
	s_mov_b32 s34, 0
	;; [unrolled: 1-line block ×3, first 2 shown]
	v_add_nc_u32_e32 v33, s22, v10
	v_add_nc_u32_e32 v34, v10, v24
	s_set_inst_prefetch_distance 0x1
	s_branch .LBB38_64
	.p2align	6
.LBB38_63:                              ;   in Loop: Header=BB38_64 Depth=4
	s_delay_alu instid0(VALU_DEP_2) | instskip(NEXT) | instid1(VALU_DEP_2)
	v_ashrrev_i32_e32 v13, 31, v12
	v_ashrrev_i32_e32 v11, 31, v10
	s_add_i32 s33, s33, -1
	s_add_i32 s35, s35, 1
	s_add_i32 s34, s34, s25
	v_lshlrev_b64 v[12:13], 3, v[12:13]
	v_lshlrev_b64 v[10:11], 3, v[10:11]
	s_cmp_eq_u32 s33, 0
	s_delay_alu instid0(VALU_DEP_2) | instskip(NEXT) | instid1(VALU_DEP_3)
	v_add_co_u32 v12, vcc_lo, s20, v12
	v_add_co_ci_u32_e32 v13, vcc_lo, s21, v13, vcc_lo
	s_delay_alu instid0(VALU_DEP_3) | instskip(NEXT) | instid1(VALU_DEP_4)
	v_add_co_u32 v10, vcc_lo, s20, v10
	v_add_co_ci_u32_e32 v11, vcc_lo, s21, v11, vcc_lo
	s_clause 0x1
	global_load_b64 v[12:13], v[12:13], off
	global_load_b64 v[10:11], v[10:11], off
	s_waitcnt vmcnt(0)
	v_fmac_f32_e32 v28, v12, v10
	v_fmac_f32_e32 v29, v13, v10
	s_delay_alu instid0(VALU_DEP_2) | instskip(NEXT) | instid1(VALU_DEP_2)
	v_fmac_f32_e32 v28, v13, v11
	v_fma_f32 v29, v12, -v11, v29
	s_cbranch_scc1 .LBB38_61
.LBB38_64:                              ;   Parent Loop BB38_7 Depth=1
                                        ;     Parent Loop BB38_44 Depth=2
                                        ;       Parent Loop BB38_62 Depth=3
                                        ; =>      This Inner Loop Header: Depth=4
	s_and_b32 vcc_lo, exec_lo, s29
	s_cbranch_vccz .LBB38_66
; %bb.65:                               ;   in Loop: Header=BB38_64 Depth=4
	v_add_nc_u32_e32 v12, s34, v30
	v_add_nc_u32_e32 v10, s34, v31
	s_cbranch_execnz .LBB38_63
	s_branch .LBB38_67
	.p2align	6
.LBB38_66:                              ;   in Loop: Header=BB38_64 Depth=4
                                        ; implicit-def: $vgpr10
                                        ; implicit-def: $vgpr12
.LBB38_67:                              ;   in Loop: Header=BB38_64 Depth=4
	v_add_nc_u32_e32 v12, s35, v33
	v_add_nc_u32_e32 v10, s35, v34
	s_branch .LBB38_63
.LBB38_68:                              ;   in Loop: Header=BB38_44 Depth=2
	s_or_b32 exec_lo, exec_lo, s31
.LBB38_69:                              ;   in Loop: Header=BB38_44 Depth=2
	s_delay_alu instid0(SALU_CYCLE_1)
	s_or_b32 exec_lo, exec_lo, s30
	s_cmp_eq_u32 s6, 0
	s_cbranch_scc1 .LBB38_42
; %bb.70:                               ;   in Loop: Header=BB38_44 Depth=2
	v_mov_b32_e32 v30, v21
	s_mov_b32 s22, 0
	s_set_inst_prefetch_distance 0x1
	s_branch .LBB38_72
	.p2align	6
.LBB38_71:                              ;   in Loop: Header=BB38_72 Depth=3
	s_delay_alu instid0(VALU_DEP_2) | instskip(NEXT) | instid1(VALU_DEP_2)
	v_ashrrev_i32_e32 v13, 31, v12
	v_ashrrev_i32_e32 v11, 31, v10
	v_add_nc_u32_e32 v30, s25, v30
	s_add_i32 s22, s22, 1
	s_delay_alu instid0(SALU_CYCLE_1) | instskip(SKIP_2) | instid1(VALU_DEP_2)
	s_cmp_ge_u32 s22, s6
	v_lshlrev_b64 v[12:13], 3, v[12:13]
	v_lshlrev_b64 v[10:11], 3, v[10:11]
	v_add_co_u32 v12, vcc_lo, s20, v12
	s_delay_alu instid0(VALU_DEP_3) | instskip(NEXT) | instid1(VALU_DEP_3)
	v_add_co_ci_u32_e32 v13, vcc_lo, s21, v13, vcc_lo
	v_add_co_u32 v10, vcc_lo, s20, v10
	s_delay_alu instid0(VALU_DEP_4)
	v_add_co_ci_u32_e32 v11, vcc_lo, s21, v11, vcc_lo
	s_clause 0x1
	global_load_b64 v[12:13], v[12:13], off
	global_load_b64 v[10:11], v[10:11], off
	s_waitcnt vmcnt(0)
	v_fmac_f32_e32 v28, v12, v10
	v_fmac_f32_e32 v29, v13, v10
	s_delay_alu instid0(VALU_DEP_2) | instskip(NEXT) | instid1(VALU_DEP_2)
	v_fmac_f32_e32 v28, v13, v11
	v_fma_f32 v29, v12, -v11, v29
	s_cbranch_scc1 .LBB38_42
.LBB38_72:                              ;   Parent Loop BB38_7 Depth=1
                                        ;     Parent Loop BB38_44 Depth=2
                                        ; =>    This Inner Loop Header: Depth=3
	s_and_b32 vcc_lo, exec_lo, s29
	s_cbranch_vccz .LBB38_74
; %bb.73:                               ;   in Loop: Header=BB38_72 Depth=3
	v_add_nc_u32_e32 v12, s6, v30
	v_add_nc_u32_e32 v10, v23, v30
	s_cbranch_execnz .LBB38_71
	s_branch .LBB38_75
	.p2align	6
.LBB38_74:                              ;   in Loop: Header=BB38_72 Depth=3
                                        ; implicit-def: $vgpr10
                                        ; implicit-def: $vgpr12
.LBB38_75:                              ;   in Loop: Header=BB38_72 Depth=3
	v_add_nc_u32_e32 v12, s22, v16
	v_add_nc_u32_e32 v10, s22, v14
	s_branch .LBB38_71
.LBB38_76:
	s_or_b32 exec_lo, exec_lo, s26
	v_cmp_eq_u32_e32 vcc_lo, 31, v0
                                        ; implicit-def: $vgpr0
                                        ; implicit-def: $vgpr2_vgpr3
	s_and_b32 s2, vcc_lo, exec_lo
	s_and_not1_saveexec_b32 s0, s23
	s_cbranch_execz .LBB38_2
.LBB38_77:
	s_mov_b32 s3, s2
	s_mov_b32 s1, exec_lo
	v_cmpx_eq_u32_e32 31, v0
	s_cbranch_execz .LBB38_83
; %bb.78:
	v_add_nc_u32_e32 v0, s7, v2
	s_mov_b32 s4, exec_lo
	s_brev_b32 s3, -2
.LBB38_79:                              ; =>This Inner Loop Header: Depth=1
	s_ctz_i32_b32 s5, s4
	s_delay_alu instid0(VALU_DEP_1) | instid1(SALU_CYCLE_1)
	v_readlane_b32 s6, v0, s5
	s_lshl_b32 s5, 1, s5
	s_delay_alu instid0(SALU_CYCLE_1) | instskip(NEXT) | instid1(VALU_DEP_1)
	s_and_not1_b32 s4, s4, s5
	s_min_i32 s3, s3, s6
	s_cmp_lg_u32 s4, 0
	s_cbranch_scc1 .LBB38_79
; %bb.80:
	v_mbcnt_lo_u32_b32 v0, exec_lo, 0
	s_mov_b32 s4, exec_lo
	s_delay_alu instid0(VALU_DEP_1)
	v_cmpx_eq_u32_e32 0, v0
	s_xor_b32 s4, exec_lo, s4
	s_cbranch_execz .LBB38_82
; %bb.81:
	v_dual_mov_b32 v0, 0 :: v_dual_mov_b32 v1, s3
	global_atomic_min_i32 v0, v1, s[14:15]
.LBB38_82:
	s_or_b32 exec_lo, exec_lo, s4
	s_delay_alu instid0(SALU_CYCLE_1)
	s_or_b32 s3, s2, exec_lo
.LBB38_83:
	s_or_b32 exec_lo, exec_lo, s1
	s_delay_alu instid0(SALU_CYCLE_1) | instskip(SKIP_1) | instid1(SALU_CYCLE_1)
	s_and_not1_b32 s1, s2, exec_lo
	s_and_b32 s2, s3, exec_lo
	s_or_b32 s2, s1, s2
	s_or_b32 exec_lo, exec_lo, s0
	s_and_saveexec_b32 s0, s2
	s_cbranch_execz .LBB38_3
.LBB38_84:
	v_lshlrev_b64 v[0:1], 2, s[12:13]
	v_mov_b32_e32 v2, 1
	s_delay_alu instid0(VALU_DEP_2) | instskip(NEXT) | instid1(VALU_DEP_3)
	v_add_co_u32 v0, vcc_lo, s10, v0
	v_add_co_ci_u32_e32 v1, vcc_lo, s11, v1, vcc_lo
	s_waitcnt_vscnt null, 0x0
	global_store_b32 v[0:1], v2, off
	s_nop 0
	s_sendmsg sendmsg(MSG_DEALLOC_VGPRS)
	s_endpgm
	.section	.rodata,"a",@progbits
	.p2align	6, 0x0
	.amdhsa_kernel _ZN9rocsparseL23bsric0_binsearch_kernelILj32ELj32ELb0E21rocsparse_complex_numIfEEEv20rocsparse_direction_iiPKiS5_PT2_S5_PiS5_S8_21rocsparse_index_base_
		.amdhsa_group_segment_fixed_size 0
		.amdhsa_private_segment_fixed_size 0
		.amdhsa_kernarg_size 76
		.amdhsa_user_sgpr_count 15
		.amdhsa_user_sgpr_dispatch_ptr 0
		.amdhsa_user_sgpr_queue_ptr 0
		.amdhsa_user_sgpr_kernarg_segment_ptr 1
		.amdhsa_user_sgpr_dispatch_id 0
		.amdhsa_user_sgpr_private_segment_size 0
		.amdhsa_wavefront_size32 1
		.amdhsa_uses_dynamic_stack 0
		.amdhsa_enable_private_segment 0
		.amdhsa_system_sgpr_workgroup_id_x 1
		.amdhsa_system_sgpr_workgroup_id_y 0
		.amdhsa_system_sgpr_workgroup_id_z 0
		.amdhsa_system_sgpr_workgroup_info 0
		.amdhsa_system_vgpr_workitem_id 0
		.amdhsa_next_free_vgpr 45
		.amdhsa_next_free_sgpr 40
		.amdhsa_reserve_vcc 1
		.amdhsa_float_round_mode_32 0
		.amdhsa_float_round_mode_16_64 0
		.amdhsa_float_denorm_mode_32 3
		.amdhsa_float_denorm_mode_16_64 3
		.amdhsa_dx10_clamp 1
		.amdhsa_ieee_mode 1
		.amdhsa_fp16_overflow 0
		.amdhsa_workgroup_processor_mode 1
		.amdhsa_memory_ordered 1
		.amdhsa_forward_progress 0
		.amdhsa_shared_vgpr_count 0
		.amdhsa_exception_fp_ieee_invalid_op 0
		.amdhsa_exception_fp_denorm_src 0
		.amdhsa_exception_fp_ieee_div_zero 0
		.amdhsa_exception_fp_ieee_overflow 0
		.amdhsa_exception_fp_ieee_underflow 0
		.amdhsa_exception_fp_ieee_inexact 0
		.amdhsa_exception_int_div_zero 0
	.end_amdhsa_kernel
	.section	.text._ZN9rocsparseL23bsric0_binsearch_kernelILj32ELj32ELb0E21rocsparse_complex_numIfEEEv20rocsparse_direction_iiPKiS5_PT2_S5_PiS5_S8_21rocsparse_index_base_,"axG",@progbits,_ZN9rocsparseL23bsric0_binsearch_kernelILj32ELj32ELb0E21rocsparse_complex_numIfEEEv20rocsparse_direction_iiPKiS5_PT2_S5_PiS5_S8_21rocsparse_index_base_,comdat
.Lfunc_end38:
	.size	_ZN9rocsparseL23bsric0_binsearch_kernelILj32ELj32ELb0E21rocsparse_complex_numIfEEEv20rocsparse_direction_iiPKiS5_PT2_S5_PiS5_S8_21rocsparse_index_base_, .Lfunc_end38-_ZN9rocsparseL23bsric0_binsearch_kernelILj32ELj32ELb0E21rocsparse_complex_numIfEEEv20rocsparse_direction_iiPKiS5_PT2_S5_PiS5_S8_21rocsparse_index_base_
                                        ; -- End function
	.section	.AMDGPU.csdata,"",@progbits
; Kernel info:
; codeLenInByte = 3904
; NumSgprs: 42
; NumVgprs: 45
; ScratchSize: 0
; MemoryBound: 0
; FloatMode: 240
; IeeeMode: 1
; LDSByteSize: 0 bytes/workgroup (compile time only)
; SGPRBlocks: 5
; VGPRBlocks: 5
; NumSGPRsForWavesPerEU: 42
; NumVGPRsForWavesPerEU: 45
; Occupancy: 16
; WaveLimiterHint : 1
; COMPUTE_PGM_RSRC2:SCRATCH_EN: 0
; COMPUTE_PGM_RSRC2:USER_SGPR: 15
; COMPUTE_PGM_RSRC2:TRAP_HANDLER: 0
; COMPUTE_PGM_RSRC2:TGID_X_EN: 1
; COMPUTE_PGM_RSRC2:TGID_Y_EN: 0
; COMPUTE_PGM_RSRC2:TGID_Z_EN: 0
; COMPUTE_PGM_RSRC2:TIDIG_COMP_CNT: 0
	.section	.text._ZN9rocsparseL23bsric0_binsearch_kernelILj64ELj64ELb1E21rocsparse_complex_numIfEEEv20rocsparse_direction_iiPKiS5_PT2_S5_PiS5_S8_21rocsparse_index_base_,"axG",@progbits,_ZN9rocsparseL23bsric0_binsearch_kernelILj64ELj64ELb1E21rocsparse_complex_numIfEEEv20rocsparse_direction_iiPKiS5_PT2_S5_PiS5_S8_21rocsparse_index_base_,comdat
	.globl	_ZN9rocsparseL23bsric0_binsearch_kernelILj64ELj64ELb1E21rocsparse_complex_numIfEEEv20rocsparse_direction_iiPKiS5_PT2_S5_PiS5_S8_21rocsparse_index_base_ ; -- Begin function _ZN9rocsparseL23bsric0_binsearch_kernelILj64ELj64ELb1E21rocsparse_complex_numIfEEEv20rocsparse_direction_iiPKiS5_PT2_S5_PiS5_S8_21rocsparse_index_base_
	.p2align	8
	.type	_ZN9rocsparseL23bsric0_binsearch_kernelILj64ELj64ELb1E21rocsparse_complex_numIfEEEv20rocsparse_direction_iiPKiS5_PT2_S5_PiS5_S8_21rocsparse_index_base_,@function
_ZN9rocsparseL23bsric0_binsearch_kernelILj64ELj64ELb1E21rocsparse_complex_numIfEEEv20rocsparse_direction_iiPKiS5_PT2_S5_PiS5_S8_21rocsparse_index_base_: ; @_ZN9rocsparseL23bsric0_binsearch_kernelILj64ELj64ELb1E21rocsparse_complex_numIfEEEv20rocsparse_direction_iiPKiS5_PT2_S5_PiS5_S8_21rocsparse_index_base_
; %bb.0:
	s_mov_b32 s2, s15
	s_load_b256 s[8:15], s[0:1], 0x28
	s_ashr_i32 s3, s2, 31
	s_delay_alu instid0(SALU_CYCLE_1)
	s_lshl_b64 s[2:3], s[2:3], 2
	s_waitcnt lgkmcnt(0)
	s_add_u32 s2, s12, s2
	s_addc_u32 s3, s13, s3
	s_load_b32 s12, s[2:3], 0x0
	s_waitcnt lgkmcnt(0)
	s_ashr_i32 s13, s12, 31
	s_delay_alu instid0(SALU_CYCLE_1) | instskip(SKIP_1) | instid1(SALU_CYCLE_1)
	v_dual_mov_b32 v2, s12 :: v_dual_mov_b32 v3, s13
	s_lshl_b64 s[2:3], s[12:13], 2
	s_add_u32 s2, s8, s2
	s_addc_u32 s3, s9, s3
	s_load_b32 s24, s[2:3], 0x0
	s_load_b32 s7, s[0:1], 0x48
	s_mov_b32 s2, 0
	s_waitcnt lgkmcnt(0)
	s_cmp_lg_u32 s24, -1
	s_cselect_b32 s3, -1, 0
	s_delay_alu instid0(SALU_CYCLE_1) | instskip(NEXT) | instid1(SALU_CYCLE_1)
	s_and_saveexec_b32 s4, s3
	s_xor_b32 s23, exec_lo, s4
	s_cbranch_execnz .LBB39_4
; %bb.1:
	s_and_not1_saveexec_b32 s0, s23
	s_cbranch_execnz .LBB39_79
.LBB39_2:
	s_or_b32 exec_lo, exec_lo, s0
	s_and_saveexec_b32 s0, s2
	s_cbranch_execnz .LBB39_86
.LBB39_3:
	s_nop 0
	s_sendmsg sendmsg(MSG_DEALLOC_VGPRS)
	s_endpgm
.LBB39_4:
	s_load_b32 s25, s[0:1], 0x8
	s_mov_b32 s26, exec_lo
	s_waitcnt lgkmcnt(0)
	v_cmpx_gt_i32_e64 s25, v0
	s_cbranch_execz .LBB39_78
; %bb.5:
	s_clause 0x1
	s_load_b128 s[16:19], s[0:1], 0x10
	s_load_b32 s5, s[0:1], 0x0
	v_lshlrev_b64 v[3:4], 2, s[12:13]
	s_load_b64 s[20:21], s[0:1], 0x20
	v_add_nc_u32_e32 v19, s7, v2
	s_mul_i32 s27, s25, s25
	v_cmp_ne_u32_e64 s0, 0, v0
	v_mul_lo_u32 v21, s24, s27
	v_mov_b32_e32 v23, v0
	s_mov_b32 s28, 0
	s_waitcnt lgkmcnt(0)
	v_add_co_u32 v3, vcc_lo, s16, v3
	v_add_co_ci_u32_e32 v4, vcc_lo, s17, v4, vcc_lo
	s_cmp_eq_u32 s5, 0
	s_cselect_b32 s1, -1, 0
	global_load_b64 v[3:4], v[3:4], off
	s_cmp_lg_u32 s5, 0
	s_cselect_b32 s29, -1, 0
	s_waitcnt vmcnt(0)
	v_subrev_nc_u32_e32 v17, s7, v3
	v_xad_u32 v18, s7, -1, v4
	s_delay_alu instid0(VALU_DEP_2) | instskip(NEXT) | instid1(VALU_DEP_2)
	v_mul_lo_u32 v20, s27, v17
	v_add_nc_u32_e32 v1, v18, v17
	v_mov_b32_e32 v3, 0
	v_cmp_gt_i32_e64 s2, s24, v17
	v_cmp_le_i32_e64 s3, s24, v17
	v_cmp_lt_i32_e64 s4, v17, v18
	v_ashrrev_i32_e32 v1, 1, v1
	v_add_nc_u32_e32 v22, v20, v0
	s_delay_alu instid0(VALU_DEP_2) | instskip(NEXT) | instid1(VALU_DEP_1)
	v_ashrrev_i32_e32 v2, 31, v1
	v_lshlrev_b64 v[4:5], 2, v[1:2]
	s_delay_alu instid0(VALU_DEP_1) | instskip(NEXT) | instid1(VALU_DEP_2)
	v_add_co_u32 v4, vcc_lo, s18, v4
	v_add_co_ci_u32_e32 v5, vcc_lo, s19, v5, vcc_lo
	s_branch .LBB39_7
.LBB39_6:                               ;   in Loop: Header=BB39_7 Depth=1
	v_add_nc_u32_e32 v23, 64, v23
	v_add_nc_u32_e32 v22, 64, v22
	s_delay_alu instid0(VALU_DEP_2) | instskip(SKIP_1) | instid1(SALU_CYCLE_1)
	v_cmp_le_i32_e32 vcc_lo, s25, v23
	s_or_b32 s28, vcc_lo, s28
	s_and_not1_b32 exec_lo, exec_lo, s28
	s_cbranch_execz .LBB39_78
.LBB39_7:                               ; =>This Loop Header: Depth=1
                                        ;     Child Loop BB39_13 Depth 2
                                        ;       Child Loop BB39_17 Depth 3
                                        ;         Child Loop BB39_18 Depth 4
                                        ;       Child Loop BB39_22 Depth 3
                                        ;         Child Loop BB39_24 Depth 4
                                        ;         Child Loop BB39_31 Depth 4
                                        ;           Child Loop BB39_33 Depth 5
                                        ;           Child Loop BB39_39 Depth 5
                                        ;     Child Loop BB39_46 Depth 2
                                        ;       Child Loop BB39_56 Depth 3
                                        ;       Child Loop BB39_64 Depth 3
                                        ;         Child Loop BB39_66 Depth 4
                                        ;       Child Loop BB39_74 Depth 3
	v_mul_lo_u32 v24, v23, s25
                                        ; implicit-def: $sgpr5
	s_and_saveexec_b32 s6, s3
	s_delay_alu instid0(SALU_CYCLE_1)
	s_xor_b32 s6, exec_lo, s6
; %bb.8:                                ;   in Loop: Header=BB39_7 Depth=1
	v_mul_lo_u32 v24, v23, s25
	s_mov_b32 s5, 0
; %bb.9:                                ;   in Loop: Header=BB39_7 Depth=1
	s_or_saveexec_b32 s30, s6
	v_dual_mov_b32 v25, s5 :: v_dual_mov_b32 v26, s5
	s_xor_b32 exec_lo, exec_lo, s30
	s_cbranch_execz .LBB39_43
; %bb.10:                               ;   in Loop: Header=BB39_7 Depth=1
	v_dual_mov_b32 v25, 0 :: v_dual_mov_b32 v6, v17
	v_mov_b32_e32 v26, 0
	s_mov_b32 s31, 0
                                        ; implicit-def: $sgpr33
	s_branch .LBB39_13
.LBB39_11:                              ;   in Loop: Header=BB39_13 Depth=2
	v_add_nc_u32_e32 v6, 1, v6
	s_and_not1_b32 s5, s33, exec_lo
	s_delay_alu instid0(VALU_DEP_1) | instskip(SKIP_1) | instid1(SALU_CYCLE_1)
	v_cmp_le_i32_e32 vcc_lo, s24, v6
	s_and_b32 s6, vcc_lo, exec_lo
	s_or_b32 s33, s5, s6
.LBB39_12:                              ;   in Loop: Header=BB39_13 Depth=2
	s_or_b32 exec_lo, exec_lo, s34
	s_delay_alu instid0(SALU_CYCLE_1) | instskip(NEXT) | instid1(SALU_CYCLE_1)
	s_and_b32 s5, exec_lo, s33
	s_or_b32 s31, s5, s31
	s_delay_alu instid0(SALU_CYCLE_1)
	s_and_not1_b32 exec_lo, exec_lo, s31
	s_cbranch_execz .LBB39_42
.LBB39_13:                              ;   Parent Loop BB39_7 Depth=1
                                        ; =>  This Loop Header: Depth=2
                                        ;       Child Loop BB39_17 Depth 3
                                        ;         Child Loop BB39_18 Depth 4
                                        ;       Child Loop BB39_22 Depth 3
                                        ;         Child Loop BB39_24 Depth 4
                                        ;         Child Loop BB39_31 Depth 4
                                        ;           Child Loop BB39_33 Depth 5
                                        ;           Child Loop BB39_39 Depth 5
	s_delay_alu instid0(VALU_DEP_2) | instskip(SKIP_2) | instid1(VALU_DEP_1)
	v_ashrrev_i32_e32 v7, 31, v6
	s_or_b32 s33, s33, exec_lo
	s_mov_b32 s34, exec_lo
	v_lshlrev_b64 v[7:8], 2, v[6:7]
	s_delay_alu instid0(VALU_DEP_1) | instskip(NEXT) | instid1(VALU_DEP_2)
	v_add_co_u32 v7, vcc_lo, s18, v7
	v_add_co_ci_u32_e32 v8, vcc_lo, s19, v8, vcc_lo
	global_load_b32 v2, v[7:8], off
	s_waitcnt vmcnt(0)
	v_subrev_nc_u32_e32 v7, s7, v2
	s_delay_alu instid0(VALU_DEP_1) | instskip(NEXT) | instid1(VALU_DEP_1)
	v_ashrrev_i32_e32 v8, 31, v7
	v_lshlrev_b64 v[8:9], 2, v[7:8]
	s_delay_alu instid0(VALU_DEP_1) | instskip(NEXT) | instid1(VALU_DEP_2)
	v_add_co_u32 v10, vcc_lo, s8, v8
	v_add_co_ci_u32_e32 v11, vcc_lo, s9, v9, vcc_lo
	global_load_b32 v27, v[10:11], off
	s_waitcnt vmcnt(0)
	v_cmpx_ne_u32_e32 -1, v27
	s_cbranch_execz .LBB39_12
; %bb.14:                               ;   in Loop: Header=BB39_13 Depth=2
	v_add_co_u32 v10, vcc_lo, s16, v8
	v_add_co_ci_u32_e32 v11, vcc_lo, s17, v9, vcc_lo
	v_add_co_u32 v8, vcc_lo, s10, v8
	v_add_co_ci_u32_e32 v9, vcc_lo, s11, v9, vcc_lo
	s_mov_b32 s5, exec_lo
	global_load_b32 v10, v[10:11], off
	global_load_b32 v11, v[8:9], off glc
	s_waitcnt vmcnt(0)
	v_cmpx_eq_u32_e32 0, v11
	s_cbranch_execz .LBB39_19
; %bb.15:                               ;   in Loop: Header=BB39_13 Depth=2
	s_mov_b32 s6, 0
	s_mov_b32 s22, 0
	s_branch .LBB39_17
	.p2align	6
.LBB39_16:                              ;   in Loop: Header=BB39_17 Depth=3
	global_load_b32 v11, v[8:9], off glc
	s_cmpk_lt_u32 s22, 0xf43
	s_cselect_b32 s35, -1, 0
	s_delay_alu instid0(SALU_CYCLE_1) | instskip(SKIP_4) | instid1(SALU_CYCLE_1)
	s_cmp_lg_u32 s35, 0
	s_addc_u32 s22, s22, 0
	s_waitcnt vmcnt(0)
	v_cmp_ne_u32_e32 vcc_lo, 0, v11
	s_or_b32 s6, vcc_lo, s6
	s_and_not1_b32 exec_lo, exec_lo, s6
	s_cbranch_execz .LBB39_19
.LBB39_17:                              ;   Parent Loop BB39_7 Depth=1
                                        ;     Parent Loop BB39_13 Depth=2
                                        ; =>    This Loop Header: Depth=3
                                        ;         Child Loop BB39_18 Depth 4
	s_cmp_eq_u32 s22, 0
	s_mov_b32 s35, s22
	s_cbranch_scc1 .LBB39_16
.LBB39_18:                              ;   Parent Loop BB39_7 Depth=1
                                        ;     Parent Loop BB39_13 Depth=2
                                        ;       Parent Loop BB39_17 Depth=3
                                        ; =>      This Inner Loop Header: Depth=4
	s_add_i32 s35, s35, -1
	s_sleep 1
	s_cmp_eq_u32 s35, 0
	s_cbranch_scc0 .LBB39_18
	s_branch .LBB39_16
.LBB39_19:                              ;   in Loop: Header=BB39_13 Depth=2
	s_or_b32 exec_lo, exec_lo, s5
	v_mul_lo_u32 v8, v6, s27
	v_subrev_nc_u32_e32 v28, s7, v10
	v_mul_lo_u32 v29, v7, s25
	v_mul_lo_u32 v30, v27, s27
	s_mov_b32 s35, 0
	buffer_gl1_inv
	buffer_gl0_inv
	v_mul_lo_u32 v31, s27, v28
	v_cmp_le_i32_e64 s5, v28, v27
	v_add_nc_u32_e32 v32, v8, v23
	v_add_nc_u32_e32 v33, v8, v24
	s_branch .LBB39_22
.LBB39_20:                              ;   in Loop: Header=BB39_22 Depth=3
	s_or_b32 exec_lo, exec_lo, s36
.LBB39_21:                              ;   in Loop: Header=BB39_22 Depth=3
	s_delay_alu instid0(SALU_CYCLE_1)
	s_or_b32 exec_lo, exec_lo, s6
	s_waitcnt vmcnt(0)
	v_dual_mul_f32 v11, v35, v35 :: v_dual_sub_f32 v10, v10, v36
	v_sub_f32_e32 v9, v9, v37
	v_add_nc_u32_e32 v31, 1, v31
	s_add_i32 s35, s35, 1
	s_delay_alu instid0(VALU_DEP_3) | instskip(SKIP_1) | instid1(VALU_DEP_1)
	v_fmac_f32_e32 v11, v34, v34
	s_cmp_eq_u32 s35, s25
	v_div_scale_f32 v12, null, v11, v11, 1.0
	v_div_scale_f32 v15, vcc_lo, 1.0, v11, 1.0
	s_delay_alu instid0(VALU_DEP_2) | instskip(SKIP_2) | instid1(VALU_DEP_1)
	v_rcp_f32_e32 v13, v12
	s_waitcnt_depctr 0xfff
	v_fma_f32 v14, -v12, v13, 1.0
	v_fmac_f32_e32 v13, v14, v13
	s_delay_alu instid0(VALU_DEP_1) | instskip(NEXT) | instid1(VALU_DEP_1)
	v_mul_f32_e32 v14, v15, v13
	v_fma_f32 v16, -v12, v14, v15
	s_delay_alu instid0(VALU_DEP_1) | instskip(NEXT) | instid1(VALU_DEP_1)
	v_fmac_f32_e32 v14, v16, v13
	v_fma_f32 v12, -v12, v14, v15
	v_mul_f32_e32 v15, v35, v10
	s_delay_alu instid0(VALU_DEP_2) | instskip(SKIP_1) | instid1(VALU_DEP_2)
	v_div_fmas_f32 v12, v12, v13, v14
	v_mul_f32_e64 v13, v35, -v9
	v_div_fixup_f32 v11, v12, v11, 1.0
	s_delay_alu instid0(VALU_DEP_2) | instskip(NEXT) | instid1(VALU_DEP_1)
	v_fmac_f32_e32 v13, v10, v34
	v_dual_fmac_f32 v15, v9, v34 :: v_dual_mul_f32 v10, v11, v13
	s_delay_alu instid0(VALU_DEP_1) | instskip(NEXT) | instid1(VALU_DEP_1)
	v_mul_f32_e32 v9, v11, v15
	v_fmac_f32_e32 v26, v9, v9
	s_delay_alu instid0(VALU_DEP_1)
	v_fmac_f32_e32 v26, v10, v10
	v_fmac_f32_e32 v25, v10, v9
	global_store_b64 v[7:8], v[9:10], off
	v_fma_f32 v25, v9, -v10, v25
	s_cbranch_scc1 .LBB39_11
.LBB39_22:                              ;   Parent Loop BB39_7 Depth=1
                                        ;     Parent Loop BB39_13 Depth=2
                                        ; =>    This Loop Header: Depth=3
                                        ;         Child Loop BB39_24 Depth 4
                                        ;         Child Loop BB39_31 Depth 4
                                        ;           Child Loop BB39_33 Depth 5
                                        ;           Child Loop BB39_39 Depth 5
	s_mul_i32 s22, s35, s25
	s_delay_alu instid0(SALU_CYCLE_1) | instskip(NEXT) | instid1(VALU_DEP_1)
	v_add3_u32 v7, s22, s35, v30
	v_ashrrev_i32_e32 v8, 31, v7
	s_delay_alu instid0(VALU_DEP_1) | instskip(NEXT) | instid1(VALU_DEP_1)
	v_lshlrev_b64 v[7:8], 3, v[7:8]
	v_add_co_u32 v7, vcc_lo, s20, v7
	s_delay_alu instid0(VALU_DEP_2) | instskip(SKIP_4) | instid1(VALU_DEP_1)
	v_add_co_ci_u32_e32 v8, vcc_lo, s21, v8, vcc_lo
	global_load_b64 v[7:8], v[7:8], off
	s_waitcnt vmcnt(0)
	v_cmp_neq_f32_e32 vcc_lo, 0, v7
	v_cmp_neq_f32_e64 s6, 0, v8
	s_or_b32 vcc_lo, vcc_lo, s6
	v_dual_cndmask_b32 v34, 1.0, v7 :: v_dual_cndmask_b32 v35, 0, v8
	s_or_b32 s6, vcc_lo, s0
	s_delay_alu instid0(SALU_CYCLE_1) | instskip(NEXT) | instid1(SALU_CYCLE_1)
	s_xor_b32 s36, s6, -1
	s_and_saveexec_b32 s6, s36
	s_cbranch_execz .LBB39_28
; %bb.23:                               ;   in Loop: Header=BB39_22 Depth=3
	s_mov_b32 s37, exec_lo
	s_brev_b32 s36, -2
.LBB39_24:                              ;   Parent Loop BB39_7 Depth=1
                                        ;     Parent Loop BB39_13 Depth=2
                                        ;       Parent Loop BB39_22 Depth=3
                                        ; =>      This Inner Loop Header: Depth=4
	s_ctz_i32_b32 s38, s37
	s_delay_alu instid0(SALU_CYCLE_1) | instskip(SKIP_1) | instid1(SALU_CYCLE_1)
	v_readlane_b32 s39, v2, s38
	s_lshl_b32 s38, 1, s38
	s_and_not1_b32 s37, s37, s38
	s_delay_alu instid0(VALU_DEP_1)
	s_min_i32 s36, s36, s39
	s_cmp_lg_u32 s37, 0
	s_cbranch_scc1 .LBB39_24
; %bb.25:                               ;   in Loop: Header=BB39_22 Depth=3
	v_mbcnt_lo_u32_b32 v7, exec_lo, 0
	s_mov_b32 s37, exec_lo
	s_delay_alu instid0(VALU_DEP_1)
	v_cmpx_eq_u32_e32 0, v7
	s_xor_b32 s37, exec_lo, s37
	s_cbranch_execz .LBB39_27
; %bb.26:                               ;   in Loop: Header=BB39_22 Depth=3
	v_mov_b32_e32 v7, s36
	global_atomic_min_i32 v3, v7, s[14:15]
.LBB39_27:                              ;   in Loop: Header=BB39_22 Depth=3
	s_or_b32 exec_lo, exec_lo, s37
	v_dual_mov_b32 v35, 0 :: v_dual_mov_b32 v34, 1.0
.LBB39_28:                              ;   in Loop: Header=BB39_22 Depth=3
	s_or_b32 exec_lo, exec_lo, s6
	v_dual_mov_b32 v36, 0 :: v_dual_add_nc_u32 v7, s35, v33
	v_dual_mov_b32 v37, 0 :: v_dual_add_nc_u32 v8, s22, v32
	s_delay_alu instid0(VALU_DEP_1) | instskip(NEXT) | instid1(VALU_DEP_1)
	v_cndmask_b32_e64 v7, v8, v7, s1
	v_ashrrev_i32_e32 v8, 31, v7
	s_delay_alu instid0(VALU_DEP_1) | instskip(NEXT) | instid1(VALU_DEP_1)
	v_lshlrev_b64 v[7:8], 3, v[7:8]
	v_add_co_u32 v7, vcc_lo, s20, v7
	s_delay_alu instid0(VALU_DEP_2)
	v_add_co_ci_u32_e32 v8, vcc_lo, s21, v8, vcc_lo
	global_load_b64 v[9:10], v[7:8], off
	s_and_saveexec_b32 s6, s5
	s_cbranch_execz .LBB39_21
; %bb.29:                               ;   in Loop: Header=BB39_22 Depth=3
	global_load_b32 v38, v[4:5], off
	v_dual_mov_b32 v36, 0 :: v_dual_add_nc_u32 v39, s35, v29
	v_dual_mov_b32 v40, v31 :: v_dual_mov_b32 v11, v28
	v_mov_b32_e32 v37, 0
	s_mov_b32 s36, 0
	s_branch .LBB39_31
.LBB39_30:                              ;   in Loop: Header=BB39_31 Depth=4
	s_set_inst_prefetch_distance 0x2
	s_or_b32 exec_lo, exec_lo, s37
	v_add_nc_u32_e32 v12, 1, v11
	v_cmp_ge_i32_e32 vcc_lo, v11, v27
	s_delay_alu instid0(VALU_DEP_2) | instskip(SKIP_1) | instid1(SALU_CYCLE_1)
	v_dual_mov_b32 v11, v12 :: v_dual_add_nc_u32 v40, s27, v40
	s_or_b32 s36, vcc_lo, s36
	s_and_not1_b32 exec_lo, exec_lo, s36
	s_cbranch_execz .LBB39_20
.LBB39_31:                              ;   Parent Loop BB39_7 Depth=1
                                        ;     Parent Loop BB39_13 Depth=2
                                        ;       Parent Loop BB39_22 Depth=3
                                        ; =>      This Loop Header: Depth=4
                                        ;           Child Loop BB39_33 Depth 5
                                        ;           Child Loop BB39_39 Depth 5
	s_delay_alu instid0(VALU_DEP_1) | instskip(NEXT) | instid1(VALU_DEP_1)
	v_ashrrev_i32_e32 v12, 31, v11
	v_lshlrev_b64 v[12:13], 2, v[11:12]
	s_delay_alu instid0(VALU_DEP_1) | instskip(NEXT) | instid1(VALU_DEP_2)
	v_add_co_u32 v12, vcc_lo, s18, v12
	v_add_co_ci_u32_e32 v13, vcc_lo, s19, v13, vcc_lo
	global_load_b32 v14, v[12:13], off
	s_waitcnt vmcnt(1)
	v_dual_mov_b32 v13, v38 :: v_dual_mov_b32 v12, v1
	s_and_saveexec_b32 s37, s4
	s_cbranch_execz .LBB39_35
; %bb.32:                               ;   in Loop: Header=BB39_31 Depth=4
	v_dual_mov_b32 v13, v38 :: v_dual_mov_b32 v12, v1
	v_dual_mov_b32 v15, v17 :: v_dual_mov_b32 v16, v18
	s_mov_b32 s38, 0
	.p2align	6
.LBB39_33:                              ;   Parent Loop BB39_7 Depth=1
                                        ;     Parent Loop BB39_13 Depth=2
                                        ;       Parent Loop BB39_22 Depth=3
                                        ;         Parent Loop BB39_31 Depth=4
                                        ; =>        This Inner Loop Header: Depth=5
	s_delay_alu instid0(VALU_DEP_2) | instskip(SKIP_2) | instid1(VALU_DEP_2)
	v_add_nc_u32_e32 v41, 1, v12
	s_waitcnt vmcnt(0)
	v_cmp_lt_i32_e32 vcc_lo, v13, v14
	v_dual_cndmask_b32 v16, v12, v16 :: v_dual_cndmask_b32 v15, v15, v41
	s_delay_alu instid0(VALU_DEP_1) | instskip(NEXT) | instid1(VALU_DEP_1)
	v_add_nc_u32_e32 v12, v16, v15
	v_ashrrev_i32_e32 v12, 1, v12
	s_delay_alu instid0(VALU_DEP_1) | instskip(NEXT) | instid1(VALU_DEP_1)
	v_ashrrev_i32_e32 v13, 31, v12
	v_lshlrev_b64 v[41:42], 2, v[12:13]
	s_delay_alu instid0(VALU_DEP_1) | instskip(NEXT) | instid1(VALU_DEP_2)
	v_add_co_u32 v41, vcc_lo, s18, v41
	v_add_co_ci_u32_e32 v42, vcc_lo, s19, v42, vcc_lo
	v_cmp_ge_i32_e32 vcc_lo, v15, v16
	global_load_b32 v13, v[41:42], off
	s_or_b32 s38, vcc_lo, s38
	s_delay_alu instid0(SALU_CYCLE_1)
	s_and_not1_b32 exec_lo, exec_lo, s38
	s_cbranch_execnz .LBB39_33
; %bb.34:                               ;   in Loop: Header=BB39_31 Depth=4
	s_or_b32 exec_lo, exec_lo, s38
.LBB39_35:                              ;   in Loop: Header=BB39_31 Depth=4
	s_delay_alu instid0(SALU_CYCLE_1) | instskip(NEXT) | instid1(SALU_CYCLE_1)
	s_or_b32 exec_lo, exec_lo, s37
	s_mov_b32 s37, exec_lo
	s_waitcnt vmcnt(0)
	v_cmpx_eq_u32_e64 v13, v14
	s_cbranch_execz .LBB39_30
; %bb.36:                               ;   in Loop: Header=BB39_31 Depth=4
	v_mul_lo_u32 v15, v12, s27
	v_subrev_nc_u32_e32 v14, s7, v14
	v_mad_u64_u32 v[12:13], null, v11, s27, s[22:23]
	s_mov_b32 s38, 0
	v_mov_b32_e32 v44, v40
	s_delay_alu instid0(VALU_DEP_3)
	v_mul_lo_u32 v41, v14, s25
	v_add_nc_u32_e32 v42, v15, v24
	v_add_nc_u32_e32 v43, v23, v15
	s_set_inst_prefetch_distance 0x1
	s_branch .LBB39_39
	.p2align	6
.LBB39_37:                              ;   in Loop: Header=BB39_39 Depth=5
	s_delay_alu instid0(VALU_DEP_2) | instskip(NEXT) | instid1(VALU_DEP_2)
	v_ashrrev_i32_e32 v16, 31, v15
	v_ashrrev_i32_e32 v14, 31, v13
	s_delay_alu instid0(VALU_DEP_2) | instskip(NEXT) | instid1(VALU_DEP_2)
	v_lshlrev_b64 v[15:16], 3, v[15:16]
	v_lshlrev_b64 v[13:14], 3, v[13:14]
	s_delay_alu instid0(VALU_DEP_2) | instskip(NEXT) | instid1(VALU_DEP_3)
	v_add_co_u32 v15, vcc_lo, s20, v15
	v_add_co_ci_u32_e32 v16, vcc_lo, s21, v16, vcc_lo
	s_delay_alu instid0(VALU_DEP_3) | instskip(NEXT) | instid1(VALU_DEP_4)
	v_add_co_u32 v13, vcc_lo, s20, v13
	v_add_co_ci_u32_e32 v14, vcc_lo, s21, v14, vcc_lo
	s_clause 0x1
	global_load_b64 v[15:16], v[15:16], off
	global_load_b64 v[13:14], v[13:14], off
	s_waitcnt vmcnt(0)
	v_fmac_f32_e32 v37, v15, v13
	v_fmac_f32_e32 v36, v16, v13
	s_delay_alu instid0(VALU_DEP_2) | instskip(NEXT) | instid1(VALU_DEP_2)
	v_fmac_f32_e32 v37, v16, v14
	v_fma_f32 v36, v15, -v14, v36
.LBB39_38:                              ;   in Loop: Header=BB39_39 Depth=5
	s_or_b32 exec_lo, exec_lo, s39
	v_add_nc_u32_e32 v43, s25, v43
	v_add_nc_u32_e32 v44, s25, v44
	s_add_i32 s38, s38, 1
	s_delay_alu instid0(SALU_CYCLE_1)
	s_cmp_lg_u32 s25, s38
	s_cbranch_scc0 .LBB39_30
.LBB39_39:                              ;   Parent Loop BB39_7 Depth=1
                                        ;     Parent Loop BB39_13 Depth=2
                                        ;       Parent Loop BB39_22 Depth=3
                                        ;         Parent Loop BB39_31 Depth=4
                                        ; =>        This Inner Loop Header: Depth=5
	s_delay_alu instid0(VALU_DEP_3) | instskip(SKIP_1) | instid1(VALU_DEP_1)
	v_add_nc_u32_e32 v13, s38, v41
	s_mov_b32 s39, exec_lo
	v_cmpx_lt_i32_e64 v13, v39
	s_cbranch_execz .LBB39_38
; %bb.40:                               ;   in Loop: Header=BB39_39 Depth=5
	v_mov_b32_e32 v15, v44
	v_mov_b32_e32 v13, v43
	s_and_not1_b32 vcc_lo, exec_lo, s1
	s_cbranch_vccnz .LBB39_37
; %bb.41:                               ;   in Loop: Header=BB39_39 Depth=5
	v_add_nc_u32_e32 v15, s38, v12
	v_add_nc_u32_e32 v13, s38, v42
	s_branch .LBB39_37
.LBB39_42:                              ;   in Loop: Header=BB39_7 Depth=1
	s_or_b32 exec_lo, exec_lo, s31
.LBB39_43:                              ;   in Loop: Header=BB39_7 Depth=1
	s_delay_alu instid0(SALU_CYCLE_1) | instskip(NEXT) | instid1(VALU_DEP_2)
	s_or_b32 exec_lo, exec_lo, s30
	v_add_nc_u32_e32 v14, v24, v21
	v_mov_b32_e32 v15, v20
	s_mov_b32 s6, 0
	s_branch .LBB39_46
.LBB39_44:                              ;   in Loop: Header=BB39_46 Depth=2
	s_set_inst_prefetch_distance 0x2
	v_mul_f32_e32 v10, v27, v27
	s_waitcnt vmcnt(0)
	v_dual_sub_f32 v8, v8, v28 :: v_dual_sub_f32 v9, v9, v29
	s_delay_alu instid0(VALU_DEP_2) | instskip(NEXT) | instid1(VALU_DEP_1)
	v_fmac_f32_e32 v10, v2, v2
	v_div_scale_f32 v11, null, v10, v10, 1.0
	v_div_scale_f32 v16, vcc_lo, 1.0, v10, 1.0
	s_delay_alu instid0(VALU_DEP_2) | instskip(SKIP_2) | instid1(VALU_DEP_1)
	v_rcp_f32_e32 v12, v11
	s_waitcnt_depctr 0xfff
	v_fma_f32 v13, -v11, v12, 1.0
	v_fmac_f32_e32 v12, v13, v12
	s_delay_alu instid0(VALU_DEP_1) | instskip(NEXT) | instid1(VALU_DEP_1)
	v_mul_f32_e32 v13, v16, v12
	v_fma_f32 v30, -v11, v13, v16
	s_delay_alu instid0(VALU_DEP_1) | instskip(NEXT) | instid1(VALU_DEP_1)
	v_fmac_f32_e32 v13, v30, v12
	v_fma_f32 v11, -v11, v13, v16
	v_mul_f32_e32 v16, v27, v9
	s_delay_alu instid0(VALU_DEP_2) | instskip(SKIP_1) | instid1(VALU_DEP_2)
	v_div_fmas_f32 v11, v11, v12, v13
	v_mul_f32_e64 v12, v27, -v8
	v_div_fixup_f32 v10, v11, v10, 1.0
	s_delay_alu instid0(VALU_DEP_2) | instskip(NEXT) | instid1(VALU_DEP_1)
	v_fmac_f32_e32 v12, v9, v2
	v_dual_fmac_f32 v16, v8, v2 :: v_dual_mul_f32 v9, v10, v12
	s_delay_alu instid0(VALU_DEP_1) | instskip(NEXT) | instid1(VALU_DEP_1)
	v_mul_f32_e32 v8, v10, v16
	v_fmac_f32_e32 v26, v8, v8
	s_delay_alu instid0(VALU_DEP_3)
	v_fmac_f32_e32 v25, v9, v8
	global_store_b64 v[6:7], v[8:9], off
	v_fmac_f32_e32 v26, v9, v9
	v_fma_f32 v25, v8, -v9, v25
.LBB39_45:                              ;   in Loop: Header=BB39_46 Depth=2
	s_or_b32 exec_lo, exec_lo, s5
	v_add_nc_u32_e32 v15, 1, v15
	s_add_i32 s6, s6, 1
	s_waitcnt_vscnt null, 0x0
	buffer_gl1_inv
	buffer_gl0_inv
	s_cmp_eq_u32 s6, s25
	s_cbranch_scc1 .LBB39_6
.LBB39_46:                              ;   Parent Loop BB39_7 Depth=1
                                        ; =>  This Loop Header: Depth=2
                                        ;       Child Loop BB39_56 Depth 3
                                        ;       Child Loop BB39_64 Depth 3
                                        ;         Child Loop BB39_66 Depth 4
                                        ;       Child Loop BB39_74 Depth 3
	s_mul_i32 s22, s6, s25
	s_mov_b32 s30, exec_lo
	v_add_nc_u32_e32 v16, s22, v21
	s_delay_alu instid0(VALU_DEP_1) | instskip(NEXT) | instid1(VALU_DEP_1)
	v_add_nc_u32_e32 v6, s6, v16
	v_ashrrev_i32_e32 v7, 31, v6
	s_delay_alu instid0(VALU_DEP_1)
	v_lshlrev_b64 v[6:7], 3, v[6:7]
	v_cmpx_eq_u32_e64 s6, v23
	s_cbranch_execz .LBB39_54
; %bb.47:                               ;   in Loop: Header=BB39_46 Depth=2
	s_delay_alu instid0(VALU_DEP_2) | instskip(NEXT) | instid1(VALU_DEP_3)
	v_add_co_u32 v8, vcc_lo, s20, v6
	v_add_co_ci_u32_e32 v9, vcc_lo, s21, v7, vcc_lo
	s_mov_b32 s5, exec_lo
	global_load_b64 v[10:11], v[8:9], off
	s_waitcnt vmcnt(0)
	v_sub_f32_e32 v2, v10, v26
	v_sub_f32_e32 v12, v11, v25
                                        ; implicit-def: $vgpr11
	s_delay_alu instid0(VALU_DEP_2) | instskip(SKIP_1) | instid1(VALU_DEP_3)
	v_cmp_gt_f32_e32 vcc_lo, 0, v2
	v_cndmask_b32_e64 v2, v2, -v2, vcc_lo
	v_cmp_gt_f32_e32 vcc_lo, 0, v12
	v_cndmask_b32_e64 v10, v12, -v12, vcc_lo
	s_delay_alu instid0(VALU_DEP_1)
	v_cmpx_ngt_f32_e32 v2, v10
	s_xor_b32 s31, exec_lo, s5
	s_cbranch_execz .LBB39_51
; %bb.48:                               ;   in Loop: Header=BB39_46 Depth=2
	v_mov_b32_e32 v11, 0
	s_mov_b32 s33, exec_lo
	v_cmpx_neq_f32_e32 0, v12
	s_cbranch_execz .LBB39_50
; %bb.49:                               ;   in Loop: Header=BB39_46 Depth=2
	v_div_scale_f32 v11, null, v10, v10, v2
	v_div_scale_f32 v27, vcc_lo, v2, v10, v2
	s_delay_alu instid0(VALU_DEP_2) | instskip(SKIP_2) | instid1(VALU_DEP_1)
	v_rcp_f32_e32 v12, v11
	s_waitcnt_depctr 0xfff
	v_fma_f32 v13, -v11, v12, 1.0
	v_fmac_f32_e32 v12, v13, v12
	s_delay_alu instid0(VALU_DEP_1) | instskip(NEXT) | instid1(VALU_DEP_1)
	v_mul_f32_e32 v13, v27, v12
	v_fma_f32 v28, -v11, v13, v27
	s_delay_alu instid0(VALU_DEP_1) | instskip(NEXT) | instid1(VALU_DEP_1)
	v_fmac_f32_e32 v13, v28, v12
	v_fma_f32 v11, -v11, v13, v27
	s_delay_alu instid0(VALU_DEP_1) | instskip(NEXT) | instid1(VALU_DEP_1)
	v_div_fmas_f32 v11, v11, v12, v13
	v_div_fixup_f32 v2, v11, v10, v2
	s_delay_alu instid0(VALU_DEP_1) | instskip(NEXT) | instid1(VALU_DEP_1)
	v_fma_f32 v2, v2, v2, 1.0
	v_mul_f32_e32 v11, 0x4f800000, v2
	v_cmp_gt_f32_e32 vcc_lo, 0xf800000, v2
	s_delay_alu instid0(VALU_DEP_2) | instskip(NEXT) | instid1(VALU_DEP_1)
	v_cndmask_b32_e32 v2, v2, v11, vcc_lo
	v_sqrt_f32_e32 v11, v2
	s_waitcnt_depctr 0xfff
	v_add_nc_u32_e32 v12, -1, v11
	v_add_nc_u32_e32 v13, 1, v11
	s_delay_alu instid0(VALU_DEP_2) | instskip(NEXT) | instid1(VALU_DEP_2)
	v_fma_f32 v27, -v12, v11, v2
	v_fma_f32 v28, -v13, v11, v2
	s_delay_alu instid0(VALU_DEP_2) | instskip(NEXT) | instid1(VALU_DEP_1)
	v_cmp_ge_f32_e64 s5, 0, v27
	v_cndmask_b32_e64 v11, v11, v12, s5
	s_delay_alu instid0(VALU_DEP_3) | instskip(NEXT) | instid1(VALU_DEP_1)
	v_cmp_lt_f32_e64 s5, 0, v28
	v_cndmask_b32_e64 v11, v11, v13, s5
	s_delay_alu instid0(VALU_DEP_1) | instskip(NEXT) | instid1(VALU_DEP_1)
	v_mul_f32_e32 v12, 0x37800000, v11
	v_cndmask_b32_e32 v11, v11, v12, vcc_lo
	v_cmp_class_f32_e64 vcc_lo, v2, 0x260
	s_delay_alu instid0(VALU_DEP_2) | instskip(NEXT) | instid1(VALU_DEP_1)
	v_cndmask_b32_e32 v2, v11, v2, vcc_lo
	v_mul_f32_e32 v11, v10, v2
.LBB39_50:                              ;   in Loop: Header=BB39_46 Depth=2
	s_or_b32 exec_lo, exec_lo, s33
                                        ; implicit-def: $vgpr2
                                        ; implicit-def: $vgpr10
.LBB39_51:                              ;   in Loop: Header=BB39_46 Depth=2
	s_and_not1_saveexec_b32 s31, s31
	s_cbranch_execz .LBB39_53
; %bb.52:                               ;   in Loop: Header=BB39_46 Depth=2
	v_div_scale_f32 v11, null, v2, v2, v10
	v_div_scale_f32 v27, vcc_lo, v10, v2, v10
	s_delay_alu instid0(VALU_DEP_2) | instskip(SKIP_2) | instid1(VALU_DEP_1)
	v_rcp_f32_e32 v12, v11
	s_waitcnt_depctr 0xfff
	v_fma_f32 v13, -v11, v12, 1.0
	v_fmac_f32_e32 v12, v13, v12
	s_delay_alu instid0(VALU_DEP_1) | instskip(NEXT) | instid1(VALU_DEP_1)
	v_mul_f32_e32 v13, v27, v12
	v_fma_f32 v28, -v11, v13, v27
	s_delay_alu instid0(VALU_DEP_1) | instskip(NEXT) | instid1(VALU_DEP_1)
	v_fmac_f32_e32 v13, v28, v12
	v_fma_f32 v11, -v11, v13, v27
	s_delay_alu instid0(VALU_DEP_1) | instskip(NEXT) | instid1(VALU_DEP_1)
	v_div_fmas_f32 v11, v11, v12, v13
	v_div_fixup_f32 v10, v11, v2, v10
	s_delay_alu instid0(VALU_DEP_1) | instskip(NEXT) | instid1(VALU_DEP_1)
	v_fma_f32 v10, v10, v10, 1.0
	v_mul_f32_e32 v11, 0x4f800000, v10
	v_cmp_gt_f32_e32 vcc_lo, 0xf800000, v10
	s_delay_alu instid0(VALU_DEP_2) | instskip(NEXT) | instid1(VALU_DEP_1)
	v_cndmask_b32_e32 v10, v10, v11, vcc_lo
	v_sqrt_f32_e32 v11, v10
	s_waitcnt_depctr 0xfff
	v_add_nc_u32_e32 v12, -1, v11
	v_add_nc_u32_e32 v13, 1, v11
	s_delay_alu instid0(VALU_DEP_2) | instskip(NEXT) | instid1(VALU_DEP_2)
	v_fma_f32 v27, -v12, v11, v10
	v_fma_f32 v28, -v13, v11, v10
	s_delay_alu instid0(VALU_DEP_2) | instskip(NEXT) | instid1(VALU_DEP_1)
	v_cmp_ge_f32_e64 s5, 0, v27
	v_cndmask_b32_e64 v11, v11, v12, s5
	s_delay_alu instid0(VALU_DEP_3) | instskip(NEXT) | instid1(VALU_DEP_1)
	v_cmp_lt_f32_e64 s5, 0, v28
	v_cndmask_b32_e64 v11, v11, v13, s5
	s_delay_alu instid0(VALU_DEP_1) | instskip(NEXT) | instid1(VALU_DEP_1)
	v_mul_f32_e32 v12, 0x37800000, v11
	v_cndmask_b32_e32 v11, v11, v12, vcc_lo
	v_cmp_class_f32_e64 vcc_lo, v10, 0x260
	s_delay_alu instid0(VALU_DEP_2) | instskip(NEXT) | instid1(VALU_DEP_1)
	v_cndmask_b32_e32 v10, v11, v10, vcc_lo
	v_mul_f32_e32 v11, v2, v10
.LBB39_53:                              ;   in Loop: Header=BB39_46 Depth=2
	s_or_b32 exec_lo, exec_lo, s31
	s_delay_alu instid0(VALU_DEP_1) | instskip(SKIP_1) | instid1(VALU_DEP_2)
	v_mul_f32_e32 v2, 0x4f800000, v11
	v_cmp_gt_f32_e32 vcc_lo, 0xf800000, v11
	v_cndmask_b32_e32 v2, v11, v2, vcc_lo
	s_delay_alu instid0(VALU_DEP_1) | instskip(SKIP_3) | instid1(VALU_DEP_2)
	v_sqrt_f32_e32 v10, v2
	s_waitcnt_depctr 0xfff
	v_add_nc_u32_e32 v11, -1, v10
	v_add_nc_u32_e32 v12, 1, v10
	v_fma_f32 v13, -v11, v10, v2
	s_delay_alu instid0(VALU_DEP_2) | instskip(NEXT) | instid1(VALU_DEP_2)
	v_fma_f32 v27, -v12, v10, v2
	v_cmp_ge_f32_e64 s5, 0, v13
	s_delay_alu instid0(VALU_DEP_1) | instskip(NEXT) | instid1(VALU_DEP_3)
	v_cndmask_b32_e64 v10, v10, v11, s5
	v_cmp_lt_f32_e64 s5, 0, v27
	s_delay_alu instid0(VALU_DEP_1) | instskip(NEXT) | instid1(VALU_DEP_1)
	v_cndmask_b32_e64 v10, v10, v12, s5
	v_mul_f32_e32 v11, 0x37800000, v10
	s_delay_alu instid0(VALU_DEP_1) | instskip(SKIP_1) | instid1(VALU_DEP_2)
	v_cndmask_b32_e32 v10, v10, v11, vcc_lo
	v_cmp_class_f32_e64 vcc_lo, v2, 0x260
	v_cndmask_b32_e32 v2, v10, v2, vcc_lo
	global_store_b64 v[8:9], v[2:3], off
.LBB39_54:                              ;   in Loop: Header=BB39_46 Depth=2
	s_or_b32 exec_lo, exec_lo, s30
	s_delay_alu instid0(VALU_DEP_2) | instskip(NEXT) | instid1(VALU_DEP_3)
	v_add_co_u32 v6, vcc_lo, s20, v6
	v_add_co_ci_u32_e32 v7, vcc_lo, s21, v7, vcc_lo
	s_waitcnt_vscnt null, 0x0
	buffer_gl1_inv
	buffer_gl0_inv
	global_load_b64 v[6:7], v[6:7], off
	s_waitcnt vmcnt(0)
	v_cmp_neq_f32_e32 vcc_lo, 0, v6
	v_cmp_neq_f32_e64 s5, 0, v7
	s_delay_alu instid0(VALU_DEP_1) | instskip(SKIP_2) | instid1(SALU_CYCLE_1)
	s_or_b32 vcc_lo, vcc_lo, s5
	v_dual_cndmask_b32 v27, 0, v7 :: v_dual_cndmask_b32 v2, 1.0, v6
	s_or_b32 s5, vcc_lo, s0
	s_xor_b32 s30, s5, -1
	s_delay_alu instid0(SALU_CYCLE_1)
	s_and_saveexec_b32 s5, s30
	s_cbranch_execz .LBB39_60
; %bb.55:                               ;   in Loop: Header=BB39_46 Depth=2
	s_mov_b32 s31, exec_lo
	s_brev_b32 s30, -2
.LBB39_56:                              ;   Parent Loop BB39_7 Depth=1
                                        ;     Parent Loop BB39_46 Depth=2
                                        ; =>    This Inner Loop Header: Depth=3
	s_ctz_i32_b32 s33, s31
	s_delay_alu instid0(SALU_CYCLE_1) | instskip(SKIP_1) | instid1(SALU_CYCLE_1)
	v_readlane_b32 s34, v19, s33
	s_lshl_b32 s33, 1, s33
	s_and_not1_b32 s31, s31, s33
	s_delay_alu instid0(VALU_DEP_1)
	s_min_i32 s30, s30, s34
	s_cmp_lg_u32 s31, 0
	s_cbranch_scc1 .LBB39_56
; %bb.57:                               ;   in Loop: Header=BB39_46 Depth=2
	v_mbcnt_lo_u32_b32 v2, exec_lo, 0
	s_mov_b32 s31, exec_lo
	s_delay_alu instid0(VALU_DEP_1)
	v_cmpx_eq_u32_e32 0, v2
	s_xor_b32 s31, exec_lo, s31
	s_cbranch_execz .LBB39_59
; %bb.58:                               ;   in Loop: Header=BB39_46 Depth=2
	v_mov_b32_e32 v2, s30
	global_atomic_min_i32 v3, v2, s[14:15]
.LBB39_59:                              ;   in Loop: Header=BB39_46 Depth=2
	s_or_b32 exec_lo, exec_lo, s31
	v_dual_mov_b32 v2, 1.0 :: v_dual_mov_b32 v27, 0
.LBB39_60:                              ;   in Loop: Header=BB39_46 Depth=2
	s_or_b32 exec_lo, exec_lo, s5
	s_delay_alu instid0(SALU_CYCLE_1)
	s_mov_b32 s5, exec_lo
	v_cmpx_lt_i32_e64 s6, v23
	s_cbranch_execz .LBB39_45
; %bb.61:                               ;   in Loop: Header=BB39_46 Depth=2
	v_dual_mov_b32 v29, 0 :: v_dual_add_nc_u32 v6, s6, v14
	v_dual_mov_b32 v28, 0 :: v_dual_add_nc_u32 v7, v16, v23
	s_delay_alu instid0(VALU_DEP_1) | instskip(NEXT) | instid1(VALU_DEP_1)
	v_cndmask_b32_e64 v6, v7, v6, s1
	v_ashrrev_i32_e32 v7, 31, v6
	s_delay_alu instid0(VALU_DEP_1) | instskip(NEXT) | instid1(VALU_DEP_1)
	v_lshlrev_b64 v[6:7], 3, v[6:7]
	v_add_co_u32 v6, vcc_lo, s20, v6
	s_delay_alu instid0(VALU_DEP_2)
	v_add_co_ci_u32_e32 v7, vcc_lo, s21, v7, vcc_lo
	global_load_b64 v[8:9], v[6:7], off
	s_and_saveexec_b32 s30, s2
	s_cbranch_execz .LBB39_71
; %bb.62:                               ;   in Loop: Header=BB39_46 Depth=2
	v_dual_mov_b32 v28, 0 :: v_dual_mov_b32 v31, v22
	v_dual_mov_b32 v30, v15 :: v_dual_mov_b32 v29, 0
	v_mov_b32_e32 v32, v17
	s_mov_b32 s31, 0
	s_branch .LBB39_64
.LBB39_63:                              ;   in Loop: Header=BB39_64 Depth=3
	s_set_inst_prefetch_distance 0x2
	v_add_nc_u32_e32 v32, 1, v32
	v_add_nc_u32_e32 v31, s27, v31
	;; [unrolled: 1-line block ×3, first 2 shown]
	s_delay_alu instid0(VALU_DEP_3) | instskip(SKIP_1) | instid1(SALU_CYCLE_1)
	v_cmp_le_i32_e32 vcc_lo, s24, v32
	s_or_b32 s31, vcc_lo, s31
	s_and_not1_b32 exec_lo, exec_lo, s31
	s_cbranch_execz .LBB39_70
.LBB39_64:                              ;   Parent Loop BB39_7 Depth=1
                                        ;     Parent Loop BB39_46 Depth=2
                                        ; =>    This Loop Header: Depth=3
                                        ;         Child Loop BB39_66 Depth 4
	s_delay_alu instid0(VALU_DEP_1) | instskip(SKIP_3) | instid1(VALU_DEP_1)
	v_mul_lo_u32 v10, v32, s27
	s_mov_b32 s33, s25
	s_mov_b32 s34, 0
	;; [unrolled: 1-line block ×3, first 2 shown]
	v_add_nc_u32_e32 v33, s22, v10
	v_add_nc_u32_e32 v34, v10, v24
	s_set_inst_prefetch_distance 0x1
	s_branch .LBB39_66
	.p2align	6
.LBB39_65:                              ;   in Loop: Header=BB39_66 Depth=4
	s_delay_alu instid0(VALU_DEP_2) | instskip(NEXT) | instid1(VALU_DEP_2)
	v_ashrrev_i32_e32 v13, 31, v12
	v_ashrrev_i32_e32 v11, 31, v10
	s_add_i32 s33, s33, -1
	s_add_i32 s35, s35, 1
	s_add_i32 s34, s34, s25
	v_lshlrev_b64 v[12:13], 3, v[12:13]
	v_lshlrev_b64 v[10:11], 3, v[10:11]
	s_cmp_eq_u32 s33, 0
	s_delay_alu instid0(VALU_DEP_2) | instskip(NEXT) | instid1(VALU_DEP_3)
	v_add_co_u32 v12, vcc_lo, s20, v12
	v_add_co_ci_u32_e32 v13, vcc_lo, s21, v13, vcc_lo
	s_delay_alu instid0(VALU_DEP_3) | instskip(NEXT) | instid1(VALU_DEP_4)
	v_add_co_u32 v10, vcc_lo, s20, v10
	v_add_co_ci_u32_e32 v11, vcc_lo, s21, v11, vcc_lo
	s_clause 0x1
	global_load_b64 v[12:13], v[12:13], off
	global_load_b64 v[10:11], v[10:11], off
	s_waitcnt vmcnt(0)
	v_fmac_f32_e32 v28, v12, v10
	v_fmac_f32_e32 v29, v13, v10
	s_delay_alu instid0(VALU_DEP_2) | instskip(NEXT) | instid1(VALU_DEP_2)
	v_fmac_f32_e32 v28, v13, v11
	v_fma_f32 v29, v12, -v11, v29
	s_cbranch_scc1 .LBB39_63
.LBB39_66:                              ;   Parent Loop BB39_7 Depth=1
                                        ;     Parent Loop BB39_46 Depth=2
                                        ;       Parent Loop BB39_64 Depth=3
                                        ; =>      This Inner Loop Header: Depth=4
	s_and_b32 vcc_lo, exec_lo, s29
	s_cbranch_vccz .LBB39_68
; %bb.67:                               ;   in Loop: Header=BB39_66 Depth=4
	v_add_nc_u32_e32 v12, s34, v30
	v_add_nc_u32_e32 v10, s34, v31
	s_cbranch_execnz .LBB39_65
	s_branch .LBB39_69
	.p2align	6
.LBB39_68:                              ;   in Loop: Header=BB39_66 Depth=4
                                        ; implicit-def: $vgpr10
                                        ; implicit-def: $vgpr12
.LBB39_69:                              ;   in Loop: Header=BB39_66 Depth=4
	v_add_nc_u32_e32 v12, s35, v33
	v_add_nc_u32_e32 v10, s35, v34
	s_branch .LBB39_65
.LBB39_70:                              ;   in Loop: Header=BB39_46 Depth=2
	s_or_b32 exec_lo, exec_lo, s31
.LBB39_71:                              ;   in Loop: Header=BB39_46 Depth=2
	s_delay_alu instid0(SALU_CYCLE_1)
	s_or_b32 exec_lo, exec_lo, s30
	s_cmp_eq_u32 s6, 0
	s_cbranch_scc1 .LBB39_44
; %bb.72:                               ;   in Loop: Header=BB39_46 Depth=2
	v_mov_b32_e32 v30, v21
	s_mov_b32 s22, 0
	s_set_inst_prefetch_distance 0x1
	s_branch .LBB39_74
	.p2align	6
.LBB39_73:                              ;   in Loop: Header=BB39_74 Depth=3
	s_delay_alu instid0(VALU_DEP_2) | instskip(NEXT) | instid1(VALU_DEP_2)
	v_ashrrev_i32_e32 v13, 31, v12
	v_ashrrev_i32_e32 v11, 31, v10
	v_add_nc_u32_e32 v30, s25, v30
	s_add_i32 s22, s22, 1
	s_delay_alu instid0(SALU_CYCLE_1) | instskip(SKIP_2) | instid1(VALU_DEP_2)
	s_cmp_ge_u32 s22, s6
	v_lshlrev_b64 v[12:13], 3, v[12:13]
	v_lshlrev_b64 v[10:11], 3, v[10:11]
	v_add_co_u32 v12, vcc_lo, s20, v12
	s_delay_alu instid0(VALU_DEP_3) | instskip(NEXT) | instid1(VALU_DEP_3)
	v_add_co_ci_u32_e32 v13, vcc_lo, s21, v13, vcc_lo
	v_add_co_u32 v10, vcc_lo, s20, v10
	s_delay_alu instid0(VALU_DEP_4)
	v_add_co_ci_u32_e32 v11, vcc_lo, s21, v11, vcc_lo
	s_clause 0x1
	global_load_b64 v[12:13], v[12:13], off
	global_load_b64 v[10:11], v[10:11], off
	s_waitcnt vmcnt(0)
	v_fmac_f32_e32 v28, v12, v10
	v_fmac_f32_e32 v29, v13, v10
	s_delay_alu instid0(VALU_DEP_2) | instskip(NEXT) | instid1(VALU_DEP_2)
	v_fmac_f32_e32 v28, v13, v11
	v_fma_f32 v29, v12, -v11, v29
	s_cbranch_scc1 .LBB39_44
.LBB39_74:                              ;   Parent Loop BB39_7 Depth=1
                                        ;     Parent Loop BB39_46 Depth=2
                                        ; =>    This Inner Loop Header: Depth=3
	s_and_b32 vcc_lo, exec_lo, s29
	s_cbranch_vccz .LBB39_76
; %bb.75:                               ;   in Loop: Header=BB39_74 Depth=3
	v_add_nc_u32_e32 v12, s6, v30
	v_add_nc_u32_e32 v10, v23, v30
	s_cbranch_execnz .LBB39_73
	s_branch .LBB39_77
	.p2align	6
.LBB39_76:                              ;   in Loop: Header=BB39_74 Depth=3
                                        ; implicit-def: $vgpr10
                                        ; implicit-def: $vgpr12
.LBB39_77:                              ;   in Loop: Header=BB39_74 Depth=3
	v_add_nc_u32_e32 v12, s22, v16
	v_add_nc_u32_e32 v10, s22, v14
	s_branch .LBB39_73
.LBB39_78:
	s_or_b32 exec_lo, exec_lo, s26
	v_cmp_eq_u32_e32 vcc_lo, 63, v0
                                        ; implicit-def: $vgpr0
                                        ; implicit-def: $vgpr2_vgpr3
	s_and_b32 s2, vcc_lo, exec_lo
	s_and_not1_saveexec_b32 s0, s23
	s_cbranch_execz .LBB39_2
.LBB39_79:
	s_mov_b32 s3, s2
	s_mov_b32 s1, exec_lo
	v_cmpx_eq_u32_e32 63, v0
	s_cbranch_execz .LBB39_85
; %bb.80:
	v_add_nc_u32_e32 v0, s7, v2
	s_mov_b32 s4, exec_lo
	s_brev_b32 s3, -2
.LBB39_81:                              ; =>This Inner Loop Header: Depth=1
	s_ctz_i32_b32 s5, s4
	s_delay_alu instid0(VALU_DEP_1) | instid1(SALU_CYCLE_1)
	v_readlane_b32 s6, v0, s5
	s_lshl_b32 s5, 1, s5
	s_delay_alu instid0(SALU_CYCLE_1) | instskip(NEXT) | instid1(VALU_DEP_1)
	s_and_not1_b32 s4, s4, s5
	s_min_i32 s3, s3, s6
	s_cmp_lg_u32 s4, 0
	s_cbranch_scc1 .LBB39_81
; %bb.82:
	v_mbcnt_lo_u32_b32 v0, exec_lo, 0
	s_mov_b32 s4, exec_lo
	s_delay_alu instid0(VALU_DEP_1)
	v_cmpx_eq_u32_e32 0, v0
	s_xor_b32 s4, exec_lo, s4
	s_cbranch_execz .LBB39_84
; %bb.83:
	v_dual_mov_b32 v0, 0 :: v_dual_mov_b32 v1, s3
	global_atomic_min_i32 v0, v1, s[14:15]
.LBB39_84:
	s_or_b32 exec_lo, exec_lo, s4
	s_delay_alu instid0(SALU_CYCLE_1)
	s_or_b32 s3, s2, exec_lo
.LBB39_85:
	s_or_b32 exec_lo, exec_lo, s1
	s_delay_alu instid0(SALU_CYCLE_1) | instskip(SKIP_1) | instid1(SALU_CYCLE_1)
	s_and_not1_b32 s1, s2, exec_lo
	s_and_b32 s2, s3, exec_lo
	s_or_b32 s2, s1, s2
	s_or_b32 exec_lo, exec_lo, s0
	s_and_saveexec_b32 s0, s2
	s_cbranch_execz .LBB39_3
.LBB39_86:
	v_lshlrev_b64 v[0:1], 2, s[12:13]
	v_mov_b32_e32 v2, 1
	s_delay_alu instid0(VALU_DEP_2) | instskip(NEXT) | instid1(VALU_DEP_3)
	v_add_co_u32 v0, vcc_lo, s10, v0
	v_add_co_ci_u32_e32 v1, vcc_lo, s11, v1, vcc_lo
	s_waitcnt_vscnt null, 0x0
	global_store_b32 v[0:1], v2, off
	s_nop 0
	s_sendmsg sendmsg(MSG_DEALLOC_VGPRS)
	s_endpgm
	.section	.rodata,"a",@progbits
	.p2align	6, 0x0
	.amdhsa_kernel _ZN9rocsparseL23bsric0_binsearch_kernelILj64ELj64ELb1E21rocsparse_complex_numIfEEEv20rocsparse_direction_iiPKiS5_PT2_S5_PiS5_S8_21rocsparse_index_base_
		.amdhsa_group_segment_fixed_size 0
		.amdhsa_private_segment_fixed_size 0
		.amdhsa_kernarg_size 76
		.amdhsa_user_sgpr_count 15
		.amdhsa_user_sgpr_dispatch_ptr 0
		.amdhsa_user_sgpr_queue_ptr 0
		.amdhsa_user_sgpr_kernarg_segment_ptr 1
		.amdhsa_user_sgpr_dispatch_id 0
		.amdhsa_user_sgpr_private_segment_size 0
		.amdhsa_wavefront_size32 1
		.amdhsa_uses_dynamic_stack 0
		.amdhsa_enable_private_segment 0
		.amdhsa_system_sgpr_workgroup_id_x 1
		.amdhsa_system_sgpr_workgroup_id_y 0
		.amdhsa_system_sgpr_workgroup_id_z 0
		.amdhsa_system_sgpr_workgroup_info 0
		.amdhsa_system_vgpr_workitem_id 0
		.amdhsa_next_free_vgpr 45
		.amdhsa_next_free_sgpr 40
		.amdhsa_reserve_vcc 1
		.amdhsa_float_round_mode_32 0
		.amdhsa_float_round_mode_16_64 0
		.amdhsa_float_denorm_mode_32 3
		.amdhsa_float_denorm_mode_16_64 3
		.amdhsa_dx10_clamp 1
		.amdhsa_ieee_mode 1
		.amdhsa_fp16_overflow 0
		.amdhsa_workgroup_processor_mode 1
		.amdhsa_memory_ordered 1
		.amdhsa_forward_progress 0
		.amdhsa_shared_vgpr_count 0
		.amdhsa_exception_fp_ieee_invalid_op 0
		.amdhsa_exception_fp_denorm_src 0
		.amdhsa_exception_fp_ieee_div_zero 0
		.amdhsa_exception_fp_ieee_overflow 0
		.amdhsa_exception_fp_ieee_underflow 0
		.amdhsa_exception_fp_ieee_inexact 0
		.amdhsa_exception_int_div_zero 0
	.end_amdhsa_kernel
	.section	.text._ZN9rocsparseL23bsric0_binsearch_kernelILj64ELj64ELb1E21rocsparse_complex_numIfEEEv20rocsparse_direction_iiPKiS5_PT2_S5_PiS5_S8_21rocsparse_index_base_,"axG",@progbits,_ZN9rocsparseL23bsric0_binsearch_kernelILj64ELj64ELb1E21rocsparse_complex_numIfEEEv20rocsparse_direction_iiPKiS5_PT2_S5_PiS5_S8_21rocsparse_index_base_,comdat
.Lfunc_end39:
	.size	_ZN9rocsparseL23bsric0_binsearch_kernelILj64ELj64ELb1E21rocsparse_complex_numIfEEEv20rocsparse_direction_iiPKiS5_PT2_S5_PiS5_S8_21rocsparse_index_base_, .Lfunc_end39-_ZN9rocsparseL23bsric0_binsearch_kernelILj64ELj64ELb1E21rocsparse_complex_numIfEEEv20rocsparse_direction_iiPKiS5_PT2_S5_PiS5_S8_21rocsparse_index_base_
                                        ; -- End function
	.section	.AMDGPU.csdata,"",@progbits
; Kernel info:
; codeLenInByte = 3960
; NumSgprs: 42
; NumVgprs: 45
; ScratchSize: 0
; MemoryBound: 0
; FloatMode: 240
; IeeeMode: 1
; LDSByteSize: 0 bytes/workgroup (compile time only)
; SGPRBlocks: 5
; VGPRBlocks: 5
; NumSGPRsForWavesPerEU: 42
; NumVGPRsForWavesPerEU: 45
; Occupancy: 16
; WaveLimiterHint : 1
; COMPUTE_PGM_RSRC2:SCRATCH_EN: 0
; COMPUTE_PGM_RSRC2:USER_SGPR: 15
; COMPUTE_PGM_RSRC2:TRAP_HANDLER: 0
; COMPUTE_PGM_RSRC2:TGID_X_EN: 1
; COMPUTE_PGM_RSRC2:TGID_Y_EN: 0
; COMPUTE_PGM_RSRC2:TGID_Z_EN: 0
; COMPUTE_PGM_RSRC2:TIDIG_COMP_CNT: 0
	.section	.text._ZN9rocsparseL26bsric0_2_8_unrolled_kernelILi1ELi32ELi1E21rocsparse_complex_numIfEEEv20rocsparse_direction_iiPKiS5_PT2_S5_PiS5_S8_21rocsparse_index_base_,"axG",@progbits,_ZN9rocsparseL26bsric0_2_8_unrolled_kernelILi1ELi32ELi1E21rocsparse_complex_numIfEEEv20rocsparse_direction_iiPKiS5_PT2_S5_PiS5_S8_21rocsparse_index_base_,comdat
	.globl	_ZN9rocsparseL26bsric0_2_8_unrolled_kernelILi1ELi32ELi1E21rocsparse_complex_numIfEEEv20rocsparse_direction_iiPKiS5_PT2_S5_PiS5_S8_21rocsparse_index_base_ ; -- Begin function _ZN9rocsparseL26bsric0_2_8_unrolled_kernelILi1ELi32ELi1E21rocsparse_complex_numIfEEEv20rocsparse_direction_iiPKiS5_PT2_S5_PiS5_S8_21rocsparse_index_base_
	.p2align	8
	.type	_ZN9rocsparseL26bsric0_2_8_unrolled_kernelILi1ELi32ELi1E21rocsparse_complex_numIfEEEv20rocsparse_direction_iiPKiS5_PT2_S5_PiS5_S8_21rocsparse_index_base_,@function
_ZN9rocsparseL26bsric0_2_8_unrolled_kernelILi1ELi32ELi1E21rocsparse_complex_numIfEEEv20rocsparse_direction_iiPKiS5_PT2_S5_PiS5_S8_21rocsparse_index_base_: ; @_ZN9rocsparseL26bsric0_2_8_unrolled_kernelILi1ELi32ELi1E21rocsparse_complex_numIfEEEv20rocsparse_direction_iiPKiS5_PT2_S5_PiS5_S8_21rocsparse_index_base_
; %bb.0:
	s_load_b256 s[4:11], s[0:1], 0x28
	s_mov_b32 s12, s15
	s_mov_b32 s13, 0
	s_delay_alu instid0(SALU_CYCLE_1)
	s_lshl_b64 s[2:3], s[12:13], 2
	s_waitcnt lgkmcnt(0)
	s_add_u32 s2, s8, s2
	s_addc_u32 s3, s9, s3
	s_load_b32 s8, s[2:3], 0x0
	s_waitcnt lgkmcnt(0)
	s_ashr_i32 s9, s8, 31
	s_delay_alu instid0(SALU_CYCLE_1) | instskip(NEXT) | instid1(SALU_CYCLE_1)
	s_lshl_b64 s[2:3], s[8:9], 2
	s_add_u32 s14, s4, s2
	s_addc_u32 s15, s5, s3
	s_load_b32 s16, s[14:15], 0x0
	s_load_b32 s9, s[0:1], 0x48
	s_waitcnt lgkmcnt(0)
	s_cmp_lg_u32 s16, -1
	s_cbranch_scc0 .LBB40_51
; %bb.1:
	s_clause 0x1
	s_load_b128 s[12:15], s[0:1], 0x10
	s_load_b64 s[18:19], s[0:1], 0x20
	s_waitcnt lgkmcnt(0)
	s_add_u32 s20, s12, s2
	s_addc_u32 s21, s13, s3
	s_load_b32 s17, s[20:21], 0x0
	s_waitcnt lgkmcnt(0)
	s_sub_i32 s20, s17, s9
	s_delay_alu instid0(SALU_CYCLE_1)
	s_cmp_gt_i32 s20, s16
	s_cbranch_scc1 .LBB40_4
; %bb.2:
	s_not_b32 s22, s9
	s_ashr_i32 s21, s20, 31
	s_add_i32 s17, s22, s17
	s_lshl_b64 s[22:23], s[20:21], 2
	s_movk_i32 s21, 0x100
	s_add_u32 s22, s14, s22
	s_addc_u32 s23, s15, s23
.LBB40_3:                               ; =>This Inner Loop Header: Depth=1
	s_load_b32 s24, s[22:23], 0x0
	s_add_i32 s17, s17, 1
	s_waitcnt lgkmcnt(0)
	s_sub_i32 s24, s24, s9
	s_delay_alu instid0(SALU_CYCLE_1)
	v_dual_mov_b32 v0, s21 :: v_dual_mov_b32 v1, s24
	s_add_i32 s21, s21, 4
	s_add_u32 s22, s22, 4
	s_addc_u32 s23, s23, 0
	s_cmp_ge_i32 s17, s16
	ds_store_b32 v0, v1
	s_cbranch_scc0 .LBB40_3
.LBB40_4:
	v_mov_b32_e32 v0, 0
	s_cmp_ge_i32 s20, s16
	s_delay_alu instid0(VALU_DEP_1)
	v_mov_b32_e32 v1, v0
	ds_store_b64 v0, v[0:1] offset:432
	s_waitcnt lgkmcnt(0)
	buffer_gl0_inv
	s_cbranch_scc1 .LBB40_47
; %bb.5:
	s_load_b32 s0, s[0:1], 0x0
	v_mov_b32_e32 v5, 0x1a0
	v_mov_b32_e32 v6, 0x190
	v_mov_b32_e32 v7, 0x180
	v_mov_b32_e32 v8, 0x1b0
	s_mov_b32 s22, s20
	s_waitcnt lgkmcnt(0)
	s_cmp_lg_u32 s0, 0
	s_cselect_b32 s0, -1, 0
	s_delay_alu instid0(SALU_CYCLE_1) | instskip(NEXT) | instid1(VALU_DEP_1)
	v_cndmask_b32_e64 v1, 0, 1, s0
	v_cmp_ne_u32_e64 s0, 1, v1
	s_branch .LBB40_9
.LBB40_6:                               ;   in Loop: Header=BB40_9 Depth=1
	v_cndmask_b32_e64 v3, 1.0, v3, s1
	v_cndmask_b32_e64 v4, 0, v4, s1
.LBB40_7:                               ;   in Loop: Header=BB40_9 Depth=1
	s_delay_alu instid0(VALU_DEP_1) | instskip(SKIP_2) | instid1(SALU_CYCLE_1)
	v_mul_f32_e32 v11, v4, v4
	ds_load_b64 v[9:10], v6
	s_add_i32 s22, s22, 1
	s_cmp_ge_i32 s22, s16
	v_fmac_f32_e32 v11, v3, v3
	s_cselect_b32 s1, -1, 0
	s_delay_alu instid0(VALU_DEP_1) | instskip(SKIP_1) | instid1(VALU_DEP_2)
	v_div_scale_f32 v12, null, v11, v11, 1.0
	v_div_scale_f32 v15, vcc_lo, 1.0, v11, 1.0
	v_rcp_f32_e32 v13, v12
	s_waitcnt lgkmcnt(0)
	v_dual_sub_f32 v2, v2, v10 :: v_dual_sub_f32 v1, v1, v9
	s_waitcnt_depctr 0xfff
	v_fma_f32 v14, -v12, v13, 1.0
	v_mul_f32_e32 v9, v4, v2
	v_mul_f32_e64 v4, v4, -v1
	s_delay_alu instid0(VALU_DEP_3) | instskip(NEXT) | instid1(VALU_DEP_2)
	v_fmac_f32_e32 v13, v14, v13
	v_fmac_f32_e32 v4, v2, v3
	s_delay_alu instid0(VALU_DEP_2) | instskip(NEXT) | instid1(VALU_DEP_1)
	v_mul_f32_e32 v14, v15, v13
	v_fma_f32 v16, -v12, v14, v15
	s_delay_alu instid0(VALU_DEP_1) | instskip(NEXT) | instid1(VALU_DEP_1)
	v_fmac_f32_e32 v14, v16, v13
	v_fma_f32 v10, -v12, v14, v15
	s_delay_alu instid0(VALU_DEP_1) | instskip(NEXT) | instid1(VALU_DEP_1)
	v_div_fmas_f32 v10, v10, v13, v14
	v_div_fixup_f32 v10, v10, v11, 1.0
	s_delay_alu instid0(VALU_DEP_1) | instskip(NEXT) | instid1(VALU_DEP_1)
	v_dual_fmac_f32 v9, v1, v3 :: v_dual_mul_f32 v2, v10, v4
	v_mul_f32_e32 v1, v10, v9
	ds_store_b64 v5, v[1:2]
	s_waitcnt lgkmcnt(0)
	s_waitcnt_vscnt null, 0x0
	buffer_gl0_inv
	ds_load_b64 v[3:4], v5
	ds_load_b64 v[9:10], v8
	s_waitcnt lgkmcnt(0)
	v_fma_f32 v9, v1, v3, v9
	v_fmac_f32_e32 v10, v2, v3
	s_delay_alu instid0(VALU_DEP_2) | instskip(NEXT) | instid1(VALU_DEP_2)
	v_fmac_f32_e32 v9, v2, v4
	v_fma_f32 v10, v1, -v4, v10
	ds_store_b64 v8, v[9:10]
	s_waitcnt lgkmcnt(0)
	buffer_gl0_inv
	ds_load_b64 v[1:2], v5
	s_waitcnt lgkmcnt(0)
	global_store_b64 v0, v[1:2], s[24:25]
	s_waitcnt_vscnt null, 0x0
	buffer_gl1_inv
	buffer_gl0_inv
.LBB40_8:                               ;   in Loop: Header=BB40_9 Depth=1
	s_and_b32 vcc_lo, exec_lo, s1
	s_cbranch_vccnz .LBB40_47
.LBB40_9:                               ; =>This Loop Header: Depth=1
                                        ;     Child Loop BB40_12 Depth 2
                                        ;     Child Loop BB40_23 Depth 2
                                        ;     Child Loop BB40_38 Depth 2
                                        ;     Child Loop BB40_42 Depth 2
                                        ;     Child Loop BB40_28 Depth 2
                                        ;     Child Loop BB40_34 Depth 2
	s_ashr_i32 s23, s22, 31
	s_mov_b32 s1, -1
	s_lshl_b64 s[24:25], s[22:23], 2
	s_delay_alu instid0(SALU_CYCLE_1) | instskip(SKIP_4) | instid1(SALU_CYCLE_1)
	s_add_u32 s24, s14, s24
	s_addc_u32 s25, s15, s25
	s_load_b32 s17, s[24:25], 0x0
	s_waitcnt lgkmcnt(0)
	s_sub_i32 s30, s17, s9
	s_ashr_i32 s31, s30, 31
	s_delay_alu instid0(SALU_CYCLE_1) | instskip(NEXT) | instid1(SALU_CYCLE_1)
	s_lshl_b64 s[28:29], s[30:31], 2
	s_add_u32 s24, s4, s28
	s_addc_u32 s25, s5, s29
	s_load_b32 s26, s[24:25], 0x0
	s_waitcnt lgkmcnt(0)
	s_cmp_eq_u32 s26, -1
	s_cbranch_scc1 .LBB40_8
; %bb.10:                               ;   in Loop: Header=BB40_9 Depth=1
	s_add_u32 s24, s12, s28
	s_addc_u32 s25, s13, s29
	s_mov_b32 s21, 0
	s_load_b32 s1, s[24:25], 0x0
	s_lshl_b64 s[24:25], s[22:23], 3
	ds_load_b32 v3, v0 offset:256
	s_waitcnt lgkmcnt(0)
	s_sub_i32 s34, s1, s9
	s_add_u32 s24, s18, s24
	s_addc_u32 s25, s19, s25
	s_cmp_le_i32 s34, s26
	global_load_b64 v[1:2], v0, s[24:25]
	s_cselect_b32 s1, -1, 0
	v_cmp_ge_i32_e32 vcc_lo, s30, v3
	s_and_b32 s1, s1, vcc_lo
	s_delay_alu instid0(SALU_CYCLE_1)
	s_and_not1_b32 vcc_lo, exec_lo, s1
	s_waitcnt vmcnt(0)
	ds_store_b64 v5, v[1:2]
	s_cbranch_vccnz .LBB40_22
; %bb.11:                               ;   in Loop: Header=BB40_9 Depth=1
	s_mov_b32 s1, 0
	s_mov_b32 s23, 0
.LBB40_12:                              ;   Parent Loop BB40_9 Depth=1
                                        ; =>  This Inner Loop Header: Depth=2
	s_ashr_i32 s35, s34, 31
                                        ; implicit-def: $sgpr33
                                        ; implicit-def: $sgpr31
	s_delay_alu instid0(SALU_CYCLE_1) | instskip(SKIP_4) | instid1(SALU_CYCLE_1)
	s_lshl_b64 s[36:37], s[34:35], 2
	s_mov_b32 s35, -1
	s_add_u32 s36, s14, s36
	s_addc_u32 s37, s15, s37
	s_lshl_b32 s21, s23, 2
	v_mov_b32_e32 v1, s21
	s_load_b32 s21, s[36:37], 0x0
	ds_load_b32 v1, v1 offset:256
	s_waitcnt lgkmcnt(0)
	s_sub_i32 s36, s21, s9
                                        ; implicit-def: $sgpr21
	s_delay_alu instid0(SALU_CYCLE_1)
	v_cmp_ge_i32_e32 vcc_lo, s36, v1
	v_readfirstlane_b32 s27, v1
	s_cbranch_vccz .LBB40_18
; %bb.13:                               ;   in Loop: Header=BB40_12 Depth=2
	s_delay_alu instid0(VALU_DEP_1)
	s_cmp_le_i32 s36, s27
                                        ; implicit-def: $sgpr21
                                        ; implicit-def: $sgpr33
                                        ; implicit-def: $sgpr31
	s_cbranch_scc0 .LBB40_15
; %bb.14:                               ;   in Loop: Header=BB40_12 Depth=2
	s_lshl_b32 s21, s1, 2
	s_add_i32 s31, s23, s20
	s_delay_alu instid0(SALU_CYCLE_1)
	v_dual_mov_b32 v1, s21 :: v_dual_mov_b32 v2, s31
	v_mov_b32_e32 v3, s34
	s_add_i32 s31, s23, 1
	s_add_i32 s33, s34, 1
	;; [unrolled: 1-line block ×3, first 2 shown]
	s_mov_b32 s35, 0
	ds_store_2addr_b32 v1, v3, v2 offset1:32
.LBB40_15:                              ;   in Loop: Header=BB40_12 Depth=2
	s_and_not1_b32 vcc_lo, exec_lo, s35
	s_cbranch_vccnz .LBB40_17
; %bb.16:                               ;   in Loop: Header=BB40_12 Depth=2
	s_add_i32 s31, s23, 1
	s_mov_b32 s21, s1
	s_mov_b32 s33, s34
.LBB40_17:                              ;   in Loop: Header=BB40_12 Depth=2
	s_mov_b32 s35, 0
.LBB40_18:                              ;   in Loop: Header=BB40_12 Depth=2
	s_delay_alu instid0(SALU_CYCLE_1)
	s_and_not1_b32 vcc_lo, exec_lo, s35
	s_cbranch_vccnz .LBB40_20
; %bb.19:                               ;   in Loop: Header=BB40_12 Depth=2
	s_add_i32 s33, s34, 1
	s_mov_b32 s31, s23
	s_mov_b32 s21, s1
.LBB40_20:                              ;   in Loop: Header=BB40_12 Depth=2
	s_cmp_le_i32 s33, s26
	s_cselect_b32 s1, -1, 0
	s_cmp_le_i32 s27, s30
	s_cselect_b32 s23, -1, 0
	s_delay_alu instid0(SALU_CYCLE_1) | instskip(NEXT) | instid1(SALU_CYCLE_1)
	s_and_b32 s1, s1, s23
	s_and_b32 vcc_lo, exec_lo, s1
	s_cbranch_vccz .LBB40_22
; %bb.21:                               ;   in Loop: Header=BB40_12 Depth=2
	s_mov_b32 s1, s21
	s_mov_b32 s34, s33
	;; [unrolled: 1-line block ×3, first 2 shown]
	s_branch .LBB40_12
.LBB40_22:                              ;   in Loop: Header=BB40_9 Depth=1
	s_add_u32 s28, s6, s28
	s_addc_u32 s29, s7, s29
	s_waitcnt lgkmcnt(0)
	buffer_gl0_inv
.LBB40_23:                              ;   Parent Loop BB40_9 Depth=1
                                        ; =>  This Inner Loop Header: Depth=2
	global_load_b32 v1, v0, s[28:29] glc
	s_waitcnt vmcnt(0)
	v_cmp_eq_u32_e32 vcc_lo, 0, v1
	s_cbranch_vccnz .LBB40_23
; %bb.24:                               ;   in Loop: Header=BB40_9 Depth=1
	s_ashr_i32 s27, s26, 31
	buffer_gl1_inv
	buffer_gl0_inv
	s_lshl_b64 s[26:27], s[26:27], 3
	s_delay_alu instid0(SALU_CYCLE_1)
	s_add_u32 s26, s18, s26
	s_addc_u32 s27, s19, s27
	s_cmp_lt_i32 s21, 2
	global_load_b64 v[1:2], v0, s[26:27]
	s_waitcnt vmcnt(0)
	ds_store_b64 v7, v[1:2]
	s_waitcnt lgkmcnt(0)
	buffer_gl0_inv
	s_cbranch_scc1 .LBB40_30
; %bb.25:                               ;   in Loop: Header=BB40_9 Depth=1
	s_and_b32 vcc_lo, exec_lo, s0
	s_add_i32 s1, s21, -1
	s_cbranch_vccnz .LBB40_31
; %bb.26:                               ;   in Loop: Header=BB40_9 Depth=1
	s_add_i32 s23, s21, -2
	s_delay_alu instid0(SALU_CYCLE_1)
	s_cmp_lt_u32 s23, 3
	s_cbranch_scc1 .LBB40_32
; %bb.27:                               ;   in Loop: Header=BB40_9 Depth=1
	v_dual_mov_b32 v2, 0 :: v_dual_mov_b32 v1, 0
	s_and_b32 s23, s1, -4
	s_mov_b32 s26, 0
	s_mov_b32 s27, 0
.LBB40_28:                              ;   Parent Loop BB40_9 Depth=1
                                        ; =>  This Inner Loop Header: Depth=2
	v_mov_b32_e32 v3, s26
	s_add_i32 s27, s27, 4
	s_add_i32 s26, s26, 16
	s_cmp_eq_u32 s23, s27
	ds_load_b128 v[9:12], v3
	ds_load_b128 v[13:16], v3 offset:128
	s_waitcnt lgkmcnt(1)
	v_ashrrev_i32_e32 v4, 31, v9
	v_mov_b32_e32 v3, v9
	s_waitcnt lgkmcnt(0)
	v_ashrrev_i32_e32 v18, 31, v13
	v_mov_b32_e32 v17, v13
	v_ashrrev_i32_e32 v20, 31, v10
	v_mov_b32_e32 v19, v10
	v_lshlrev_b64 v[3:4], 3, v[3:4]
	v_ashrrev_i32_e32 v10, 31, v14
	v_mov_b32_e32 v9, v14
	v_ashrrev_i32_e32 v14, 31, v11
	v_mov_b32_e32 v13, v11
	;; [unrolled: 2-line block ×5, first 2 shown]
	v_lshlrev_b64 v[15:16], 3, v[17:18]
	v_add_co_u32 v3, vcc_lo, s18, v3
	v_add_co_ci_u32_e32 v4, vcc_lo, s19, v4, vcc_lo
	v_lshlrev_b64 v[17:18], 3, v[19:20]
	s_delay_alu instid0(VALU_DEP_4)
	v_add_co_u32 v15, vcc_lo, s18, v15
	v_add_co_ci_u32_e32 v16, vcc_lo, s19, v16, vcc_lo
	v_lshlrev_b64 v[9:10], 3, v[9:10]
	s_clause 0x1
	global_load_b64 v[3:4], v[3:4], off
	global_load_b64 v[15:16], v[15:16], off
	v_add_co_u32 v17, vcc_lo, s18, v17
	v_add_co_ci_u32_e32 v18, vcc_lo, s19, v18, vcc_lo
	v_add_co_u32 v9, vcc_lo, s18, v9
	v_lshlrev_b64 v[13:14], 3, v[13:14]
	v_add_co_ci_u32_e32 v10, vcc_lo, s19, v10, vcc_lo
	v_lshlrev_b64 v[19:20], 3, v[21:22]
	s_clause 0x1
	global_load_b64 v[17:18], v[17:18], off
	global_load_b64 v[9:10], v[9:10], off
	v_add_co_u32 v13, vcc_lo, s18, v13
	v_add_co_ci_u32_e32 v14, vcc_lo, s19, v14, vcc_lo
	v_add_co_u32 v19, vcc_lo, s18, v19
	v_lshlrev_b64 v[21:22], 3, v[23:24]
	v_add_co_ci_u32_e32 v20, vcc_lo, s19, v20, vcc_lo
	v_lshlrev_b64 v[11:12], 3, v[11:12]
	s_clause 0x1
	global_load_b64 v[13:14], v[13:14], off
	global_load_b64 v[19:20], v[19:20], off
	v_add_co_u32 v21, vcc_lo, s18, v21
	v_add_co_ci_u32_e32 v22, vcc_lo, s19, v22, vcc_lo
	v_add_co_u32 v11, vcc_lo, s18, v11
	v_add_co_ci_u32_e32 v12, vcc_lo, s19, v12, vcc_lo
	s_clause 0x1
	global_load_b64 v[21:22], v[21:22], off
	global_load_b64 v[11:12], v[11:12], off
	s_waitcnt vmcnt(6)
	v_fmac_f32_e32 v1, v3, v15
	v_fmac_f32_e32 v2, v4, v15
	s_delay_alu instid0(VALU_DEP_2) | instskip(NEXT) | instid1(VALU_DEP_2)
	v_fmac_f32_e32 v1, v4, v16
	v_fma_f32 v2, v3, -v16, v2
	s_waitcnt vmcnt(4)
	s_delay_alu instid0(VALU_DEP_2) | instskip(NEXT) | instid1(VALU_DEP_2)
	v_fmac_f32_e32 v1, v17, v9
	v_fmac_f32_e32 v2, v18, v9
	s_delay_alu instid0(VALU_DEP_2) | instskip(NEXT) | instid1(VALU_DEP_2)
	v_fmac_f32_e32 v1, v18, v10
	v_fma_f32 v2, v17, -v10, v2
	s_waitcnt vmcnt(2)
	s_delay_alu instid0(VALU_DEP_2) | instskip(NEXT) | instid1(VALU_DEP_2)
	v_fmac_f32_e32 v1, v13, v19
	v_fmac_f32_e32 v2, v14, v19
	s_delay_alu instid0(VALU_DEP_2) | instskip(NEXT) | instid1(VALU_DEP_2)
	v_fmac_f32_e32 v1, v14, v20
	v_fma_f32 v2, v13, -v20, v2
	s_waitcnt vmcnt(0)
	s_delay_alu instid0(VALU_DEP_1) | instskip(NEXT) | instid1(VALU_DEP_3)
	v_fmac_f32_e32 v2, v22, v11
	v_fmac_f32_e32 v1, v21, v11
	s_delay_alu instid0(VALU_DEP_2) | instskip(NEXT) | instid1(VALU_DEP_2)
	v_fma_f32 v2, v21, -v12, v2
	v_fmac_f32_e32 v1, v22, v12
	s_cbranch_scc0 .LBB40_28
; %bb.29:                               ;   in Loop: Header=BB40_9 Depth=1
	s_and_b32 s26, s1, 3
	s_delay_alu instid0(SALU_CYCLE_1)
	s_cmp_eq_u32 s26, 0
	s_cbranch_scc0 .LBB40_33
	s_branch .LBB40_35
.LBB40_30:                              ;   in Loop: Header=BB40_9 Depth=1
	v_mov_b32_e32 v1, 0
	s_delay_alu instid0(VALU_DEP_1)
	v_mov_b32_e32 v2, v1
	s_branch .LBB40_43
.LBB40_31:                              ;   in Loop: Header=BB40_9 Depth=1
                                        ; implicit-def: $vgpr2
	s_cbranch_execnz .LBB40_36
	s_branch .LBB40_43
.LBB40_32:                              ;   in Loop: Header=BB40_9 Depth=1
	v_mov_b32_e32 v1, 0
	s_mov_b32 s23, 0
	s_delay_alu instid0(VALU_DEP_1) | instskip(SKIP_1) | instid1(SALU_CYCLE_1)
	v_mov_b32_e32 v2, v1
	s_and_b32 s26, s1, 3
	s_cmp_eq_u32 s26, 0
	s_cbranch_scc1 .LBB40_35
.LBB40_33:                              ;   in Loop: Header=BB40_9 Depth=1
	s_lshl_b32 s23, s23, 2
	.p2align	6
.LBB40_34:                              ;   Parent Loop BB40_9 Depth=1
                                        ; =>  This Inner Loop Header: Depth=2
	s_delay_alu instid0(SALU_CYCLE_1)
	v_mov_b32_e32 v3, s23
	s_add_i32 s26, s26, -1
	s_add_i32 s23, s23, 4
	s_cmp_lg_u32 s26, 0
	ds_load_2addr_b32 v[3:4], v3 offset1:32
	s_waitcnt lgkmcnt(0)
	v_ashrrev_i32_e32 v10, 31, v3
	v_mov_b32_e32 v9, v3
	v_ashrrev_i32_e32 v12, 31, v4
	v_mov_b32_e32 v11, v4
	s_delay_alu instid0(VALU_DEP_3) | instskip(NEXT) | instid1(VALU_DEP_2)
	v_lshlrev_b64 v[3:4], 3, v[9:10]
	v_lshlrev_b64 v[9:10], 3, v[11:12]
	s_delay_alu instid0(VALU_DEP_2) | instskip(NEXT) | instid1(VALU_DEP_3)
	v_add_co_u32 v3, vcc_lo, s18, v3
	v_add_co_ci_u32_e32 v4, vcc_lo, s19, v4, vcc_lo
	s_delay_alu instid0(VALU_DEP_3) | instskip(NEXT) | instid1(VALU_DEP_4)
	v_add_co_u32 v9, vcc_lo, s18, v9
	v_add_co_ci_u32_e32 v10, vcc_lo, s19, v10, vcc_lo
	s_clause 0x1
	global_load_b64 v[3:4], v[3:4], off
	global_load_b64 v[9:10], v[9:10], off
	s_waitcnt vmcnt(0)
	v_fmac_f32_e32 v2, v4, v9
	v_fmac_f32_e32 v1, v3, v9
	s_delay_alu instid0(VALU_DEP_2) | instskip(NEXT) | instid1(VALU_DEP_2)
	v_fma_f32 v2, v3, -v10, v2
	v_fmac_f32_e32 v1, v4, v10
	s_cbranch_scc1 .LBB40_34
.LBB40_35:                              ;   in Loop: Header=BB40_9 Depth=1
	s_branch .LBB40_43
.LBB40_36:                              ;   in Loop: Header=BB40_9 Depth=1
	s_add_i32 s21, s21, -2
	s_delay_alu instid0(SALU_CYCLE_1)
	s_cmp_lt_u32 s21, 3
	s_cbranch_scc1 .LBB40_40
; %bb.37:                               ;   in Loop: Header=BB40_9 Depth=1
	v_dual_mov_b32 v2, 0 :: v_dual_mov_b32 v1, 0
	s_and_b32 s21, s1, -4
	s_mov_b32 s23, 0
	s_mov_b32 s26, 0
.LBB40_38:                              ;   Parent Loop BB40_9 Depth=1
                                        ; =>  This Inner Loop Header: Depth=2
	v_mov_b32_e32 v3, s23
	s_add_i32 s26, s26, 4
	s_add_i32 s23, s23, 16
	s_cmp_lg_u32 s21, s26
	ds_load_b128 v[9:12], v3
	ds_load_b128 v[13:16], v3 offset:128
	s_waitcnt lgkmcnt(1)
	v_ashrrev_i32_e32 v4, 31, v9
	v_mov_b32_e32 v3, v9
	s_waitcnt lgkmcnt(0)
	v_ashrrev_i32_e32 v18, 31, v13
	v_mov_b32_e32 v17, v13
	v_ashrrev_i32_e32 v20, 31, v10
	v_mov_b32_e32 v19, v10
	v_lshlrev_b64 v[3:4], 3, v[3:4]
	v_ashrrev_i32_e32 v10, 31, v14
	v_mov_b32_e32 v9, v14
	v_ashrrev_i32_e32 v14, 31, v11
	v_mov_b32_e32 v13, v11
	v_ashrrev_i32_e32 v22, 31, v15
	v_mov_b32_e32 v21, v15
	v_ashrrev_i32_e32 v24, 31, v12
	v_mov_b32_e32 v23, v12
	v_ashrrev_i32_e32 v12, 31, v16
	v_mov_b32_e32 v11, v16
	v_lshlrev_b64 v[15:16], 3, v[17:18]
	v_add_co_u32 v3, vcc_lo, s18, v3
	v_add_co_ci_u32_e32 v4, vcc_lo, s19, v4, vcc_lo
	v_lshlrev_b64 v[17:18], 3, v[19:20]
	s_delay_alu instid0(VALU_DEP_4)
	v_add_co_u32 v15, vcc_lo, s18, v15
	v_add_co_ci_u32_e32 v16, vcc_lo, s19, v16, vcc_lo
	v_lshlrev_b64 v[9:10], 3, v[9:10]
	s_clause 0x1
	global_load_b64 v[3:4], v[3:4], off
	global_load_b64 v[15:16], v[15:16], off
	v_add_co_u32 v17, vcc_lo, s18, v17
	v_add_co_ci_u32_e32 v18, vcc_lo, s19, v18, vcc_lo
	v_add_co_u32 v9, vcc_lo, s18, v9
	v_lshlrev_b64 v[13:14], 3, v[13:14]
	v_add_co_ci_u32_e32 v10, vcc_lo, s19, v10, vcc_lo
	v_lshlrev_b64 v[19:20], 3, v[21:22]
	s_clause 0x1
	global_load_b64 v[17:18], v[17:18], off
	global_load_b64 v[9:10], v[9:10], off
	v_add_co_u32 v13, vcc_lo, s18, v13
	v_add_co_ci_u32_e32 v14, vcc_lo, s19, v14, vcc_lo
	v_add_co_u32 v19, vcc_lo, s18, v19
	v_lshlrev_b64 v[21:22], 3, v[23:24]
	v_add_co_ci_u32_e32 v20, vcc_lo, s19, v20, vcc_lo
	v_lshlrev_b64 v[11:12], 3, v[11:12]
	s_clause 0x1
	global_load_b64 v[13:14], v[13:14], off
	global_load_b64 v[19:20], v[19:20], off
	v_add_co_u32 v21, vcc_lo, s18, v21
	v_add_co_ci_u32_e32 v22, vcc_lo, s19, v22, vcc_lo
	v_add_co_u32 v11, vcc_lo, s18, v11
	v_add_co_ci_u32_e32 v12, vcc_lo, s19, v12, vcc_lo
	s_clause 0x1
	global_load_b64 v[21:22], v[21:22], off
	global_load_b64 v[11:12], v[11:12], off
	s_waitcnt vmcnt(6)
	v_fmac_f32_e32 v1, v3, v15
	v_fmac_f32_e32 v2, v4, v15
	s_delay_alu instid0(VALU_DEP_2) | instskip(NEXT) | instid1(VALU_DEP_2)
	v_fmac_f32_e32 v1, v4, v16
	v_fma_f32 v2, v3, -v16, v2
	s_waitcnt vmcnt(4)
	s_delay_alu instid0(VALU_DEP_2) | instskip(NEXT) | instid1(VALU_DEP_2)
	v_fmac_f32_e32 v1, v17, v9
	v_fmac_f32_e32 v2, v18, v9
	s_delay_alu instid0(VALU_DEP_2) | instskip(NEXT) | instid1(VALU_DEP_2)
	v_fmac_f32_e32 v1, v18, v10
	v_fma_f32 v2, v17, -v10, v2
	s_waitcnt vmcnt(2)
	s_delay_alu instid0(VALU_DEP_2) | instskip(NEXT) | instid1(VALU_DEP_2)
	v_fmac_f32_e32 v1, v13, v19
	v_fmac_f32_e32 v2, v14, v19
	s_delay_alu instid0(VALU_DEP_2) | instskip(NEXT) | instid1(VALU_DEP_2)
	v_fmac_f32_e32 v1, v14, v20
	v_fma_f32 v2, v13, -v20, v2
	s_waitcnt vmcnt(0)
	s_delay_alu instid0(VALU_DEP_1) | instskip(NEXT) | instid1(VALU_DEP_3)
	v_fmac_f32_e32 v2, v22, v11
	v_fmac_f32_e32 v1, v21, v11
	s_delay_alu instid0(VALU_DEP_2) | instskip(NEXT) | instid1(VALU_DEP_2)
	v_fma_f32 v2, v21, -v12, v2
	v_fmac_f32_e32 v1, v22, v12
	s_cbranch_scc1 .LBB40_38
; %bb.39:                               ;   in Loop: Header=BB40_9 Depth=1
	s_and_b32 s1, s1, 3
	s_delay_alu instid0(SALU_CYCLE_1)
	s_cmp_eq_u32 s1, 0
	s_cbranch_scc0 .LBB40_41
	s_branch .LBB40_43
.LBB40_40:                              ;   in Loop: Header=BB40_9 Depth=1
	v_mov_b32_e32 v1, 0
	s_mov_b32 s21, 0
	s_delay_alu instid0(VALU_DEP_1) | instskip(SKIP_1) | instid1(SALU_CYCLE_1)
	v_mov_b32_e32 v2, v1
	s_and_b32 s1, s1, 3
	s_cmp_eq_u32 s1, 0
	s_cbranch_scc1 .LBB40_43
.LBB40_41:                              ;   in Loop: Header=BB40_9 Depth=1
	s_lshl_b32 s21, s21, 2
	.p2align	6
.LBB40_42:                              ;   Parent Loop BB40_9 Depth=1
                                        ; =>  This Inner Loop Header: Depth=2
	s_delay_alu instid0(SALU_CYCLE_1)
	v_mov_b32_e32 v3, s21
	s_add_i32 s1, s1, -1
	s_add_i32 s21, s21, 4
	s_cmp_eq_u32 s1, 0
	ds_load_2addr_b32 v[3:4], v3 offset1:32
	s_waitcnt lgkmcnt(0)
	v_ashrrev_i32_e32 v10, 31, v3
	v_mov_b32_e32 v9, v3
	v_ashrrev_i32_e32 v12, 31, v4
	v_mov_b32_e32 v11, v4
	s_delay_alu instid0(VALU_DEP_3) | instskip(NEXT) | instid1(VALU_DEP_2)
	v_lshlrev_b64 v[3:4], 3, v[9:10]
	v_lshlrev_b64 v[9:10], 3, v[11:12]
	s_delay_alu instid0(VALU_DEP_2) | instskip(NEXT) | instid1(VALU_DEP_3)
	v_add_co_u32 v3, vcc_lo, s18, v3
	v_add_co_ci_u32_e32 v4, vcc_lo, s19, v4, vcc_lo
	s_delay_alu instid0(VALU_DEP_3) | instskip(NEXT) | instid1(VALU_DEP_4)
	v_add_co_u32 v9, vcc_lo, s18, v9
	v_add_co_ci_u32_e32 v10, vcc_lo, s19, v10, vcc_lo
	s_clause 0x1
	global_load_b64 v[3:4], v[3:4], off
	global_load_b64 v[9:10], v[9:10], off
	s_waitcnt vmcnt(0)
	v_fmac_f32_e32 v2, v4, v9
	v_fmac_f32_e32 v1, v3, v9
	s_delay_alu instid0(VALU_DEP_2) | instskip(NEXT) | instid1(VALU_DEP_2)
	v_fma_f32 v2, v3, -v10, v2
	v_fmac_f32_e32 v1, v4, v10
	s_cbranch_scc0 .LBB40_42
.LBB40_43:                              ;   in Loop: Header=BB40_9 Depth=1
	ds_store_b64 v6, v[1:2]
	s_waitcnt lgkmcnt(0)
	buffer_gl0_inv
	ds_load_b64 v[3:4], v0 offset:384
	ds_load_b64 v[1:2], v5
	s_waitcnt lgkmcnt(1)
	v_cmp_neq_f32_e32 vcc_lo, 0, v3
	v_cmp_neq_f32_e64 s1, 0, v4
	s_delay_alu instid0(VALU_DEP_1) | instskip(NEXT) | instid1(SALU_CYCLE_1)
	s_or_b32 s1, vcc_lo, s1
	s_and_not1_b32 vcc_lo, exec_lo, s1
	s_cbranch_vccz .LBB40_6
; %bb.44:                               ;   in Loop: Header=BB40_9 Depth=1
	v_mbcnt_lo_u32_b32 v3, exec_lo, 0
	s_delay_alu instid0(VALU_DEP_1)
	v_cmp_ne_u32_e32 vcc_lo, 0, v3
	s_and_b32 s1, vcc_lo, exec_lo
	s_cbranch_scc1 .LBB40_46
; %bb.45:                               ;   in Loop: Header=BB40_9 Depth=1
	v_mov_b32_e32 v3, s17
	global_atomic_min_i32 v0, v3, s[10:11]
.LBB40_46:                              ;   in Loop: Header=BB40_9 Depth=1
	v_dual_mov_b32 v4, 0 :: v_dual_mov_b32 v3, 1.0
	s_branch .LBB40_7
.LBB40_47:
	s_ashr_i32 s17, s16, 31
	s_mov_b32 vcc_lo, 0
	s_lshl_b64 s[0:1], s[16:17], 3
	s_delay_alu instid0(SALU_CYCLE_1)
	s_add_u32 s4, s18, s0
	s_addc_u32 s5, s19, s1
	global_load_b64 v[1:2], v0, s[4:5]
	s_waitcnt vmcnt(0)
	ds_store_b64 v0, v[1:2] offset:416
	s_waitcnt lgkmcnt(0)
	buffer_gl0_inv
	s_cbranch_vccnz .LBB40_55
; %bb.48:
	v_mov_b32_e32 v0, 0
	ds_load_2addr_b64 v[0:3], v0 offset0:52 offset1:54
	s_waitcnt lgkmcnt(0)
	v_sub_f32_e32 v0, v0, v2
	v_sub_f32_e32 v2, v1, v3
	s_delay_alu instid0(VALU_DEP_2) | instskip(SKIP_1) | instid1(VALU_DEP_3)
	v_cmp_gt_f32_e32 vcc_lo, 0, v0
	v_cndmask_b32_e64 v0, v0, -v0, vcc_lo
	v_cmp_gt_f32_e32 vcc_lo, 0, v2
	v_cndmask_b32_e64 v1, v2, -v2, vcc_lo
	s_delay_alu instid0(VALU_DEP_1)
	v_cmp_ngt_f32_e32 vcc_lo, v0, v1
	s_cbranch_vccz .LBB40_52
; %bb.49:
	v_cmp_eq_f32_e32 vcc_lo, 0, v2
	s_cbranch_vccnz .LBB40_70
; %bb.50:
	v_div_scale_f32 v2, null, v1, v1, v0
	v_div_scale_f32 v5, vcc_lo, v0, v1, v0
	s_delay_alu instid0(VALU_DEP_2) | instskip(SKIP_2) | instid1(VALU_DEP_1)
	v_rcp_f32_e32 v3, v2
	s_waitcnt_depctr 0xfff
	v_fma_f32 v4, -v2, v3, 1.0
	v_fmac_f32_e32 v3, v4, v3
	s_delay_alu instid0(VALU_DEP_1) | instskip(NEXT) | instid1(VALU_DEP_1)
	v_mul_f32_e32 v4, v5, v3
	v_fma_f32 v6, -v2, v4, v5
	s_delay_alu instid0(VALU_DEP_1) | instskip(NEXT) | instid1(VALU_DEP_1)
	v_fmac_f32_e32 v4, v6, v3
	v_fma_f32 v2, -v2, v4, v5
	s_delay_alu instid0(VALU_DEP_1) | instskip(NEXT) | instid1(VALU_DEP_1)
	v_div_fmas_f32 v2, v2, v3, v4
	v_div_fixup_f32 v2, v2, v1, v0
	s_delay_alu instid0(VALU_DEP_1) | instskip(NEXT) | instid1(VALU_DEP_1)
	v_fma_f32 v2, v2, v2, 1.0
	v_mul_f32_e32 v3, 0x4f800000, v2
	v_cmp_gt_f32_e32 vcc_lo, 0xf800000, v2
	s_delay_alu instid0(VALU_DEP_2) | instskip(NEXT) | instid1(VALU_DEP_1)
	v_cndmask_b32_e32 v2, v2, v3, vcc_lo
	v_sqrt_f32_e32 v3, v2
	s_waitcnt_depctr 0xfff
	v_add_nc_u32_e32 v4, -1, v3
	v_add_nc_u32_e32 v5, 1, v3
	s_delay_alu instid0(VALU_DEP_2) | instskip(NEXT) | instid1(VALU_DEP_2)
	v_fma_f32 v6, -v4, v3, v2
	v_fma_f32 v7, -v5, v3, v2
	s_delay_alu instid0(VALU_DEP_2) | instskip(NEXT) | instid1(VALU_DEP_1)
	v_cmp_ge_f32_e64 s0, 0, v6
	v_cndmask_b32_e64 v3, v3, v4, s0
	s_delay_alu instid0(VALU_DEP_3) | instskip(NEXT) | instid1(VALU_DEP_1)
	v_cmp_lt_f32_e64 s0, 0, v7
	v_cndmask_b32_e64 v3, v3, v5, s0
	s_delay_alu instid0(VALU_DEP_1) | instskip(NEXT) | instid1(VALU_DEP_1)
	v_mul_f32_e32 v4, 0x37800000, v3
	v_cndmask_b32_e32 v3, v3, v4, vcc_lo
	v_cmp_class_f32_e64 vcc_lo, v2, 0x260
	s_delay_alu instid0(VALU_DEP_2) | instskip(NEXT) | instid1(VALU_DEP_1)
	v_cndmask_b32_e32 v2, v3, v2, vcc_lo
	v_mul_f32_e32 v2, v1, v2
	s_cbranch_execz .LBB40_53
	s_branch .LBB40_54
.LBB40_51:
	s_cbranch_execnz .LBB40_63
	s_branch .LBB40_64
.LBB40_52:
                                        ; implicit-def: $vgpr2
.LBB40_53:
	v_div_scale_f32 v2, null, v0, v0, v1
	v_div_scale_f32 v5, vcc_lo, v1, v0, v1
	s_delay_alu instid0(VALU_DEP_2) | instskip(SKIP_2) | instid1(VALU_DEP_1)
	v_rcp_f32_e32 v3, v2
	s_waitcnt_depctr 0xfff
	v_fma_f32 v4, -v2, v3, 1.0
	v_fmac_f32_e32 v3, v4, v3
	s_delay_alu instid0(VALU_DEP_1) | instskip(NEXT) | instid1(VALU_DEP_1)
	v_mul_f32_e32 v4, v5, v3
	v_fma_f32 v6, -v2, v4, v5
	s_delay_alu instid0(VALU_DEP_1) | instskip(NEXT) | instid1(VALU_DEP_1)
	v_fmac_f32_e32 v4, v6, v3
	v_fma_f32 v2, -v2, v4, v5
	s_delay_alu instid0(VALU_DEP_1) | instskip(NEXT) | instid1(VALU_DEP_1)
	v_div_fmas_f32 v2, v2, v3, v4
	v_div_fixup_f32 v1, v2, v0, v1
	s_delay_alu instid0(VALU_DEP_1) | instskip(NEXT) | instid1(VALU_DEP_1)
	v_fma_f32 v1, v1, v1, 1.0
	v_mul_f32_e32 v2, 0x4f800000, v1
	v_cmp_gt_f32_e32 vcc_lo, 0xf800000, v1
	s_delay_alu instid0(VALU_DEP_2) | instskip(NEXT) | instid1(VALU_DEP_1)
	v_cndmask_b32_e32 v1, v1, v2, vcc_lo
	v_sqrt_f32_e32 v2, v1
	s_waitcnt_depctr 0xfff
	v_add_nc_u32_e32 v3, -1, v2
	v_add_nc_u32_e32 v4, 1, v2
	s_delay_alu instid0(VALU_DEP_2) | instskip(NEXT) | instid1(VALU_DEP_2)
	v_fma_f32 v5, -v3, v2, v1
	v_fma_f32 v6, -v4, v2, v1
	s_delay_alu instid0(VALU_DEP_2) | instskip(NEXT) | instid1(VALU_DEP_1)
	v_cmp_ge_f32_e64 s0, 0, v5
	v_cndmask_b32_e64 v2, v2, v3, s0
	s_delay_alu instid0(VALU_DEP_3) | instskip(NEXT) | instid1(VALU_DEP_1)
	v_cmp_lt_f32_e64 s0, 0, v6
	v_cndmask_b32_e64 v2, v2, v4, s0
	s_delay_alu instid0(VALU_DEP_1) | instskip(NEXT) | instid1(VALU_DEP_1)
	v_mul_f32_e32 v3, 0x37800000, v2
	v_cndmask_b32_e32 v2, v2, v3, vcc_lo
	v_cmp_class_f32_e64 vcc_lo, v1, 0x260
	s_delay_alu instid0(VALU_DEP_2) | instskip(NEXT) | instid1(VALU_DEP_1)
	v_cndmask_b32_e32 v1, v2, v1, vcc_lo
	v_mul_f32_e32 v2, v0, v1
.LBB40_54:
	s_delay_alu instid0(VALU_DEP_1) | instskip(SKIP_1) | instid1(VALU_DEP_2)
	v_mul_f32_e32 v0, 0x4f800000, v2
	v_cmp_gt_f32_e32 vcc_lo, 0xf800000, v2
	v_cndmask_b32_e32 v0, v2, v0, vcc_lo
	s_delay_alu instid0(VALU_DEP_1) | instskip(SKIP_3) | instid1(VALU_DEP_2)
	v_sqrt_f32_e32 v1, v0
	s_waitcnt_depctr 0xfff
	v_add_nc_u32_e32 v2, -1, v1
	v_add_nc_u32_e32 v3, 1, v1
	v_fma_f32 v4, -v2, v1, v0
	s_delay_alu instid0(VALU_DEP_2) | instskip(NEXT) | instid1(VALU_DEP_2)
	v_fma_f32 v5, -v3, v1, v0
	v_cmp_ge_f32_e64 s0, 0, v4
	s_delay_alu instid0(VALU_DEP_1) | instskip(NEXT) | instid1(VALU_DEP_3)
	v_cndmask_b32_e64 v1, v1, v2, s0
	v_cmp_lt_f32_e64 s0, 0, v5
	s_delay_alu instid0(VALU_DEP_1) | instskip(NEXT) | instid1(VALU_DEP_1)
	v_cndmask_b32_e64 v1, v1, v3, s0
	v_mul_f32_e32 v2, 0x37800000, v1
	s_delay_alu instid0(VALU_DEP_1) | instskip(SKIP_1) | instid1(VALU_DEP_2)
	v_cndmask_b32_e32 v1, v1, v2, vcc_lo
	v_cmp_class_f32_e64 vcc_lo, v0, 0x260
	v_dual_cndmask_b32 v0, v1, v0 :: v_dual_mov_b32 v1, 0
	ds_store_b64 v1, v[0:1] offset:416
.LBB40_55:
	v_mov_b32_e32 v0, 0
	s_waitcnt lgkmcnt(0)
	buffer_gl0_inv
	ds_load_b64 v[0:1], v0 offset:416
	s_waitcnt lgkmcnt(0)
	v_cmp_eq_f32_e32 vcc_lo, 0, v0
	v_cmp_eq_f32_e64 s0, 0, v1
	s_delay_alu instid0(VALU_DEP_1) | instskip(NEXT) | instid1(SALU_CYCLE_1)
	s_and_b32 s0, vcc_lo, s0
	s_and_not1_b32 vcc_lo, exec_lo, s0
	s_cbranch_vccnz .LBB40_60
; %bb.56:
	s_mov_b32 vcc_lo, 0
	s_cbranch_vccnz .LBB40_59
; %bb.57:
	v_mbcnt_lo_u32_b32 v0, exec_lo, 0
	s_delay_alu instid0(VALU_DEP_1)
	v_cmp_ne_u32_e32 vcc_lo, 0, v0
	s_and_b32 s0, vcc_lo, exec_lo
	s_cbranch_scc1 .LBB40_59
; %bb.58:
	s_add_i32 s0, s8, s9
	s_delay_alu instid0(SALU_CYCLE_1)
	v_dual_mov_b32 v0, 0 :: v_dual_mov_b32 v1, s0
	global_atomic_min_i32 v0, v1, s[10:11]
.LBB40_59:
	v_dual_mov_b32 v0, 1.0 :: v_dual_mov_b32 v1, 0
.LBB40_60:
	s_mov_b32 s13, -1
	s_mov_b32 vcc_lo, exec_lo
	s_cbranch_vccnz .LBB40_62
; %bb.61:
	s_delay_alu instid0(VALU_DEP_1) | instskip(SKIP_3) | instid1(VALU_DEP_1)
	v_dual_mul_f32 v6, v1, v1 :: v_dual_mov_b32 v9, 0
	ds_load_2addr_b64 v[2:5], v9 offset0:52 offset1:54
	s_waitcnt lgkmcnt(0)
	v_dual_fmac_f32 v6, v0, v0 :: v_dual_sub_f32 v3, v3, v5
	v_div_scale_f32 v7, null, v6, v6, 1.0
	v_sub_f32_e32 v2, v2, v4
	v_div_scale_f32 v11, vcc_lo, 1.0, v6, 1.0
	s_delay_alu instid0(VALU_DEP_3) | instskip(SKIP_1) | instid1(VALU_DEP_3)
	v_rcp_f32_e32 v8, v7
	v_mul_f32_e32 v4, v1, v3
	v_mul_f32_e64 v1, v1, -v2
	s_delay_alu instid0(VALU_DEP_1) | instskip(NEXT) | instid1(VALU_DEP_3)
	v_fmac_f32_e32 v1, v3, v0
	v_fmac_f32_e32 v4, v2, v0
	s_waitcnt_depctr 0xfff
	v_fma_f32 v10, -v7, v8, 1.0
	s_delay_alu instid0(VALU_DEP_1) | instskip(NEXT) | instid1(VALU_DEP_1)
	v_fmac_f32_e32 v8, v10, v8
	v_mul_f32_e32 v10, v11, v8
	s_delay_alu instid0(VALU_DEP_1) | instskip(NEXT) | instid1(VALU_DEP_1)
	v_fma_f32 v12, -v7, v10, v11
	v_fmac_f32_e32 v10, v12, v8
	s_delay_alu instid0(VALU_DEP_1) | instskip(NEXT) | instid1(VALU_DEP_1)
	v_fma_f32 v5, -v7, v10, v11
	v_div_fmas_f32 v5, v5, v8, v10
	s_delay_alu instid0(VALU_DEP_1) | instskip(NEXT) | instid1(VALU_DEP_1)
	v_div_fixup_f32 v2, v5, v6, 1.0
	v_dual_mov_b32 v6, 0x1b0 :: v_dual_mul_f32 v1, v2, v1
	v_mul_f32_e32 v0, v2, v4
	ds_store_b64 v9, v[0:1] offset:416
	s_waitcnt lgkmcnt(0)
	s_waitcnt_vscnt null, 0x0
	buffer_gl0_inv
	ds_load_b64 v[2:3], v9 offset:416
	ds_load_b64 v[4:5], v6
	s_waitcnt lgkmcnt(0)
	v_fma_f32 v4, v0, v2, v4
	v_fmac_f32_e32 v5, v1, v2
	s_delay_alu instid0(VALU_DEP_2) | instskip(NEXT) | instid1(VALU_DEP_2)
	v_fmac_f32_e32 v4, v1, v3
	v_fma_f32 v5, v0, -v3, v5
	ds_store_b64 v6, v[4:5]
.LBB40_62:
	v_mov_b32_e32 v0, 0x1a0
	s_waitcnt lgkmcnt(0)
	s_waitcnt_vscnt null, 0x0
	buffer_gl0_inv
	v_mov_b32_e32 v2, 0
	ds_load_b64 v[0:1], v0
	s_waitcnt lgkmcnt(0)
	global_store_b64 v2, v[0:1], s[4:5]
	s_branch .LBB40_64
.LBB40_63:
	s_mov_b32 vcc_lo, exec_lo
	s_cbranch_vccnz .LBB40_67
.LBB40_64:
	s_and_b32 vcc_lo, exec_lo, s13
	s_cbranch_vccz .LBB40_66
.LBB40_65:
	v_dual_mov_b32 v0, 0 :: v_dual_mov_b32 v1, 1
	s_add_u32 s0, s6, s2
	s_addc_u32 s1, s7, s3
	s_waitcnt_vscnt null, 0x0
	global_store_b32 v0, v1, s[0:1]
.LBB40_66:
	s_nop 0
	s_sendmsg sendmsg(MSG_DEALLOC_VGPRS)
	s_endpgm
.LBB40_67:
	v_mbcnt_lo_u32_b32 v0, exec_lo, 0
	s_delay_alu instid0(VALU_DEP_1)
	v_cmp_ne_u32_e32 vcc_lo, 0, v0
	s_and_b32 s0, vcc_lo, exec_lo
	s_cbranch_scc0 .LBB40_69
; %bb.68:
	s_cbranch_execnz .LBB40_65
	s_branch .LBB40_66
.LBB40_69:
	s_add_i32 s0, s8, s9
	s_delay_alu instid0(SALU_CYCLE_1)
	v_dual_mov_b32 v0, 0 :: v_dual_mov_b32 v1, s0
	global_atomic_min_i32 v0, v1, s[10:11]
	s_cbranch_execnz .LBB40_65
	s_branch .LBB40_66
.LBB40_70:
	v_mov_b32_e32 v2, 0
	s_cbranch_execz .LBB40_53
	s_branch .LBB40_54
	.section	.rodata,"a",@progbits
	.p2align	6, 0x0
	.amdhsa_kernel _ZN9rocsparseL26bsric0_2_8_unrolled_kernelILi1ELi32ELi1E21rocsparse_complex_numIfEEEv20rocsparse_direction_iiPKiS5_PT2_S5_PiS5_S8_21rocsparse_index_base_
		.amdhsa_group_segment_fixed_size 448
		.amdhsa_private_segment_fixed_size 0
		.amdhsa_kernarg_size 76
		.amdhsa_user_sgpr_count 15
		.amdhsa_user_sgpr_dispatch_ptr 0
		.amdhsa_user_sgpr_queue_ptr 0
		.amdhsa_user_sgpr_kernarg_segment_ptr 1
		.amdhsa_user_sgpr_dispatch_id 0
		.amdhsa_user_sgpr_private_segment_size 0
		.amdhsa_wavefront_size32 1
		.amdhsa_uses_dynamic_stack 0
		.amdhsa_enable_private_segment 0
		.amdhsa_system_sgpr_workgroup_id_x 1
		.amdhsa_system_sgpr_workgroup_id_y 0
		.amdhsa_system_sgpr_workgroup_id_z 0
		.amdhsa_system_sgpr_workgroup_info 0
		.amdhsa_system_vgpr_workitem_id 0
		.amdhsa_next_free_vgpr 25
		.amdhsa_next_free_sgpr 38
		.amdhsa_reserve_vcc 1
		.amdhsa_float_round_mode_32 0
		.amdhsa_float_round_mode_16_64 0
		.amdhsa_float_denorm_mode_32 3
		.amdhsa_float_denorm_mode_16_64 3
		.amdhsa_dx10_clamp 1
		.amdhsa_ieee_mode 1
		.amdhsa_fp16_overflow 0
		.amdhsa_workgroup_processor_mode 1
		.amdhsa_memory_ordered 1
		.amdhsa_forward_progress 0
		.amdhsa_shared_vgpr_count 0
		.amdhsa_exception_fp_ieee_invalid_op 0
		.amdhsa_exception_fp_denorm_src 0
		.amdhsa_exception_fp_ieee_div_zero 0
		.amdhsa_exception_fp_ieee_overflow 0
		.amdhsa_exception_fp_ieee_underflow 0
		.amdhsa_exception_fp_ieee_inexact 0
		.amdhsa_exception_int_div_zero 0
	.end_amdhsa_kernel
	.section	.text._ZN9rocsparseL26bsric0_2_8_unrolled_kernelILi1ELi32ELi1E21rocsparse_complex_numIfEEEv20rocsparse_direction_iiPKiS5_PT2_S5_PiS5_S8_21rocsparse_index_base_,"axG",@progbits,_ZN9rocsparseL26bsric0_2_8_unrolled_kernelILi1ELi32ELi1E21rocsparse_complex_numIfEEEv20rocsparse_direction_iiPKiS5_PT2_S5_PiS5_S8_21rocsparse_index_base_,comdat
.Lfunc_end40:
	.size	_ZN9rocsparseL26bsric0_2_8_unrolled_kernelILi1ELi32ELi1E21rocsparse_complex_numIfEEEv20rocsparse_direction_iiPKiS5_PT2_S5_PiS5_S8_21rocsparse_index_base_, .Lfunc_end40-_ZN9rocsparseL26bsric0_2_8_unrolled_kernelILi1ELi32ELi1E21rocsparse_complex_numIfEEEv20rocsparse_direction_iiPKiS5_PT2_S5_PiS5_S8_21rocsparse_index_base_
                                        ; -- End function
	.section	.AMDGPU.csdata,"",@progbits
; Kernel info:
; codeLenInByte = 4160
; NumSgprs: 40
; NumVgprs: 25
; ScratchSize: 0
; MemoryBound: 0
; FloatMode: 240
; IeeeMode: 1
; LDSByteSize: 448 bytes/workgroup (compile time only)
; SGPRBlocks: 4
; VGPRBlocks: 3
; NumSGPRsForWavesPerEU: 40
; NumVGPRsForWavesPerEU: 25
; Occupancy: 16
; WaveLimiterHint : 1
; COMPUTE_PGM_RSRC2:SCRATCH_EN: 0
; COMPUTE_PGM_RSRC2:USER_SGPR: 15
; COMPUTE_PGM_RSRC2:TRAP_HANDLER: 0
; COMPUTE_PGM_RSRC2:TGID_X_EN: 1
; COMPUTE_PGM_RSRC2:TGID_Y_EN: 0
; COMPUTE_PGM_RSRC2:TGID_Z_EN: 0
; COMPUTE_PGM_RSRC2:TIDIG_COMP_CNT: 0
	.section	.text._ZN9rocsparseL26bsric0_2_8_unrolled_kernelILi4ELi32ELi2E21rocsparse_complex_numIfEEEv20rocsparse_direction_iiPKiS5_PT2_S5_PiS5_S8_21rocsparse_index_base_,"axG",@progbits,_ZN9rocsparseL26bsric0_2_8_unrolled_kernelILi4ELi32ELi2E21rocsparse_complex_numIfEEEv20rocsparse_direction_iiPKiS5_PT2_S5_PiS5_S8_21rocsparse_index_base_,comdat
	.globl	_ZN9rocsparseL26bsric0_2_8_unrolled_kernelILi4ELi32ELi2E21rocsparse_complex_numIfEEEv20rocsparse_direction_iiPKiS5_PT2_S5_PiS5_S8_21rocsparse_index_base_ ; -- Begin function _ZN9rocsparseL26bsric0_2_8_unrolled_kernelILi4ELi32ELi2E21rocsparse_complex_numIfEEEv20rocsparse_direction_iiPKiS5_PT2_S5_PiS5_S8_21rocsparse_index_base_
	.p2align	8
	.type	_ZN9rocsparseL26bsric0_2_8_unrolled_kernelILi4ELi32ELi2E21rocsparse_complex_numIfEEEv20rocsparse_direction_iiPKiS5_PT2_S5_PiS5_S8_21rocsparse_index_base_,@function
_ZN9rocsparseL26bsric0_2_8_unrolled_kernelILi4ELi32ELi2E21rocsparse_complex_numIfEEEv20rocsparse_direction_iiPKiS5_PT2_S5_PiS5_S8_21rocsparse_index_base_: ; @_ZN9rocsparseL26bsric0_2_8_unrolled_kernelILi4ELi32ELi2E21rocsparse_complex_numIfEEEv20rocsparse_direction_iiPKiS5_PT2_S5_PiS5_S8_21rocsparse_index_base_
; %bb.0:
	s_load_b256 s[4:11], s[0:1], 0x28
	s_mov_b32 s2, s15
	s_mov_b32 s3, 0
	v_and_b32_e32 v6, 0x3ff, v0
	s_lshl_b64 s[12:13], s[2:3], 2
	v_bfe_u32 v7, v0, 10, 10
	s_waitcnt lgkmcnt(0)
	s_add_u32 s8, s8, s12
	s_addc_u32 s9, s9, s13
	s_load_b32 s16, s[8:9], 0x0
	s_waitcnt lgkmcnt(0)
	s_ashr_i32 s17, s16, 31
	s_delay_alu instid0(SALU_CYCLE_1) | instskip(NEXT) | instid1(SALU_CYCLE_1)
	s_lshl_b64 s[8:9], s[16:17], 2
	s_add_u32 s12, s4, s8
	s_addc_u32 s13, s5, s9
	s_load_b32 s26, s[12:13], 0x0
	s_load_b32 s17, s[0:1], 0x48
	s_waitcnt lgkmcnt(0)
	s_cmp_lg_u32 s26, -1
	s_cbranch_scc0 .LBB41_6
; %bb.1:
	s_clause 0x1
	s_load_b128 s[12:15], s[0:1], 0x10
	s_load_b64 s[18:19], s[0:1], 0x20
	v_lshlrev_b32_e32 v12, 1, v7
	s_delay_alu instid0(VALU_DEP_1)
	v_add_nc_u32_e32 v11, v12, v6
	s_waitcnt lgkmcnt(0)
	s_add_u32 s2, s12, s8
	s_addc_u32 s3, s13, s9
	s_load_b32 s2, s[2:3], 0x0
	s_mov_b32 s3, exec_lo
	s_waitcnt lgkmcnt(0)
	s_sub_i32 s27, s2, s17
	s_delay_alu instid0(SALU_CYCLE_1) | instskip(NEXT) | instid1(VALU_DEP_1)
	v_add_nc_u32_e32 v0, s27, v11
	v_cmpx_ge_i32_e64 s26, v0
	s_cbranch_execz .LBB41_4
; %bb.2:
	v_ashrrev_i32_e32 v1, 31, v0
	v_lshlrev_b32_e32 v3, 3, v7
	v_lshlrev_b32_e32 v4, 2, v6
	s_mov_b32 s20, 0
	s_delay_alu instid0(VALU_DEP_3) | instskip(NEXT) | instid1(VALU_DEP_2)
	v_lshlrev_b64 v[1:2], 2, v[0:1]
	v_add3_u32 v3, v3, v4, 0x100
	s_delay_alu instid0(VALU_DEP_2) | instskip(NEXT) | instid1(VALU_DEP_3)
	v_add_co_u32 v1, vcc_lo, s14, v1
	v_add_co_ci_u32_e32 v2, vcc_lo, s15, v2, vcc_lo
.LBB41_3:                               ; =>This Inner Loop Header: Depth=1
	global_load_b32 v4, v[1:2], off
	v_add_nc_u32_e32 v0, 4, v0
	v_add_co_u32 v1, vcc_lo, v1, 16
	v_add_co_ci_u32_e32 v2, vcc_lo, 0, v2, vcc_lo
	s_delay_alu instid0(VALU_DEP_3) | instskip(NEXT) | instid1(VALU_DEP_1)
	v_cmp_lt_i32_e64 s2, s26, v0
	s_or_b32 s20, s2, s20
	s_waitcnt vmcnt(0)
	v_subrev_nc_u32_e32 v4, s17, v4
	ds_store_b32 v3, v4
	v_add_nc_u32_e32 v3, 16, v3
	s_and_not1_b32 exec_lo, exec_lo, s20
	s_cbranch_execnz .LBB41_3
.LBB41_4:
	s_or_b32 exec_lo, exec_lo, s3
	v_dual_mov_b32 v1, 0 :: v_dual_lshlrev_b32 v0, 3, v6
	s_mov_b32 s2, 0
	s_cmp_lt_i32 s27, s26
	s_delay_alu instid0(VALU_DEP_1) | instskip(NEXT) | instid1(VALU_DEP_2)
	v_mad_u32_u24 v10, v7, 24, v0
	v_mov_b32_e32 v2, v1
	ds_store_b64 v10, v[1:2] offset:528
	s_waitcnt lgkmcnt(0)
	buffer_gl0_inv
	s_cbranch_scc1 .LBB41_7
; %bb.5:
	v_lshl_add_u32 v13, v6, 1, v7
	v_or_b32_e32 v8, v6, v7
	s_load_b32 s28, s[0:1], 0x0
	v_add_nc_u32_e32 v9, 0x210, v10
	s_and_not1_b32 vcc_lo, exec_lo, s2
	s_cbranch_vccz .LBB41_8
	s_branch .LBB41_41
.LBB41_6:
	s_cbranch_execnz .LBB41_70
	s_branch .LBB41_75
.LBB41_7:
                                        ; implicit-def: $vgpr13
                                        ; implicit-def: $vgpr8
	s_load_b32 s28, s[0:1], 0x0
	v_add_nc_u32_e32 v9, 0x210, v10
.LBB41_8:
	s_waitcnt lgkmcnt(0)
	s_cmp_eq_u32 s28, 0
	v_mad_u32_u24 v15, v7, 24, 0x1e0
	s_cselect_b32 vcc_lo, -1, 0
	v_lshlrev_b32_e32 v14, 1, v6
	v_mul_u32_u24_e32 v1, 24, v7
	v_mad_u32_u24 v16, v7, 24, 0x1b0
	v_or_b32_e32 v8, v6, v7
	v_add_nc_u32_e32 v17, v15, v0
	v_dual_mov_b32 v22, 0 :: v_dual_add_nc_u32 v13, v14, v7
	v_add3_u32 v18, v1, v0, 0x180
	v_add_nc_u32_e32 v19, v16, v0
	v_cmp_ne_u32_e64 s0, 0, v8
	v_mad_u32_u24 v20, v6, 24, 0x1e0
	v_cndmask_b32_e32 v21, v13, v11, vcc_lo
	s_cmp_lg_u32 s28, 0
	s_mov_b32 s2, s27
	s_cselect_b32 s29, -1, 0
	s_branch .LBB41_12
.LBB41_9:                               ;   in Loop: Header=BB41_12 Depth=1
	s_or_b32 exec_lo, exec_lo, s20
	v_dual_mov_b32 v4, 1.0 :: v_dual_mov_b32 v5, 0
.LBB41_10:                              ;   in Loop: Header=BB41_12 Depth=1
	s_or_b32 exec_lo, exec_lo, s1
	ds_load_b64 v[23:24], v15
	ds_load_b64 v[25:26], v22 offset:408
	ds_load_b64 v[27:28], v16 offset:8
	v_mul_f32_e32 v29, v5, v5
	s_add_i32 s2, s2, 1
	s_delay_alu instid0(SALU_CYCLE_1) | instskip(NEXT) | instid1(VALU_DEP_1)
	s_cmp_ge_i32 s2, s26
	v_fmac_f32_e32 v29, v4, v4
	s_cselect_b32 s23, -1, 0
	s_delay_alu instid0(VALU_DEP_1) | instskip(SKIP_1) | instid1(VALU_DEP_2)
	v_div_scale_f32 v30, null, v29, v29, 1.0
	v_div_scale_f32 v33, vcc_lo, 1.0, v29, 1.0
	v_rcp_f32_e32 v31, v30
	s_waitcnt lgkmcnt(0)
	v_fma_f32 v28, v26, v23, v28
	v_fmac_f32_e32 v27, v25, v23
	s_delay_alu instid0(VALU_DEP_2) | instskip(SKIP_3) | instid1(VALU_DEP_1)
	v_fma_f32 v23, v25, -v24, v28
	s_waitcnt_depctr 0xfff
	v_fma_f32 v32, -v30, v31, 1.0
	v_sub_f32_e32 v3, v3, v23
	v_dual_fmac_f32 v27, v26, v24 :: v_dual_mul_f32 v24, v5, v3
	s_delay_alu instid0(VALU_DEP_1) | instskip(NEXT) | instid1(VALU_DEP_1)
	v_sub_f32_e32 v2, v2, v27
	v_mul_f32_e64 v5, v5, -v2
	s_delay_alu instid0(VALU_DEP_1) | instskip(NEXT) | instid1(VALU_DEP_4)
	v_fmac_f32_e32 v5, v3, v4
	v_dual_fmac_f32 v31, v32, v31 :: v_dual_fmac_f32 v24, v2, v4
	s_delay_alu instid0(VALU_DEP_1) | instskip(NEXT) | instid1(VALU_DEP_1)
	v_mul_f32_e32 v32, v33, v31
	v_fma_f32 v34, -v30, v32, v33
	s_delay_alu instid0(VALU_DEP_1) | instskip(NEXT) | instid1(VALU_DEP_1)
	v_fmac_f32_e32 v32, v34, v31
	v_fma_f32 v23, -v30, v32, v33
	s_delay_alu instid0(VALU_DEP_1) | instskip(NEXT) | instid1(VALU_DEP_1)
	v_div_fmas_f32 v23, v23, v31, v32
	v_div_fixup_f32 v23, v23, v29, 1.0
	s_delay_alu instid0(VALU_DEP_1)
	v_mul_f32_e32 v2, v23, v24
	v_mul_f32_e32 v3, v23, v5
	ds_store_b64 v15, v[2:3] offset:8
	s_waitcnt lgkmcnt(0)
	s_waitcnt_vscnt null, 0x0
	buffer_gl0_inv
	ds_load_b64 v[4:5], v20 offset:8
	ds_load_b64 v[23:24], v9
	s_waitcnt lgkmcnt(0)
	v_fma_f32 v23, v2, v4, v23
	v_fmac_f32_e32 v24, v3, v4
	s_delay_alu instid0(VALU_DEP_2) | instskip(NEXT) | instid1(VALU_DEP_2)
	v_fmac_f32_e32 v23, v3, v5
	v_fma_f32 v24, v2, -v5, v24
	ds_store_b64 v9, v[23:24]
	s_waitcnt lgkmcnt(0)
	buffer_gl0_inv
	ds_load_b64 v[2:3], v17
	s_waitcnt lgkmcnt(0)
	global_store_b64 v[0:1], v[2:3], off
	s_waitcnt_vscnt null, 0x0
	buffer_gl1_inv
	buffer_gl0_inv
.LBB41_11:                              ;   in Loop: Header=BB41_12 Depth=1
	s_and_b32 vcc_lo, exec_lo, s23
	s_cbranch_vccnz .LBB41_41
.LBB41_12:                              ; =>This Loop Header: Depth=1
                                        ;     Child Loop BB41_15 Depth 2
                                        ;     Child Loop BB41_26 Depth 2
	s_ashr_i32 s3, s2, 31
	s_delay_alu instid0(SALU_CYCLE_1) | instskip(NEXT) | instid1(SALU_CYCLE_1)
	s_lshl_b64 s[20:21], s[2:3], 2
	s_add_u32 s20, s14, s20
	s_addc_u32 s21, s15, s21
	s_load_b32 s3, s[20:21], 0x0
	s_waitcnt lgkmcnt(0)
	s_sub_i32 s22, s3, s17
	s_delay_alu instid0(SALU_CYCLE_1) | instskip(NEXT) | instid1(SALU_CYCLE_1)
	s_ashr_i32 s23, s22, 31
	s_lshl_b64 s[20:21], s[22:23], 2
	s_mov_b32 s23, -1
	s_add_u32 s24, s4, s20
	s_addc_u32 s25, s5, s21
	s_load_b32 s1, s[24:25], 0x0
	s_waitcnt lgkmcnt(0)
	s_cmp_eq_u32 s1, -1
	s_cbranch_scc1 .LBB41_11
; %bb.13:                               ;   in Loop: Header=BB41_12 Depth=1
	v_lshl_add_u32 v0, s2, 2, v21
	s_add_u32 s24, s12, s20
	s_addc_u32 s25, s13, s21
	ds_load_b32 v4, v22 offset:256
	s_load_b32 s23, s[24:25], 0x0
	v_ashrrev_i32_e32 v1, 31, v0
	s_delay_alu instid0(VALU_DEP_1) | instskip(NEXT) | instid1(VALU_DEP_1)
	v_lshlrev_b64 v[0:1], 3, v[0:1]
	v_add_co_u32 v0, vcc_lo, s18, v0
	s_delay_alu instid0(VALU_DEP_2) | instskip(SKIP_4) | instid1(SALU_CYCLE_1)
	v_add_co_ci_u32_e32 v1, vcc_lo, s19, v1, vcc_lo
	s_waitcnt lgkmcnt(0)
	v_cmp_ge_i32_e32 vcc_lo, s22, v4
	global_load_b64 v[2:3], v[0:1], off
	s_sub_i32 s24, s23, s17
	s_cmp_le_i32 s24, s1
	s_cselect_b32 s23, -1, 0
	s_delay_alu instid0(SALU_CYCLE_1) | instskip(NEXT) | instid1(SALU_CYCLE_1)
	s_and_b32 s23, s23, vcc_lo
	s_and_not1_b32 vcc_lo, exec_lo, s23
	s_mov_b32 s23, 0
	s_waitcnt vmcnt(0)
	ds_store_b64 v17, v[2:3]
	s_cbranch_vccnz .LBB41_25
; %bb.14:                               ;   in Loop: Header=BB41_12 Depth=1
	s_mov_b32 s30, 0
	s_mov_b32 s31, 0
.LBB41_15:                              ;   Parent Loop BB41_12 Depth=1
                                        ; =>  This Inner Loop Header: Depth=2
	s_ashr_i32 s25, s24, 31
                                        ; implicit-def: $sgpr33
	s_delay_alu instid0(SALU_CYCLE_1) | instskip(NEXT) | instid1(SALU_CYCLE_1)
	s_lshl_b64 s[34:35], s[24:25], 2
	s_add_u32 s34, s14, s34
	s_addc_u32 s35, s15, s35
	s_lshl_b32 s23, s31, 2
	s_delay_alu instid0(SALU_CYCLE_1)
	v_mov_b32_e32 v2, s23
	s_load_b32 s23, s[34:35], 0x0
	s_mov_b32 s35, -1
                                        ; implicit-def: $sgpr34
	ds_load_b32 v2, v2 offset:256
	s_waitcnt lgkmcnt(0)
	s_sub_i32 s36, s23, s17
                                        ; implicit-def: $sgpr23
	s_delay_alu instid0(SALU_CYCLE_1)
	v_cmp_ge_i32_e32 vcc_lo, s36, v2
	v_readfirstlane_b32 s25, v2
	s_cbranch_vccz .LBB41_21
; %bb.16:                               ;   in Loop: Header=BB41_15 Depth=2
	s_delay_alu instid0(VALU_DEP_1)
	s_cmp_le_i32 s36, s25
                                        ; implicit-def: $sgpr23
                                        ; implicit-def: $sgpr34
                                        ; implicit-def: $sgpr33
	s_cbranch_scc0 .LBB41_18
; %bb.17:                               ;   in Loop: Header=BB41_15 Depth=2
	s_add_i32 s23, s31, s27
	s_lshl_b32 s33, s30, 2
	s_lshl_b32 s23, s23, 2
	s_delay_alu instid0(SALU_CYCLE_1)
	v_dual_mov_b32 v2, s33 :: v_dual_mov_b32 v3, s23
	s_lshl_b32 s33, s24, 2
	s_add_i32 s34, s24, 1
	v_mov_b32_e32 v4, s33
	s_add_i32 s33, s31, 1
	s_add_i32 s23, s30, 1
	s_mov_b32 s35, 0
	ds_store_2addr_b32 v2, v4, v3 offset1:32
.LBB41_18:                              ;   in Loop: Header=BB41_15 Depth=2
	s_and_not1_b32 vcc_lo, exec_lo, s35
	s_cbranch_vccnz .LBB41_20
; %bb.19:                               ;   in Loop: Header=BB41_15 Depth=2
	s_add_i32 s33, s31, 1
	s_mov_b32 s23, s30
	s_mov_b32 s34, s24
.LBB41_20:                              ;   in Loop: Header=BB41_15 Depth=2
	s_mov_b32 s35, 0
.LBB41_21:                              ;   in Loop: Header=BB41_15 Depth=2
	s_delay_alu instid0(SALU_CYCLE_1)
	s_and_not1_b32 vcc_lo, exec_lo, s35
	s_cbranch_vccnz .LBB41_23
; %bb.22:                               ;   in Loop: Header=BB41_15 Depth=2
	s_add_i32 s34, s24, 1
	s_mov_b32 s33, s31
	s_mov_b32 s23, s30
.LBB41_23:                              ;   in Loop: Header=BB41_15 Depth=2
	s_cmp_le_i32 s34, s1
	s_cselect_b32 s24, -1, 0
	s_cmp_le_i32 s25, s22
	s_cselect_b32 s25, -1, 0
	s_delay_alu instid0(SALU_CYCLE_1) | instskip(NEXT) | instid1(SALU_CYCLE_1)
	s_and_b32 s24, s24, s25
	s_and_b32 vcc_lo, exec_lo, s24
	s_cbranch_vccz .LBB41_25
; %bb.24:                               ;   in Loop: Header=BB41_15 Depth=2
	s_mov_b32 s30, s23
	s_mov_b32 s24, s34
	;; [unrolled: 1-line block ×3, first 2 shown]
	s_branch .LBB41_15
.LBB41_25:                              ;   in Loop: Header=BB41_12 Depth=1
	s_add_u32 s20, s6, s20
	s_addc_u32 s21, s7, s21
	s_waitcnt lgkmcnt(0)
	buffer_gl0_inv
.LBB41_26:                              ;   Parent Loop BB41_12 Depth=1
                                        ; =>  This Inner Loop Header: Depth=2
	global_load_b32 v2, v22, s[20:21] glc
	s_waitcnt vmcnt(0)
	v_cmp_eq_u32_e32 vcc_lo, 0, v2
	s_cbranch_vccnz .LBB41_26
; %bb.27:                               ;   in Loop: Header=BB41_12 Depth=1
	v_lshl_add_u32 v2, s1, 2, v21
	buffer_gl1_inv
	buffer_gl0_inv
	v_dual_mov_b32 v5, 0 :: v_dual_mov_b32 v4, 0
	s_cmp_lt_i32 s23, 2
	v_ashrrev_i32_e32 v3, 31, v2
	s_delay_alu instid0(VALU_DEP_1) | instskip(NEXT) | instid1(VALU_DEP_1)
	v_lshlrev_b64 v[2:3], 3, v[2:3]
	v_add_co_u32 v2, vcc_lo, s18, v2
	s_delay_alu instid0(VALU_DEP_2)
	v_add_co_ci_u32_e32 v3, vcc_lo, s19, v3, vcc_lo
	global_load_b64 v[2:3], v[2:3], off
	s_waitcnt vmcnt(0)
	ds_store_b64 v18, v[2:3]
	s_waitcnt lgkmcnt(0)
	buffer_gl0_inv
	s_cbranch_scc1 .LBB41_34
; %bb.28:                               ;   in Loop: Header=BB41_12 Depth=1
	v_dual_mov_b32 v24, 0 :: v_dual_mov_b32 v23, 0
	s_add_i32 s1, s23, -1
	s_mov_b32 s20, 0
	s_delay_alu instid0(SALU_CYCLE_1)
	v_mov_b32_e32 v2, s20
	s_and_b32 vcc_lo, exec_lo, s29
	ds_load_2addr_b32 v[2:3], v2 offset1:32
	s_cbranch_vccz .LBB41_30
.LBB41_29:                              ;   in Loop: Header=BB41_12 Depth=1
	s_waitcnt lgkmcnt(0)
	v_add_nc_u32_e32 v4, v2, v6
	v_add_nc_u32_e32 v25, v3, v7
	s_delay_alu instid0(VALU_DEP_2) | instskip(NEXT) | instid1(VALU_DEP_2)
	v_ashrrev_i32_e32 v5, 31, v4
	v_ashrrev_i32_e32 v26, 31, v25
	v_add_nc_u32_e32 v27, 2, v4
	v_add_nc_u32_e32 v29, 2, v25
	s_delay_alu instid0(VALU_DEP_4) | instskip(NEXT) | instid1(VALU_DEP_4)
	v_lshlrev_b64 v[4:5], 3, v[4:5]
	v_lshlrev_b64 v[25:26], 3, v[25:26]
	s_delay_alu instid0(VALU_DEP_4) | instskip(NEXT) | instid1(VALU_DEP_4)
	v_ashrrev_i32_e32 v28, 31, v27
	v_ashrrev_i32_e32 v30, 31, v29
	s_delay_alu instid0(VALU_DEP_4)
	v_add_co_u32 v4, vcc_lo, s18, v4
	v_add_co_ci_u32_e32 v5, vcc_lo, s19, v5, vcc_lo
	v_add_co_u32 v25, vcc_lo, s18, v25
	v_lshlrev_b64 v[27:28], 3, v[27:28]
	v_add_co_ci_u32_e32 v26, vcc_lo, s19, v26, vcc_lo
	v_lshlrev_b64 v[29:30], 3, v[29:30]
	s_clause 0x1
	global_load_b64 v[31:32], v[4:5], off
	global_load_b64 v[25:26], v[25:26], off
	v_add_co_u32 v4, vcc_lo, s18, v27
	v_add_co_ci_u32_e32 v5, vcc_lo, s19, v28, vcc_lo
	v_add_co_u32 v27, vcc_lo, s18, v29
	v_add_co_ci_u32_e32 v28, vcc_lo, s19, v30, vcc_lo
	s_clause 0x1
	global_load_b64 v[29:30], v[4:5], off
	global_load_b64 v[27:28], v[27:28], off
	s_waitcnt vmcnt(2)
	v_fma_f32 v4, v31, v25, v23
	v_fma_f32 v5, v32, v25, v24
	s_delay_alu instid0(VALU_DEP_2) | instskip(NEXT) | instid1(VALU_DEP_2)
	v_fmac_f32_e32 v4, v32, v26
	v_fma_f32 v5, v31, -v26, v5
	s_waitcnt vmcnt(0)
	s_delay_alu instid0(VALU_DEP_2) | instskip(NEXT) | instid1(VALU_DEP_2)
	v_fmac_f32_e32 v4, v29, v27
	v_fmac_f32_e32 v5, v30, v27
	s_delay_alu instid0(VALU_DEP_2) | instskip(NEXT) | instid1(VALU_DEP_2)
	v_fmac_f32_e32 v4, v30, v28
	v_fma_f32 v5, v29, -v28, v5
	s_cbranch_execz .LBB41_31
	s_branch .LBB41_32
.LBB41_30:                              ;   in Loop: Header=BB41_12 Depth=1
                                        ; implicit-def: $vgpr5
.LBB41_31:                              ;   in Loop: Header=BB41_12 Depth=1
	s_waitcnt lgkmcnt(0)
	v_add_nc_u32_e32 v2, v2, v14
	v_add_nc_u32_e32 v4, v3, v12
	s_delay_alu instid0(VALU_DEP_2) | instskip(NEXT) | instid1(VALU_DEP_2)
	v_ashrrev_i32_e32 v3, 31, v2
	v_ashrrev_i32_e32 v5, 31, v4
	s_delay_alu instid0(VALU_DEP_2) | instskip(NEXT) | instid1(VALU_DEP_2)
	v_lshlrev_b64 v[2:3], 3, v[2:3]
	v_lshlrev_b64 v[4:5], 3, v[4:5]
	s_delay_alu instid0(VALU_DEP_2) | instskip(NEXT) | instid1(VALU_DEP_3)
	v_add_co_u32 v2, vcc_lo, s18, v2
	v_add_co_ci_u32_e32 v3, vcc_lo, s19, v3, vcc_lo
	s_delay_alu instid0(VALU_DEP_3) | instskip(NEXT) | instid1(VALU_DEP_4)
	v_add_co_u32 v25, vcc_lo, s18, v4
	v_add_co_ci_u32_e32 v26, vcc_lo, s19, v5, vcc_lo
	s_clause 0x1
	global_load_b128 v[2:5], v[2:3], off
	global_load_b128 v[25:28], v[25:26], off
	s_waitcnt vmcnt(0)
	v_fmac_f32_e32 v23, v2, v25
	s_delay_alu instid0(VALU_DEP_1) | instskip(NEXT) | instid1(VALU_DEP_1)
	v_fmac_f32_e32 v23, v3, v26
	v_dual_fmac_f32 v23, v4, v27 :: v_dual_fmac_f32 v24, v3, v25
	s_delay_alu instid0(VALU_DEP_1) | instskip(NEXT) | instid1(VALU_DEP_2)
	v_fmac_f32_e32 v23, v5, v28
	v_fma_f32 v2, v2, -v26, v24
	s_delay_alu instid0(VALU_DEP_1) | instskip(NEXT) | instid1(VALU_DEP_1)
	v_fmac_f32_e32 v2, v5, v27
	v_fma_f32 v5, v4, -v28, v2
	s_delay_alu instid0(VALU_DEP_4)
	v_mov_b32_e32 v4, v23
.LBB41_32:                              ;   in Loop: Header=BB41_12 Depth=1
	s_add_i32 s1, s1, -1
	s_add_i32 s20, s20, 4
	s_cmp_eq_u32 s1, 0
	s_cbranch_scc1 .LBB41_34
; %bb.33:                               ;   in Loop: Header=BB41_12 Depth=1
	v_dual_mov_b32 v24, v5 :: v_dual_mov_b32 v23, v4
	s_waitcnt lgkmcnt(0)
	v_mov_b32_e32 v2, s20
	s_and_b32 vcc_lo, exec_lo, s29
	ds_load_2addr_b32 v[2:3], v2 offset1:32
	s_cbranch_vccz .LBB41_30
	s_branch .LBB41_29
.LBB41_34:                              ;   in Loop: Header=BB41_12 Depth=1
	ds_store_b64 v19, v[4:5]
	s_waitcnt lgkmcnt(0)
	buffer_gl0_inv
	ds_load_b64 v[4:5], v22 offset:384
	ds_load_b64 v[2:3], v15
	s_waitcnt lgkmcnt(1)
	v_cmp_neq_f32_e32 vcc_lo, 0, v4
	v_cmp_neq_f32_e64 s1, 0, v5
	s_delay_alu instid0(VALU_DEP_1) | instskip(SKIP_2) | instid1(SALU_CYCLE_1)
	s_or_b32 vcc_lo, vcc_lo, s1
	v_dual_cndmask_b32 v4, 1.0, v4 :: v_dual_cndmask_b32 v5, 0, v5
	s_or_b32 s1, vcc_lo, s0
	s_xor_b32 s20, s1, -1
	s_delay_alu instid0(SALU_CYCLE_1)
	s_and_saveexec_b32 s1, s20
	s_cbranch_execz .LBB41_38
; %bb.35:                               ;   in Loop: Header=BB41_12 Depth=1
	v_mbcnt_lo_u32_b32 v4, exec_lo, 0
	s_mov_b32 s20, exec_lo
	s_delay_alu instid0(VALU_DEP_1)
	v_cmpx_eq_u32_e32 0, v4
	s_cbranch_execz .LBB41_37
; %bb.36:                               ;   in Loop: Header=BB41_12 Depth=1
	v_mov_b32_e32 v4, s3
	global_atomic_min_i32 v22, v4, s[10:11]
.LBB41_37:                              ;   in Loop: Header=BB41_12 Depth=1
	s_or_b32 exec_lo, exec_lo, s20
	v_dual_mov_b32 v4, 1.0 :: v_dual_mov_b32 v5, 0
.LBB41_38:                              ;   in Loop: Header=BB41_12 Depth=1
	s_or_b32 exec_lo, exec_lo, s1
	s_delay_alu instid0(VALU_DEP_1) | instskip(SKIP_2) | instid1(VALU_DEP_1)
	v_mul_f32_e32 v25, v5, v5
	ds_load_b64 v[23:24], v16
	v_fmac_f32_e32 v25, v4, v4
	v_div_scale_f32 v26, null, v25, v25, 1.0
	v_div_scale_f32 v29, vcc_lo, 1.0, v25, 1.0
	s_delay_alu instid0(VALU_DEP_2)
	v_rcp_f32_e32 v27, v26
	s_waitcnt lgkmcnt(0)
	v_dual_sub_f32 v3, v3, v24 :: v_dual_sub_f32 v2, v2, v23
	s_waitcnt_depctr 0xfff
	v_fma_f32 v28, -v26, v27, 1.0
	v_mul_f32_e32 v23, v5, v3
	v_mul_f32_e64 v5, v5, -v2
	s_delay_alu instid0(VALU_DEP_3) | instskip(NEXT) | instid1(VALU_DEP_1)
	v_fmac_f32_e32 v27, v28, v27
	v_dual_fmac_f32 v23, v2, v4 :: v_dual_mul_f32 v28, v29, v27
	s_delay_alu instid0(VALU_DEP_1) | instskip(NEXT) | instid1(VALU_DEP_1)
	v_fma_f32 v30, -v26, v28, v29
	v_fmac_f32_e32 v28, v30, v27
	s_delay_alu instid0(VALU_DEP_1) | instskip(NEXT) | instid1(VALU_DEP_1)
	v_fma_f32 v24, -v26, v28, v29
	v_div_fmas_f32 v24, v24, v27, v28
	s_delay_alu instid0(VALU_DEP_1) | instskip(NEXT) | instid1(VALU_DEP_1)
	v_div_fixup_f32 v24, v24, v25, 1.0
	v_dual_fmac_f32 v5, v3, v4 :: v_dual_mul_f32 v2, v24, v23
	s_delay_alu instid0(VALU_DEP_1)
	v_mul_f32_e32 v3, v24, v5
	ds_store_b64 v15, v[2:3]
	s_waitcnt lgkmcnt(0)
	s_waitcnt_vscnt null, 0x0
	buffer_gl0_inv
	ds_load_b64 v[4:5], v20
	ds_load_b64 v[23:24], v9
	s_waitcnt lgkmcnt(0)
	v_fma_f32 v23, v2, v4, v23
	v_fmac_f32_e32 v24, v3, v4
	s_delay_alu instid0(VALU_DEP_2) | instskip(NEXT) | instid1(VALU_DEP_2)
	v_fmac_f32_e32 v23, v3, v5
	v_fma_f32 v24, v2, -v5, v24
	ds_store_b64 v9, v[23:24]
	s_waitcnt lgkmcnt(0)
	buffer_gl0_inv
	ds_load_b64 v[4:5], v22 offset:416
	ds_load_b64 v[2:3], v15 offset:8
	s_waitcnt lgkmcnt(1)
	v_cmp_neq_f32_e32 vcc_lo, 0, v4
	v_cmp_neq_f32_e64 s1, 0, v5
	s_delay_alu instid0(VALU_DEP_1) | instskip(SKIP_2) | instid1(SALU_CYCLE_1)
	s_or_b32 vcc_lo, vcc_lo, s1
	v_dual_cndmask_b32 v4, 1.0, v4 :: v_dual_cndmask_b32 v5, 0, v5
	s_or_b32 s1, vcc_lo, s0
	s_xor_b32 s20, s1, -1
	s_delay_alu instid0(SALU_CYCLE_1)
	s_and_saveexec_b32 s1, s20
	s_cbranch_execz .LBB41_10
; %bb.39:                               ;   in Loop: Header=BB41_12 Depth=1
	v_mbcnt_lo_u32_b32 v4, exec_lo, 0
	s_mov_b32 s20, exec_lo
	s_delay_alu instid0(VALU_DEP_1)
	v_cmpx_eq_u32_e32 0, v4
	s_cbranch_execz .LBB41_9
; %bb.40:                               ;   in Loop: Header=BB41_12 Depth=1
	v_mov_b32_e32 v4, s3
	global_atomic_min_i32 v22, v4, s[10:11]
	s_branch .LBB41_9
.LBB41_41:
	s_waitcnt lgkmcnt(0)
	s_cmp_eq_u32 s28, 0
	v_cmp_ne_u32_e64 s1, 0, v7
	s_cselect_b32 vcc_lo, -1, 0
	s_mov_b32 s2, exec_lo
	v_cndmask_b32_e32 v0, v13, v11, vcc_lo
	s_delay_alu instid0(VALU_DEP_1) | instskip(NEXT) | instid1(VALU_DEP_1)
	v_lshl_add_u32 v0, s26, 2, v0
	v_ashrrev_i32_e32 v1, 31, v0
	s_delay_alu instid0(VALU_DEP_1) | instskip(NEXT) | instid1(VALU_DEP_1)
	v_lshlrev_b64 v[0:1], 3, v[0:1]
	v_add_co_u32 v0, vcc_lo, s18, v0
	s_delay_alu instid0(VALU_DEP_2)
	v_add_co_ci_u32_e32 v1, vcc_lo, s19, v1, vcc_lo
	global_load_b64 v[2:3], v[0:1], off
	s_waitcnt vmcnt(0)
	ds_store_b64 v10, v[2:3] offset:480
	s_waitcnt lgkmcnt(0)
	buffer_gl0_inv
	v_cmpx_eq_u32_e32 0, v7
	s_cbranch_execz .LBB41_49
; %bb.42:
	v_mov_b32_e32 v4, 0
	ds_load_2addr_b64 v[11:14], v4 offset0:60 offset1:66
	s_waitcnt lgkmcnt(0)
	v_dual_sub_f32 v5, v12, v14 :: v_dual_sub_f32 v2, v11, v13
	s_delay_alu instid0(VALU_DEP_1) | instskip(SKIP_1) | instid1(VALU_DEP_3)
	v_cmp_gt_f32_e32 vcc_lo, 0, v2
	v_cndmask_b32_e64 v2, v2, -v2, vcc_lo
	v_cmp_gt_f32_e32 vcc_lo, 0, v5
	v_cndmask_b32_e64 v3, v5, -v5, vcc_lo
	s_delay_alu instid0(VALU_DEP_1)
	v_cmp_ngt_f32_e32 vcc_lo, v2, v3
	s_cbranch_vccz .LBB41_45
; %bb.43:
	v_cmp_eq_f32_e32 vcc_lo, 0, v5
	s_mov_b32 s3, 0
	s_cbranch_vccnz .LBB41_46
; %bb.44:
	v_div_scale_f32 v4, null, v3, v3, v2
	v_div_scale_f32 v12, vcc_lo, v2, v3, v2
	s_delay_alu instid0(VALU_DEP_2) | instskip(SKIP_2) | instid1(VALU_DEP_1)
	v_rcp_f32_e32 v5, v4
	s_waitcnt_depctr 0xfff
	v_fma_f32 v11, -v4, v5, 1.0
	v_fmac_f32_e32 v5, v11, v5
	s_delay_alu instid0(VALU_DEP_1) | instskip(NEXT) | instid1(VALU_DEP_1)
	v_mul_f32_e32 v11, v12, v5
	v_fma_f32 v13, -v4, v11, v12
	s_delay_alu instid0(VALU_DEP_1) | instskip(NEXT) | instid1(VALU_DEP_1)
	v_fmac_f32_e32 v11, v13, v5
	v_fma_f32 v4, -v4, v11, v12
	s_delay_alu instid0(VALU_DEP_1) | instskip(NEXT) | instid1(VALU_DEP_1)
	v_div_fmas_f32 v4, v4, v5, v11
	v_div_fixup_f32 v4, v4, v3, v2
	s_delay_alu instid0(VALU_DEP_1) | instskip(NEXT) | instid1(VALU_DEP_1)
	v_fma_f32 v4, v4, v4, 1.0
	v_mul_f32_e32 v5, 0x4f800000, v4
	v_cmp_gt_f32_e32 vcc_lo, 0xf800000, v4
	s_delay_alu instid0(VALU_DEP_2) | instskip(NEXT) | instid1(VALU_DEP_1)
	v_cndmask_b32_e32 v4, v4, v5, vcc_lo
	v_sqrt_f32_e32 v5, v4
	s_waitcnt_depctr 0xfff
	v_add_nc_u32_e32 v11, -1, v5
	v_add_nc_u32_e32 v12, 1, v5
	s_delay_alu instid0(VALU_DEP_2) | instskip(NEXT) | instid1(VALU_DEP_2)
	v_fma_f32 v13, -v11, v5, v4
	v_fma_f32 v14, -v12, v5, v4
	s_delay_alu instid0(VALU_DEP_2) | instskip(NEXT) | instid1(VALU_DEP_1)
	v_cmp_ge_f32_e64 s0, 0, v13
	v_cndmask_b32_e64 v5, v5, v11, s0
	s_delay_alu instid0(VALU_DEP_3) | instskip(NEXT) | instid1(VALU_DEP_1)
	v_cmp_lt_f32_e64 s0, 0, v14
	v_cndmask_b32_e64 v5, v5, v12, s0
	s_delay_alu instid0(VALU_DEP_1) | instskip(NEXT) | instid1(VALU_DEP_1)
	v_mul_f32_e32 v11, 0x37800000, v5
	v_cndmask_b32_e32 v5, v5, v11, vcc_lo
	v_cmp_class_f32_e64 vcc_lo, v4, 0x260
	s_delay_alu instid0(VALU_DEP_2) | instskip(NEXT) | instid1(VALU_DEP_1)
	v_cndmask_b32_e32 v4, v5, v4, vcc_lo
	v_mul_f32_e32 v4, v3, v4
	s_branch .LBB41_46
.LBB41_45:
	s_mov_b32 s3, -1
                                        ; implicit-def: $vgpr4
.LBB41_46:
	s_delay_alu instid0(SALU_CYCLE_1)
	s_and_not1_b32 vcc_lo, exec_lo, s3
	s_cbranch_vccnz .LBB41_48
; %bb.47:
	v_div_scale_f32 v4, null, v2, v2, v3
	v_div_scale_f32 v12, vcc_lo, v3, v2, v3
	s_delay_alu instid0(VALU_DEP_2) | instskip(SKIP_2) | instid1(VALU_DEP_1)
	v_rcp_f32_e32 v5, v4
	s_waitcnt_depctr 0xfff
	v_fma_f32 v11, -v4, v5, 1.0
	v_fmac_f32_e32 v5, v11, v5
	s_delay_alu instid0(VALU_DEP_1) | instskip(NEXT) | instid1(VALU_DEP_1)
	v_mul_f32_e32 v11, v12, v5
	v_fma_f32 v13, -v4, v11, v12
	s_delay_alu instid0(VALU_DEP_1) | instskip(NEXT) | instid1(VALU_DEP_1)
	v_fmac_f32_e32 v11, v13, v5
	v_fma_f32 v4, -v4, v11, v12
	s_delay_alu instid0(VALU_DEP_1) | instskip(NEXT) | instid1(VALU_DEP_1)
	v_div_fmas_f32 v4, v4, v5, v11
	v_div_fixup_f32 v3, v4, v2, v3
	s_delay_alu instid0(VALU_DEP_1) | instskip(NEXT) | instid1(VALU_DEP_1)
	v_fma_f32 v3, v3, v3, 1.0
	v_mul_f32_e32 v4, 0x4f800000, v3
	v_cmp_gt_f32_e32 vcc_lo, 0xf800000, v3
	s_delay_alu instid0(VALU_DEP_2) | instskip(NEXT) | instid1(VALU_DEP_1)
	v_cndmask_b32_e32 v3, v3, v4, vcc_lo
	v_sqrt_f32_e32 v4, v3
	s_waitcnt_depctr 0xfff
	v_add_nc_u32_e32 v5, -1, v4
	v_add_nc_u32_e32 v11, 1, v4
	s_delay_alu instid0(VALU_DEP_2) | instskip(NEXT) | instid1(VALU_DEP_2)
	v_fma_f32 v12, -v5, v4, v3
	v_fma_f32 v13, -v11, v4, v3
	s_delay_alu instid0(VALU_DEP_2) | instskip(NEXT) | instid1(VALU_DEP_1)
	v_cmp_ge_f32_e64 s0, 0, v12
	v_cndmask_b32_e64 v4, v4, v5, s0
	s_delay_alu instid0(VALU_DEP_3) | instskip(NEXT) | instid1(VALU_DEP_1)
	v_cmp_lt_f32_e64 s0, 0, v13
	v_cndmask_b32_e64 v4, v4, v11, s0
	s_delay_alu instid0(VALU_DEP_1) | instskip(NEXT) | instid1(VALU_DEP_1)
	v_mul_f32_e32 v5, 0x37800000, v4
	v_cndmask_b32_e32 v4, v4, v5, vcc_lo
	v_cmp_class_f32_e64 vcc_lo, v3, 0x260
	s_delay_alu instid0(VALU_DEP_2) | instskip(NEXT) | instid1(VALU_DEP_1)
	v_cndmask_b32_e32 v3, v4, v3, vcc_lo
	v_mul_f32_e32 v4, v2, v3
.LBB41_48:
	s_delay_alu instid0(VALU_DEP_1) | instskip(SKIP_1) | instid1(VALU_DEP_2)
	v_mul_f32_e32 v2, 0x4f800000, v4
	v_cmp_gt_f32_e32 vcc_lo, 0xf800000, v4
	v_cndmask_b32_e32 v2, v4, v2, vcc_lo
	s_delay_alu instid0(VALU_DEP_1) | instskip(SKIP_3) | instid1(VALU_DEP_2)
	v_sqrt_f32_e32 v3, v2
	s_waitcnt_depctr 0xfff
	v_add_nc_u32_e32 v4, -1, v3
	v_add_nc_u32_e32 v5, 1, v3
	v_fma_f32 v11, -v4, v3, v2
	s_delay_alu instid0(VALU_DEP_2) | instskip(NEXT) | instid1(VALU_DEP_2)
	v_fma_f32 v12, -v5, v3, v2
	v_cmp_ge_f32_e64 s0, 0, v11
	s_delay_alu instid0(VALU_DEP_1) | instskip(NEXT) | instid1(VALU_DEP_3)
	v_cndmask_b32_e64 v3, v3, v4, s0
	v_cmp_lt_f32_e64 s0, 0, v12
	s_delay_alu instid0(VALU_DEP_1) | instskip(NEXT) | instid1(VALU_DEP_1)
	v_cndmask_b32_e64 v3, v3, v5, s0
	v_mul_f32_e32 v4, 0x37800000, v3
	s_delay_alu instid0(VALU_DEP_1) | instskip(SKIP_1) | instid1(VALU_DEP_2)
	v_cndmask_b32_e32 v3, v3, v4, vcc_lo
	v_cmp_class_f32_e64 vcc_lo, v2, 0x260
	v_dual_cndmask_b32 v2, v3, v2 :: v_dual_mov_b32 v3, 0
	ds_store_b64 v3, v[2:3] offset:480
.LBB41_49:
	s_or_b32 exec_lo, exec_lo, s2
	v_dual_mov_b32 v3, 0 :: v_dual_add_nc_u32 v2, 0x1e0, v10
	s_waitcnt lgkmcnt(0)
	buffer_gl0_inv
	v_cmp_ne_u32_e64 s0, 0, v8
	ds_load_b64 v[3:4], v3 offset:480
	s_waitcnt lgkmcnt(0)
	v_cmp_neq_f32_e32 vcc_lo, 0, v3
	v_cmp_neq_f32_e64 s2, 0, v4
	s_delay_alu instid0(VALU_DEP_1) | instskip(SKIP_3) | instid1(SALU_CYCLE_1)
	s_or_b32 vcc_lo, vcc_lo, s2
	s_add_i32 s2, s16, s17
	v_dual_cndmask_b32 v3, 1.0, v3 :: v_dual_cndmask_b32 v4, 0, v4
	s_or_b32 s3, vcc_lo, s0
	s_xor_b32 s4, s3, -1
	s_delay_alu instid0(SALU_CYCLE_1)
	s_and_saveexec_b32 s3, s4
	s_cbranch_execz .LBB41_53
; %bb.50:
	v_mbcnt_lo_u32_b32 v3, exec_lo, 0
	s_mov_b32 s4, exec_lo
	s_delay_alu instid0(VALU_DEP_1)
	v_cmpx_eq_u32_e32 0, v3
	s_cbranch_execz .LBB41_52
; %bb.51:
	v_dual_mov_b32 v3, 0 :: v_dual_mov_b32 v4, s2
	global_atomic_min_i32 v3, v4, s[10:11]
.LBB41_52:
	s_or_b32 exec_lo, exec_lo, s4
	v_dual_mov_b32 v3, 1.0 :: v_dual_mov_b32 v4, 0
.LBB41_53:
	s_or_b32 exec_lo, exec_lo, s3
	s_and_saveexec_b32 s3, s1
	s_cbranch_execz .LBB41_55
; %bb.54:
	v_mul_u32_u24_e32 v16, 24, v7
	ds_load_2addr_b64 v[10:13], v16 offset0:60 offset1:66
	s_waitcnt lgkmcnt(0)
	v_dual_sub_f32 v11, v11, v13 :: v_dual_sub_f32 v10, v10, v12
	s_delay_alu instid0(VALU_DEP_1) | instskip(SKIP_1) | instid1(VALU_DEP_3)
	v_mul_f32_e32 v12, v4, v11
	v_mul_f32_e32 v5, v4, v4
	v_mul_f32_e64 v4, v4, -v10
	s_delay_alu instid0(VALU_DEP_3) | instskip(NEXT) | instid1(VALU_DEP_3)
	v_fmac_f32_e32 v12, v10, v3
	v_fmac_f32_e32 v5, v3, v3
	s_delay_alu instid0(VALU_DEP_3) | instskip(NEXT) | instid1(VALU_DEP_2)
	v_fmac_f32_e32 v4, v11, v3
	v_div_scale_f32 v14, null, v5, v5, 1.0
	v_div_scale_f32 v18, vcc_lo, 1.0, v5, 1.0
	s_delay_alu instid0(VALU_DEP_2) | instskip(SKIP_2) | instid1(VALU_DEP_1)
	v_rcp_f32_e32 v15, v14
	s_waitcnt_depctr 0xfff
	v_fma_f32 v17, -v14, v15, 1.0
	v_fmac_f32_e32 v15, v17, v15
	s_delay_alu instid0(VALU_DEP_1) | instskip(NEXT) | instid1(VALU_DEP_1)
	v_mul_f32_e32 v17, v18, v15
	v_fma_f32 v19, -v14, v17, v18
	s_delay_alu instid0(VALU_DEP_1) | instskip(NEXT) | instid1(VALU_DEP_1)
	v_fmac_f32_e32 v17, v19, v15
	v_fma_f32 v13, -v14, v17, v18
	s_delay_alu instid0(VALU_DEP_1) | instskip(NEXT) | instid1(VALU_DEP_1)
	v_div_fmas_f32 v13, v13, v15, v17
	v_div_fixup_f32 v5, v13, v5, 1.0
	s_delay_alu instid0(VALU_DEP_1)
	v_mul_f32_e32 v3, v5, v12
	v_mul_f32_e32 v4, v5, v4
	v_mul_u32_u24_e32 v5, 24, v6
	ds_store_b64 v16, v[3:4] offset:480
	s_waitcnt lgkmcnt(0)
	s_waitcnt_vscnt null, 0x0
	buffer_gl0_inv
	ds_load_b64 v[10:11], v5 offset:480
	ds_load_b64 v[12:13], v9
	s_waitcnt lgkmcnt(0)
	v_fma_f32 v12, v3, v10, v12
	v_fmac_f32_e32 v13, v4, v10
	s_delay_alu instid0(VALU_DEP_2) | instskip(NEXT) | instid1(VALU_DEP_2)
	v_fmac_f32_e32 v12, v4, v11
	v_fma_f32 v13, v3, -v11, v13
	ds_store_b64 v9, v[12:13]
.LBB41_55:
	s_or_b32 exec_lo, exec_lo, s3
	s_delay_alu instid0(SALU_CYCLE_1)
	s_mov_b32 s3, exec_lo
	s_waitcnt lgkmcnt(0)
	s_waitcnt_vscnt null, 0x0
	buffer_gl0_inv
	v_cmpx_eq_u32_e32 1, v7
	s_cbranch_execz .LBB41_63
; %bb.56:
	v_mov_b32_e32 v5, 0
	ds_load_2addr_b64 v[10:13], v5 offset0:64 offset1:70
	s_waitcnt lgkmcnt(0)
	v_dual_sub_f32 v3, v10, v12 :: v_dual_sub_f32 v10, v11, v13
	s_delay_alu instid0(VALU_DEP_1) | instskip(SKIP_1) | instid1(VALU_DEP_3)
	v_cmp_gt_f32_e32 vcc_lo, 0, v3
	v_cndmask_b32_e64 v3, v3, -v3, vcc_lo
	v_cmp_gt_f32_e32 vcc_lo, 0, v10
	v_cndmask_b32_e64 v4, v10, -v10, vcc_lo
	s_delay_alu instid0(VALU_DEP_1)
	v_cmp_gt_f32_e32 vcc_lo, v3, v4
	s_cbranch_vccnz .LBB41_60
; %bb.57:
	v_cmp_eq_f32_e32 vcc_lo, 0, v10
	s_cbranch_vccnz .LBB41_59
; %bb.58:
	v_div_scale_f32 v5, null, v4, v4, v3
	v_div_scale_f32 v12, vcc_lo, v3, v4, v3
	s_delay_alu instid0(VALU_DEP_2) | instskip(SKIP_2) | instid1(VALU_DEP_1)
	v_rcp_f32_e32 v10, v5
	s_waitcnt_depctr 0xfff
	v_fma_f32 v11, -v5, v10, 1.0
	v_fmac_f32_e32 v10, v11, v10
	s_delay_alu instid0(VALU_DEP_1) | instskip(NEXT) | instid1(VALU_DEP_1)
	v_mul_f32_e32 v11, v12, v10
	v_fma_f32 v13, -v5, v11, v12
	s_delay_alu instid0(VALU_DEP_1) | instskip(NEXT) | instid1(VALU_DEP_1)
	v_fmac_f32_e32 v11, v13, v10
	v_fma_f32 v5, -v5, v11, v12
	s_delay_alu instid0(VALU_DEP_1) | instskip(NEXT) | instid1(VALU_DEP_1)
	v_div_fmas_f32 v5, v5, v10, v11
	v_div_fixup_f32 v5, v5, v4, v3
	s_delay_alu instid0(VALU_DEP_1) | instskip(NEXT) | instid1(VALU_DEP_1)
	v_fma_f32 v5, v5, v5, 1.0
	v_mul_f32_e32 v10, 0x4f800000, v5
	v_cmp_gt_f32_e32 vcc_lo, 0xf800000, v5
	s_delay_alu instid0(VALU_DEP_2) | instskip(NEXT) | instid1(VALU_DEP_1)
	v_cndmask_b32_e32 v5, v5, v10, vcc_lo
	v_sqrt_f32_e32 v10, v5
	s_waitcnt_depctr 0xfff
	v_add_nc_u32_e32 v11, -1, v10
	v_add_nc_u32_e32 v12, 1, v10
	s_delay_alu instid0(VALU_DEP_2) | instskip(NEXT) | instid1(VALU_DEP_2)
	v_fma_f32 v13, -v11, v10, v5
	v_fma_f32 v14, -v12, v10, v5
	s_delay_alu instid0(VALU_DEP_2) | instskip(NEXT) | instid1(VALU_DEP_1)
	v_cmp_ge_f32_e64 s1, 0, v13
	v_cndmask_b32_e64 v10, v10, v11, s1
	s_delay_alu instid0(VALU_DEP_3) | instskip(NEXT) | instid1(VALU_DEP_1)
	v_cmp_lt_f32_e64 s1, 0, v14
	v_cndmask_b32_e64 v10, v10, v12, s1
	s_delay_alu instid0(VALU_DEP_1) | instskip(NEXT) | instid1(VALU_DEP_1)
	v_mul_f32_e32 v11, 0x37800000, v10
	v_cndmask_b32_e32 v10, v10, v11, vcc_lo
	v_cmp_class_f32_e64 vcc_lo, v5, 0x260
	s_delay_alu instid0(VALU_DEP_2) | instskip(NEXT) | instid1(VALU_DEP_1)
	v_cndmask_b32_e32 v5, v10, v5, vcc_lo
	v_mul_f32_e32 v5, v4, v5
.LBB41_59:
	s_cbranch_execz .LBB41_61
	s_branch .LBB41_62
.LBB41_60:
                                        ; implicit-def: $vgpr5
.LBB41_61:
	v_div_scale_f32 v5, null, v3, v3, v4
	v_div_scale_f32 v12, vcc_lo, v4, v3, v4
	s_delay_alu instid0(VALU_DEP_2) | instskip(SKIP_2) | instid1(VALU_DEP_1)
	v_rcp_f32_e32 v10, v5
	s_waitcnt_depctr 0xfff
	v_fma_f32 v11, -v5, v10, 1.0
	v_fmac_f32_e32 v10, v11, v10
	s_delay_alu instid0(VALU_DEP_1) | instskip(NEXT) | instid1(VALU_DEP_1)
	v_mul_f32_e32 v11, v12, v10
	v_fma_f32 v13, -v5, v11, v12
	s_delay_alu instid0(VALU_DEP_1) | instskip(NEXT) | instid1(VALU_DEP_1)
	v_fmac_f32_e32 v11, v13, v10
	v_fma_f32 v5, -v5, v11, v12
	s_delay_alu instid0(VALU_DEP_1) | instskip(NEXT) | instid1(VALU_DEP_1)
	v_div_fmas_f32 v5, v5, v10, v11
	v_div_fixup_f32 v4, v5, v3, v4
	s_delay_alu instid0(VALU_DEP_1) | instskip(NEXT) | instid1(VALU_DEP_1)
	v_fma_f32 v4, v4, v4, 1.0
	v_mul_f32_e32 v5, 0x4f800000, v4
	v_cmp_gt_f32_e32 vcc_lo, 0xf800000, v4
	s_delay_alu instid0(VALU_DEP_2) | instskip(NEXT) | instid1(VALU_DEP_1)
	v_cndmask_b32_e32 v4, v4, v5, vcc_lo
	v_sqrt_f32_e32 v5, v4
	s_waitcnt_depctr 0xfff
	v_add_nc_u32_e32 v10, -1, v5
	v_add_nc_u32_e32 v11, 1, v5
	s_delay_alu instid0(VALU_DEP_2) | instskip(NEXT) | instid1(VALU_DEP_2)
	v_fma_f32 v12, -v10, v5, v4
	v_fma_f32 v13, -v11, v5, v4
	s_delay_alu instid0(VALU_DEP_2) | instskip(NEXT) | instid1(VALU_DEP_1)
	v_cmp_ge_f32_e64 s1, 0, v12
	v_cndmask_b32_e64 v5, v5, v10, s1
	s_delay_alu instid0(VALU_DEP_3) | instskip(NEXT) | instid1(VALU_DEP_1)
	v_cmp_lt_f32_e64 s1, 0, v13
	v_cndmask_b32_e64 v5, v5, v11, s1
	s_delay_alu instid0(VALU_DEP_1) | instskip(NEXT) | instid1(VALU_DEP_1)
	v_mul_f32_e32 v10, 0x37800000, v5
	v_cndmask_b32_e32 v5, v5, v10, vcc_lo
	v_cmp_class_f32_e64 vcc_lo, v4, 0x260
	s_delay_alu instid0(VALU_DEP_2) | instskip(NEXT) | instid1(VALU_DEP_1)
	v_cndmask_b32_e32 v4, v5, v4, vcc_lo
	v_mul_f32_e32 v5, v3, v4
.LBB41_62:
	s_delay_alu instid0(VALU_DEP_1) | instskip(SKIP_1) | instid1(VALU_DEP_2)
	v_mul_f32_e32 v3, 0x4f800000, v5
	v_cmp_gt_f32_e32 vcc_lo, 0xf800000, v5
	v_cndmask_b32_e32 v3, v5, v3, vcc_lo
	s_delay_alu instid0(VALU_DEP_1) | instskip(SKIP_3) | instid1(VALU_DEP_2)
	v_sqrt_f32_e32 v4, v3
	s_waitcnt_depctr 0xfff
	v_add_nc_u32_e32 v5, -1, v4
	v_add_nc_u32_e32 v10, 1, v4
	v_fma_f32 v11, -v5, v4, v3
	s_delay_alu instid0(VALU_DEP_2) | instskip(NEXT) | instid1(VALU_DEP_2)
	v_fma_f32 v12, -v10, v4, v3
	v_cmp_ge_f32_e64 s1, 0, v11
	s_delay_alu instid0(VALU_DEP_1) | instskip(NEXT) | instid1(VALU_DEP_3)
	v_cndmask_b32_e64 v4, v4, v5, s1
	v_cmp_lt_f32_e64 s1, 0, v12
	s_delay_alu instid0(VALU_DEP_1) | instskip(NEXT) | instid1(VALU_DEP_1)
	v_cndmask_b32_e64 v4, v4, v10, s1
	v_mul_f32_e32 v5, 0x37800000, v4
	s_delay_alu instid0(VALU_DEP_1) | instskip(SKIP_1) | instid1(VALU_DEP_2)
	v_cndmask_b32_e32 v4, v4, v5, vcc_lo
	v_cmp_class_f32_e64 vcc_lo, v3, 0x260
	v_dual_cndmask_b32 v3, v4, v3 :: v_dual_mov_b32 v4, 0
	ds_store_b64 v4, v[3:4] offset:512
.LBB41_63:
	s_or_b32 exec_lo, exec_lo, s3
	v_mov_b32_e32 v3, 0
	s_waitcnt lgkmcnt(0)
	buffer_gl0_inv
	ds_load_b64 v[3:4], v3 offset:512
	s_waitcnt lgkmcnt(0)
	v_cmp_neq_f32_e32 vcc_lo, 0, v3
	v_cmp_neq_f32_e64 s1, 0, v4
	s_delay_alu instid0(VALU_DEP_1) | instskip(SKIP_2) | instid1(SALU_CYCLE_1)
	s_or_b32 vcc_lo, vcc_lo, s1
	v_dual_cndmask_b32 v4, 0, v4 :: v_dual_cndmask_b32 v3, 1.0, v3
	s_or_b32 s0, vcc_lo, s0
	s_xor_b32 s1, s0, -1
	s_delay_alu instid0(SALU_CYCLE_1)
	s_and_saveexec_b32 s0, s1
	s_cbranch_execz .LBB41_67
; %bb.64:
	v_mbcnt_lo_u32_b32 v3, exec_lo, 0
	s_mov_b32 s1, exec_lo
	s_delay_alu instid0(VALU_DEP_1)
	v_cmpx_eq_u32_e32 0, v3
	s_cbranch_execz .LBB41_66
; %bb.65:
	v_dual_mov_b32 v3, 0 :: v_dual_mov_b32 v4, s2
	global_atomic_min_i32 v3, v4, s[10:11]
.LBB41_66:
	s_or_b32 exec_lo, exec_lo, s1
	v_dual_mov_b32 v3, 1.0 :: v_dual_mov_b32 v4, 0
.LBB41_67:
	s_or_b32 exec_lo, exec_lo, s0
	s_delay_alu instid0(SALU_CYCLE_1)
	s_mov_b32 s0, exec_lo
	v_cmpx_lt_u32_e32 1, v7
	s_cbranch_execz .LBB41_69
; %bb.68:
	v_mul_u32_u24_e32 v16, 24, v7
	ds_load_2addr_b64 v[10:13], v16 offset0:61 offset1:67
	s_waitcnt lgkmcnt(0)
	v_dual_sub_f32 v11, v11, v13 :: v_dual_sub_f32 v10, v10, v12
	s_delay_alu instid0(VALU_DEP_1) | instskip(SKIP_1) | instid1(VALU_DEP_3)
	v_mul_f32_e32 v12, v4, v11
	v_mul_f32_e32 v5, v4, v4
	v_mul_f32_e64 v4, v4, -v10
	s_delay_alu instid0(VALU_DEP_3) | instskip(NEXT) | instid1(VALU_DEP_3)
	v_fmac_f32_e32 v12, v10, v3
	v_fmac_f32_e32 v5, v3, v3
	s_delay_alu instid0(VALU_DEP_3) | instskip(NEXT) | instid1(VALU_DEP_2)
	v_fmac_f32_e32 v4, v11, v3
	v_div_scale_f32 v14, null, v5, v5, 1.0
	v_div_scale_f32 v18, vcc_lo, 1.0, v5, 1.0
	s_delay_alu instid0(VALU_DEP_2) | instskip(SKIP_2) | instid1(VALU_DEP_1)
	v_rcp_f32_e32 v15, v14
	s_waitcnt_depctr 0xfff
	v_fma_f32 v17, -v14, v15, 1.0
	v_fmac_f32_e32 v15, v17, v15
	s_delay_alu instid0(VALU_DEP_1) | instskip(NEXT) | instid1(VALU_DEP_1)
	v_mul_f32_e32 v17, v18, v15
	v_fma_f32 v19, -v14, v17, v18
	s_delay_alu instid0(VALU_DEP_1) | instskip(NEXT) | instid1(VALU_DEP_1)
	v_fmac_f32_e32 v17, v19, v15
	v_fma_f32 v13, -v14, v17, v18
	s_delay_alu instid0(VALU_DEP_1) | instskip(NEXT) | instid1(VALU_DEP_1)
	v_div_fmas_f32 v13, v13, v15, v17
	v_div_fixup_f32 v5, v13, v5, 1.0
	s_delay_alu instid0(VALU_DEP_1)
	v_mul_f32_e32 v3, v5, v12
	v_mul_f32_e32 v4, v5, v4
	v_mul_u32_u24_e32 v5, 24, v6
	ds_store_b64 v16, v[3:4] offset:488
	s_waitcnt lgkmcnt(0)
	s_waitcnt_vscnt null, 0x0
	buffer_gl0_inv
	ds_load_b64 v[10:11], v5 offset:488
	ds_load_b64 v[12:13], v9
	s_waitcnt lgkmcnt(0)
	v_fma_f32 v12, v3, v10, v12
	v_fmac_f32_e32 v13, v4, v10
	s_delay_alu instid0(VALU_DEP_2) | instskip(NEXT) | instid1(VALU_DEP_2)
	v_fmac_f32_e32 v12, v4, v11
	v_fma_f32 v13, v3, -v11, v13
	ds_store_b64 v9, v[12:13]
.LBB41_69:
	s_or_b32 exec_lo, exec_lo, s0
	s_waitcnt lgkmcnt(0)
	s_waitcnt_vscnt null, 0x0
	buffer_gl0_inv
	ds_load_b64 v[2:3], v2
	v_cmp_eq_u32_e64 s3, 0, v8
	s_waitcnt lgkmcnt(0)
	global_store_b64 v[0:1], v[2:3], off
	s_branch .LBB41_75
.LBB41_70:
	v_or_b32_e32 v0, v6, v7
	s_mov_b32 s0, exec_lo
	s_delay_alu instid0(VALU_DEP_1)
	v_cmpx_eq_u32_e32 0, v0
	s_cbranch_execz .LBB41_74
; %bb.71:
	v_mbcnt_lo_u32_b32 v0, exec_lo, 0
	s_mov_b32 s1, exec_lo
	s_delay_alu instid0(VALU_DEP_1)
	v_cmpx_eq_u32_e32 0, v0
	s_cbranch_execz .LBB41_73
; %bb.72:
	s_add_i32 s2, s16, s17
	s_delay_alu instid0(SALU_CYCLE_1)
	v_dual_mov_b32 v0, 0 :: v_dual_mov_b32 v1, s2
	global_atomic_min_i32 v0, v1, s[10:11]
.LBB41_73:
	s_or_b32 exec_lo, exec_lo, s1
	s_delay_alu instid0(SALU_CYCLE_1)
	s_or_b32 s3, s3, exec_lo
.LBB41_74:
	s_or_b32 exec_lo, exec_lo, s0
.LBB41_75:
	s_and_saveexec_b32 s0, s3
	s_cbranch_execnz .LBB41_77
; %bb.76:
	s_nop 0
	s_sendmsg sendmsg(MSG_DEALLOC_VGPRS)
	s_endpgm
.LBB41_77:
	v_dual_mov_b32 v0, 0 :: v_dual_mov_b32 v1, 1
	s_add_u32 s0, s6, s8
	s_addc_u32 s1, s7, s9
	s_waitcnt_vscnt null, 0x0
	global_store_b32 v0, v1, s[0:1]
	s_nop 0
	s_sendmsg sendmsg(MSG_DEALLOC_VGPRS)
	s_endpgm
	.section	.rodata,"a",@progbits
	.p2align	6, 0x0
	.amdhsa_kernel _ZN9rocsparseL26bsric0_2_8_unrolled_kernelILi4ELi32ELi2E21rocsparse_complex_numIfEEEv20rocsparse_direction_iiPKiS5_PT2_S5_PiS5_S8_21rocsparse_index_base_
		.amdhsa_group_segment_fixed_size 576
		.amdhsa_private_segment_fixed_size 0
		.amdhsa_kernarg_size 76
		.amdhsa_user_sgpr_count 15
		.amdhsa_user_sgpr_dispatch_ptr 0
		.amdhsa_user_sgpr_queue_ptr 0
		.amdhsa_user_sgpr_kernarg_segment_ptr 1
		.amdhsa_user_sgpr_dispatch_id 0
		.amdhsa_user_sgpr_private_segment_size 0
		.amdhsa_wavefront_size32 1
		.amdhsa_uses_dynamic_stack 0
		.amdhsa_enable_private_segment 0
		.amdhsa_system_sgpr_workgroup_id_x 1
		.amdhsa_system_sgpr_workgroup_id_y 0
		.amdhsa_system_sgpr_workgroup_id_z 0
		.amdhsa_system_sgpr_workgroup_info 0
		.amdhsa_system_vgpr_workitem_id 1
		.amdhsa_next_free_vgpr 35
		.amdhsa_next_free_sgpr 37
		.amdhsa_reserve_vcc 1
		.amdhsa_float_round_mode_32 0
		.amdhsa_float_round_mode_16_64 0
		.amdhsa_float_denorm_mode_32 3
		.amdhsa_float_denorm_mode_16_64 3
		.amdhsa_dx10_clamp 1
		.amdhsa_ieee_mode 1
		.amdhsa_fp16_overflow 0
		.amdhsa_workgroup_processor_mode 1
		.amdhsa_memory_ordered 1
		.amdhsa_forward_progress 0
		.amdhsa_shared_vgpr_count 0
		.amdhsa_exception_fp_ieee_invalid_op 0
		.amdhsa_exception_fp_denorm_src 0
		.amdhsa_exception_fp_ieee_div_zero 0
		.amdhsa_exception_fp_ieee_overflow 0
		.amdhsa_exception_fp_ieee_underflow 0
		.amdhsa_exception_fp_ieee_inexact 0
		.amdhsa_exception_int_div_zero 0
	.end_amdhsa_kernel
	.section	.text._ZN9rocsparseL26bsric0_2_8_unrolled_kernelILi4ELi32ELi2E21rocsparse_complex_numIfEEEv20rocsparse_direction_iiPKiS5_PT2_S5_PiS5_S8_21rocsparse_index_base_,"axG",@progbits,_ZN9rocsparseL26bsric0_2_8_unrolled_kernelILi4ELi32ELi2E21rocsparse_complex_numIfEEEv20rocsparse_direction_iiPKiS5_PT2_S5_PiS5_S8_21rocsparse_index_base_,comdat
.Lfunc_end41:
	.size	_ZN9rocsparseL26bsric0_2_8_unrolled_kernelILi4ELi32ELi2E21rocsparse_complex_numIfEEEv20rocsparse_direction_iiPKiS5_PT2_S5_PiS5_S8_21rocsparse_index_base_, .Lfunc_end41-_ZN9rocsparseL26bsric0_2_8_unrolled_kernelILi4ELi32ELi2E21rocsparse_complex_numIfEEEv20rocsparse_direction_iiPKiS5_PT2_S5_PiS5_S8_21rocsparse_index_base_
                                        ; -- End function
	.section	.AMDGPU.csdata,"",@progbits
; Kernel info:
; codeLenInByte = 5140
; NumSgprs: 39
; NumVgprs: 35
; ScratchSize: 0
; MemoryBound: 0
; FloatMode: 240
; IeeeMode: 1
; LDSByteSize: 576 bytes/workgroup (compile time only)
; SGPRBlocks: 4
; VGPRBlocks: 4
; NumSGPRsForWavesPerEU: 39
; NumVGPRsForWavesPerEU: 35
; Occupancy: 16
; WaveLimiterHint : 1
; COMPUTE_PGM_RSRC2:SCRATCH_EN: 0
; COMPUTE_PGM_RSRC2:USER_SGPR: 15
; COMPUTE_PGM_RSRC2:TRAP_HANDLER: 0
; COMPUTE_PGM_RSRC2:TGID_X_EN: 1
; COMPUTE_PGM_RSRC2:TGID_Y_EN: 0
; COMPUTE_PGM_RSRC2:TGID_Z_EN: 0
; COMPUTE_PGM_RSRC2:TIDIG_COMP_CNT: 1
	.section	.text._ZN9rocsparseL26bsric0_2_8_unrolled_kernelILi9ELi32ELi3E21rocsparse_complex_numIfEEEv20rocsparse_direction_iiPKiS5_PT2_S5_PiS5_S8_21rocsparse_index_base_,"axG",@progbits,_ZN9rocsparseL26bsric0_2_8_unrolled_kernelILi9ELi32ELi3E21rocsparse_complex_numIfEEEv20rocsparse_direction_iiPKiS5_PT2_S5_PiS5_S8_21rocsparse_index_base_,comdat
	.globl	_ZN9rocsparseL26bsric0_2_8_unrolled_kernelILi9ELi32ELi3E21rocsparse_complex_numIfEEEv20rocsparse_direction_iiPKiS5_PT2_S5_PiS5_S8_21rocsparse_index_base_ ; -- Begin function _ZN9rocsparseL26bsric0_2_8_unrolled_kernelILi9ELi32ELi3E21rocsparse_complex_numIfEEEv20rocsparse_direction_iiPKiS5_PT2_S5_PiS5_S8_21rocsparse_index_base_
	.p2align	8
	.type	_ZN9rocsparseL26bsric0_2_8_unrolled_kernelILi9ELi32ELi3E21rocsparse_complex_numIfEEEv20rocsparse_direction_iiPKiS5_PT2_S5_PiS5_S8_21rocsparse_index_base_,@function
_ZN9rocsparseL26bsric0_2_8_unrolled_kernelILi9ELi32ELi3E21rocsparse_complex_numIfEEEv20rocsparse_direction_iiPKiS5_PT2_S5_PiS5_S8_21rocsparse_index_base_: ; @_ZN9rocsparseL26bsric0_2_8_unrolled_kernelILi9ELi32ELi3E21rocsparse_complex_numIfEEEv20rocsparse_direction_iiPKiS5_PT2_S5_PiS5_S8_21rocsparse_index_base_
; %bb.0:
	s_load_b256 s[4:11], s[0:1], 0x28
	s_mov_b32 s2, s15
	s_mov_b32 s3, 0
	v_and_b32_e32 v8, 0x3ff, v0
	s_lshl_b64 s[12:13], s[2:3], 2
	v_bfe_u32 v9, v0, 10, 10
	s_waitcnt lgkmcnt(0)
	s_add_u32 s8, s8, s12
	s_addc_u32 s9, s9, s13
	s_load_b32 s16, s[8:9], 0x0
	s_waitcnt lgkmcnt(0)
	s_ashr_i32 s17, s16, 31
	s_delay_alu instid0(SALU_CYCLE_1) | instskip(NEXT) | instid1(SALU_CYCLE_1)
	s_lshl_b64 s[8:9], s[16:17], 2
	s_add_u32 s12, s4, s8
	s_addc_u32 s13, s5, s9
	s_load_b32 s26, s[12:13], 0x0
	s_load_b32 s17, s[0:1], 0x48
	s_waitcnt lgkmcnt(0)
	s_cmp_lg_u32 s26, -1
	s_cbranch_scc0 .LBB42_48
; %bb.1:
	s_clause 0x1
	s_load_b128 s[12:15], s[0:1], 0x10
	s_load_b64 s[18:19], s[0:1], 0x20
	v_mad_u32_u24 v10, v9, 3, v8
	s_waitcnt lgkmcnt(0)
	s_add_u32 s2, s12, s8
	s_addc_u32 s3, s13, s9
	s_load_b32 s2, s[2:3], 0x0
	s_mov_b32 s3, exec_lo
	s_waitcnt lgkmcnt(0)
	s_sub_i32 s27, s2, s17
	s_delay_alu instid0(SALU_CYCLE_1) | instskip(NEXT) | instid1(VALU_DEP_1)
	v_add_nc_u32_e32 v0, s27, v10
	v_cmpx_ge_i32_e64 s26, v0
	s_cbranch_execz .LBB42_4
; %bb.2:
	v_ashrrev_i32_e32 v1, 31, v0
	v_lshl_add_u32 v3, v10, 2, 0x100
	s_mov_b32 s20, 0
	s_delay_alu instid0(VALU_DEP_2) | instskip(NEXT) | instid1(VALU_DEP_1)
	v_lshlrev_b64 v[1:2], 2, v[0:1]
	v_add_co_u32 v1, vcc_lo, s14, v1
	s_delay_alu instid0(VALU_DEP_2)
	v_add_co_ci_u32_e32 v2, vcc_lo, s15, v2, vcc_lo
.LBB42_3:                               ; =>This Inner Loop Header: Depth=1
	global_load_b32 v4, v[1:2], off
	v_add_nc_u32_e32 v0, 9, v0
	v_add_co_u32 v1, vcc_lo, v1, 36
	v_add_co_ci_u32_e32 v2, vcc_lo, 0, v2, vcc_lo
	s_delay_alu instid0(VALU_DEP_3) | instskip(NEXT) | instid1(VALU_DEP_1)
	v_cmp_lt_i32_e64 s2, s26, v0
	s_or_b32 s20, s2, s20
	s_waitcnt vmcnt(0)
	v_subrev_nc_u32_e32 v4, s17, v4
	ds_store_b32 v3, v4
	v_add_nc_u32_e32 v3, 36, v3
	s_and_not1_b32 exec_lo, exec_lo, s20
	s_cbranch_execnz .LBB42_3
.LBB42_4:
	s_or_b32 exec_lo, exec_lo, s3
	s_load_b32 s28, s[0:1], 0x0
	v_mov_b32_e32 v0, 0
	v_lshlrev_b32_e32 v2, 3, v8
	v_mul_u32_u24_e32 v14, 3, v9
	v_mad_u32_u24 v11, v8, 3, v9
	s_cmp_ge_i32 s27, s26
	v_mov_b32_e32 v1, v0
	v_lshl_add_u32 v13, v9, 5, v2
	s_delay_alu instid0(VALU_DEP_1)
	v_add_nc_u32_e32 v12, 0x2a0, v13
	ds_store_b64 v13, v[0:1] offset:672
	s_waitcnt lgkmcnt(0)
	buffer_gl0_inv
	s_cbranch_scc1 .LBB42_42
; %bb.5:
	v_lshlrev_b32_e32 v1, 5, v9
	s_cmp_eq_u32 s28, 0
	v_mad_u32_u24 v3, v8, 3, v9
	v_or_b32_e32 v4, v8, v9
	s_cselect_b32 vcc_lo, -1, 0
	v_add_nc_u32_e32 v16, 0x240, v1
	v_add_nc_u32_e32 v17, 0x1e0, v1
	v_mul_u32_u24_e32 v15, 3, v8
	v_add3_u32 v18, v1, v2, 0x180
	v_cndmask_b32_e32 v1, v3, v10, vcc_lo
	v_add_nc_u32_e32 v19, v16, v2
	v_add_nc_u32_e32 v20, v17, v2
	v_cmp_ne_u32_e64 s0, 0, v4
	v_lshl_add_u32 v21, v8, 5, 0x240
	s_cmp_lg_u32 s28, 0
	s_mov_b32 s2, s27
	s_cselect_b32 s29, -1, 0
	s_branch .LBB42_9
.LBB42_6:                               ;   in Loop: Header=BB42_9 Depth=1
	s_or_b32 exec_lo, exec_lo, s20
	v_dual_mov_b32 v6, 1.0 :: v_dual_mov_b32 v7, 0
.LBB42_7:                               ;   in Loop: Header=BB42_9 Depth=1
	s_or_b32 exec_lo, exec_lo, s1
	ds_load_b128 v[22:25], v0 offset:448
	ds_load_b128 v[26:29], v16
	ds_load_b64 v[30:31], v17 offset:16
	s_add_i32 s2, s2, 1
	s_delay_alu instid0(SALU_CYCLE_1) | instskip(SKIP_4) | instid1(VALU_DEP_2)
	s_cmp_ge_i32 s2, s26
	s_cselect_b32 s23, -1, 0
	s_waitcnt lgkmcnt(0)
	v_fma_f32 v31, v23, v26, v31
	v_fmac_f32_e32 v30, v22, v26
	v_fma_f32 v22, v22, -v27, v31
	s_delay_alu instid0(VALU_DEP_2) | instskip(NEXT) | instid1(VALU_DEP_2)
	v_fmac_f32_e32 v30, v23, v27
	v_fmac_f32_e32 v22, v25, v28
	s_delay_alu instid0(VALU_DEP_1) | instskip(NEXT) | instid1(VALU_DEP_1)
	v_fma_f32 v22, v24, -v29, v22
	v_dual_mul_f32 v32, v7, v7 :: v_dual_sub_f32 v5, v5, v22
	s_delay_alu instid0(VALU_DEP_1) | instskip(SKIP_1) | instid1(VALU_DEP_2)
	v_fmac_f32_e32 v32, v6, v6
	v_fmac_f32_e32 v30, v24, v28
	v_div_scale_f32 v33, null, v32, v32, 1.0
	v_div_scale_f32 v36, vcc_lo, 1.0, v32, 1.0
	s_delay_alu instid0(VALU_DEP_3) | instskip(NEXT) | instid1(VALU_DEP_3)
	v_fmac_f32_e32 v30, v25, v29
	v_rcp_f32_e32 v34, v33
	s_delay_alu instid0(VALU_DEP_1) | instskip(SKIP_2) | instid1(VALU_DEP_1)
	v_sub_f32_e32 v4, v4, v30
	s_waitcnt_depctr 0xfff
	v_fma_f32 v35, -v33, v34, 1.0
	v_fmac_f32_e32 v34, v35, v34
	s_delay_alu instid0(VALU_DEP_1) | instskip(NEXT) | instid1(VALU_DEP_1)
	v_mul_f32_e32 v26, v36, v34
	v_fma_f32 v23, -v33, v26, v36
	s_delay_alu instid0(VALU_DEP_1) | instskip(SKIP_2) | instid1(VALU_DEP_3)
	v_fmac_f32_e32 v26, v23, v34
	v_mul_f32_e32 v23, v7, v5
	v_mul_f32_e64 v7, v7, -v4
	v_fma_f32 v22, -v33, v26, v36
	s_delay_alu instid0(VALU_DEP_3) | instskip(NEXT) | instid1(VALU_DEP_3)
	v_fmac_f32_e32 v23, v4, v6
	v_fmac_f32_e32 v7, v5, v6
	s_delay_alu instid0(VALU_DEP_3) | instskip(NEXT) | instid1(VALU_DEP_1)
	v_div_fmas_f32 v22, v22, v34, v26
	v_div_fixup_f32 v22, v22, v32, 1.0
	s_delay_alu instid0(VALU_DEP_1)
	v_mul_f32_e32 v5, v22, v7
	v_mul_f32_e32 v4, v22, v23
	ds_store_b64 v16, v[4:5] offset:16
	s_waitcnt lgkmcnt(0)
	s_waitcnt_vscnt null, 0x0
	buffer_gl0_inv
	ds_load_b64 v[6:7], v21 offset:16
	ds_load_b64 v[22:23], v12
	s_waitcnt lgkmcnt(0)
	v_fmac_f32_e32 v23, v5, v6
	v_fma_f32 v22, v4, v6, v22
	s_delay_alu instid0(VALU_DEP_2) | instskip(NEXT) | instid1(VALU_DEP_2)
	v_fma_f32 v23, v4, -v7, v23
	v_fmac_f32_e32 v22, v5, v7
	ds_store_b64 v12, v[22:23]
	s_waitcnt lgkmcnt(0)
	buffer_gl0_inv
	ds_load_b64 v[4:5], v19
	s_waitcnt lgkmcnt(0)
	global_store_b64 v[2:3], v[4:5], off
	s_waitcnt_vscnt null, 0x0
	buffer_gl1_inv
	buffer_gl0_inv
.LBB42_8:                               ;   in Loop: Header=BB42_9 Depth=1
	s_and_b32 vcc_lo, exec_lo, s23
	s_cbranch_vccnz .LBB42_42
.LBB42_9:                               ; =>This Loop Header: Depth=1
                                        ;     Child Loop BB42_12 Depth 2
                                        ;     Child Loop BB42_23 Depth 2
	s_ashr_i32 s3, s2, 31
	s_delay_alu instid0(SALU_CYCLE_1) | instskip(NEXT) | instid1(SALU_CYCLE_1)
	s_lshl_b64 s[20:21], s[2:3], 2
	s_add_u32 s20, s14, s20
	s_addc_u32 s21, s15, s21
	s_load_b32 s3, s[20:21], 0x0
	s_waitcnt lgkmcnt(0)
	s_sub_i32 s22, s3, s17
	s_delay_alu instid0(SALU_CYCLE_1) | instskip(NEXT) | instid1(SALU_CYCLE_1)
	s_ashr_i32 s23, s22, 31
	s_lshl_b64 s[20:21], s[22:23], 2
	s_mov_b32 s23, -1
	s_add_u32 s24, s4, s20
	s_addc_u32 s25, s5, s21
	s_load_b32 s1, s[24:25], 0x0
	s_waitcnt lgkmcnt(0)
	s_cmp_eq_u32 s1, -1
	s_cbranch_scc1 .LBB42_8
; %bb.10:                               ;   in Loop: Header=BB42_9 Depth=1
	v_mad_u64_u32 v[2:3], null, s2, 9, v[1:2]
	s_add_u32 s24, s12, s20
	s_addc_u32 s25, s13, s21
	ds_load_b32 v6, v0 offset:256
	s_load_b32 s23, s[24:25], 0x0
	v_ashrrev_i32_e32 v3, 31, v2
	s_delay_alu instid0(VALU_DEP_1) | instskip(NEXT) | instid1(VALU_DEP_1)
	v_lshlrev_b64 v[2:3], 3, v[2:3]
	v_add_co_u32 v2, vcc_lo, s18, v2
	s_delay_alu instid0(VALU_DEP_2)
	v_add_co_ci_u32_e32 v3, vcc_lo, s19, v3, vcc_lo
	s_waitcnt lgkmcnt(0)
	v_cmp_ge_i32_e32 vcc_lo, s22, v6
	s_sub_i32 s24, s23, s17
	global_load_b64 v[4:5], v[2:3], off
	s_cmp_le_i32 s24, s1
	s_cselect_b32 s23, -1, 0
	s_delay_alu instid0(SALU_CYCLE_1) | instskip(NEXT) | instid1(SALU_CYCLE_1)
	s_and_b32 s23, s23, vcc_lo
	s_and_not1_b32 vcc_lo, exec_lo, s23
	s_mov_b32 s23, 0
	s_waitcnt vmcnt(0)
	ds_store_b64 v19, v[4:5]
	s_cbranch_vccnz .LBB42_22
; %bb.11:                               ;   in Loop: Header=BB42_9 Depth=1
	s_mov_b32 s30, 0
	s_mov_b32 s31, 0
.LBB42_12:                              ;   Parent Loop BB42_9 Depth=1
                                        ; =>  This Inner Loop Header: Depth=2
	s_ashr_i32 s25, s24, 31
                                        ; implicit-def: $sgpr33
	s_delay_alu instid0(SALU_CYCLE_1) | instskip(NEXT) | instid1(SALU_CYCLE_1)
	s_lshl_b64 s[34:35], s[24:25], 2
	s_add_u32 s34, s14, s34
	s_addc_u32 s35, s15, s35
	s_lshl_b32 s23, s31, 2
	s_delay_alu instid0(SALU_CYCLE_1)
	v_mov_b32_e32 v4, s23
	s_load_b32 s23, s[34:35], 0x0
	s_mov_b32 s35, -1
                                        ; implicit-def: $sgpr34
	ds_load_b32 v4, v4 offset:256
	s_waitcnt lgkmcnt(0)
	s_sub_i32 s36, s23, s17
                                        ; implicit-def: $sgpr23
	s_delay_alu instid0(SALU_CYCLE_1)
	v_cmp_ge_i32_e32 vcc_lo, s36, v4
	v_readfirstlane_b32 s25, v4
	s_cbranch_vccz .LBB42_18
; %bb.13:                               ;   in Loop: Header=BB42_12 Depth=2
	s_delay_alu instid0(VALU_DEP_1)
	s_cmp_le_i32 s36, s25
                                        ; implicit-def: $sgpr23
                                        ; implicit-def: $sgpr34
                                        ; implicit-def: $sgpr33
	s_cbranch_scc0 .LBB42_15
; %bb.14:                               ;   in Loop: Header=BB42_12 Depth=2
	s_add_i32 s23, s31, s27
	s_lshl_b32 s33, s30, 2
	s_mul_i32 s23, s23, 9
	s_delay_alu instid0(SALU_CYCLE_1)
	v_dual_mov_b32 v4, s33 :: v_dual_mov_b32 v5, s23
	s_mul_i32 s33, s24, 9
	s_add_i32 s34, s24, 1
	v_mov_b32_e32 v6, s33
	s_add_i32 s33, s31, 1
	s_add_i32 s23, s30, 1
	s_mov_b32 s35, 0
	ds_store_2addr_b32 v4, v6, v5 offset1:32
.LBB42_15:                              ;   in Loop: Header=BB42_12 Depth=2
	s_and_not1_b32 vcc_lo, exec_lo, s35
	s_cbranch_vccnz .LBB42_17
; %bb.16:                               ;   in Loop: Header=BB42_12 Depth=2
	s_add_i32 s33, s31, 1
	s_mov_b32 s23, s30
	s_mov_b32 s34, s24
.LBB42_17:                              ;   in Loop: Header=BB42_12 Depth=2
	s_mov_b32 s35, 0
.LBB42_18:                              ;   in Loop: Header=BB42_12 Depth=2
	s_delay_alu instid0(SALU_CYCLE_1)
	s_and_not1_b32 vcc_lo, exec_lo, s35
	s_cbranch_vccnz .LBB42_20
; %bb.19:                               ;   in Loop: Header=BB42_12 Depth=2
	s_add_i32 s34, s24, 1
	s_mov_b32 s33, s31
	s_mov_b32 s23, s30
.LBB42_20:                              ;   in Loop: Header=BB42_12 Depth=2
	s_cmp_le_i32 s34, s1
	s_cselect_b32 s24, -1, 0
	s_cmp_le_i32 s25, s22
	s_cselect_b32 s25, -1, 0
	s_delay_alu instid0(SALU_CYCLE_1) | instskip(NEXT) | instid1(SALU_CYCLE_1)
	s_and_b32 s24, s24, s25
	s_and_b32 vcc_lo, exec_lo, s24
	s_cbranch_vccz .LBB42_22
; %bb.21:                               ;   in Loop: Header=BB42_12 Depth=2
	s_mov_b32 s30, s23
	s_mov_b32 s24, s34
	;; [unrolled: 1-line block ×3, first 2 shown]
	s_branch .LBB42_12
.LBB42_22:                              ;   in Loop: Header=BB42_9 Depth=1
	s_add_u32 s20, s6, s20
	s_addc_u32 s21, s7, s21
	s_waitcnt lgkmcnt(0)
	buffer_gl0_inv
.LBB42_23:                              ;   Parent Loop BB42_9 Depth=1
                                        ; =>  This Inner Loop Header: Depth=2
	global_load_b32 v4, v0, s[20:21] glc
	s_waitcnt vmcnt(0)
	v_cmp_eq_u32_e32 vcc_lo, 0, v4
	s_cbranch_vccnz .LBB42_23
; %bb.24:                               ;   in Loop: Header=BB42_9 Depth=1
	v_mad_u64_u32 v[4:5], null, s1, 9, v[1:2]
	buffer_gl1_inv
	buffer_gl0_inv
	v_dual_mov_b32 v7, 0 :: v_dual_mov_b32 v6, 0
	s_cmp_lt_i32 s23, 2
	v_ashrrev_i32_e32 v5, 31, v4
	s_delay_alu instid0(VALU_DEP_1) | instskip(NEXT) | instid1(VALU_DEP_1)
	v_lshlrev_b64 v[4:5], 3, v[4:5]
	v_add_co_u32 v4, vcc_lo, s18, v4
	s_delay_alu instid0(VALU_DEP_2)
	v_add_co_ci_u32_e32 v5, vcc_lo, s19, v5, vcc_lo
	global_load_b64 v[4:5], v[4:5], off
	s_waitcnt vmcnt(0)
	ds_store_b64 v18, v[4:5]
	s_waitcnt lgkmcnt(0)
	buffer_gl0_inv
	s_cbranch_scc1 .LBB42_31
; %bb.25:                               ;   in Loop: Header=BB42_9 Depth=1
	v_dual_mov_b32 v23, 0 :: v_dual_mov_b32 v22, 0
	s_add_i32 s1, s23, -1
	s_mov_b32 s20, 0
	s_delay_alu instid0(SALU_CYCLE_1)
	v_mov_b32_e32 v4, s20
	s_and_b32 vcc_lo, exec_lo, s29
	ds_load_2addr_b32 v[4:5], v4 offset1:32
	s_cbranch_vccz .LBB42_27
.LBB42_26:                              ;   in Loop: Header=BB42_9 Depth=1
	s_waitcnt lgkmcnt(0)
	v_add_nc_u32_e32 v6, v4, v8
	v_add_nc_u32_e32 v24, v5, v9
	s_delay_alu instid0(VALU_DEP_2) | instskip(NEXT) | instid1(VALU_DEP_2)
	v_ashrrev_i32_e32 v7, 31, v6
	v_ashrrev_i32_e32 v25, 31, v24
	v_add_nc_u32_e32 v26, 3, v6
	v_add_nc_u32_e32 v28, 3, v24
	s_delay_alu instid0(VALU_DEP_4) | instskip(NEXT) | instid1(VALU_DEP_4)
	v_lshlrev_b64 v[30:31], 3, v[6:7]
	v_lshlrev_b64 v[32:33], 3, v[24:25]
	s_delay_alu instid0(VALU_DEP_4) | instskip(NEXT) | instid1(VALU_DEP_4)
	v_ashrrev_i32_e32 v27, 31, v26
	v_ashrrev_i32_e32 v29, 31, v28
	v_add_nc_u32_e32 v6, 6, v6
	v_add_co_u32 v30, vcc_lo, s18, v30
	v_add_co_ci_u32_e32 v31, vcc_lo, s19, v31, vcc_lo
	v_add_co_u32 v32, vcc_lo, s18, v32
	v_add_co_ci_u32_e32 v33, vcc_lo, s19, v33, vcc_lo
	v_lshlrev_b64 v[25:26], 3, v[26:27]
	v_lshlrev_b64 v[27:28], 3, v[28:29]
	s_clause 0x1
	global_load_b64 v[29:30], v[30:31], off
	global_load_b64 v[31:32], v[32:33], off
	v_add_nc_u32_e32 v33, 6, v24
	v_ashrrev_i32_e32 v7, 31, v6
	v_add_co_u32 v25, vcc_lo, s18, v25
	v_add_co_ci_u32_e32 v26, vcc_lo, s19, v26, vcc_lo
	s_delay_alu instid0(VALU_DEP_4) | instskip(SKIP_3) | instid1(VALU_DEP_4)
	v_ashrrev_i32_e32 v34, 31, v33
	v_add_co_u32 v27, vcc_lo, s18, v27
	v_lshlrev_b64 v[6:7], 3, v[6:7]
	v_add_co_ci_u32_e32 v28, vcc_lo, s19, v28, vcc_lo
	v_lshlrev_b64 v[33:34], 3, v[33:34]
	s_clause 0x1
	global_load_b64 v[24:25], v[25:26], off
	global_load_b64 v[26:27], v[27:28], off
	v_add_co_u32 v6, vcc_lo, s18, v6
	v_add_co_ci_u32_e32 v7, vcc_lo, s19, v7, vcc_lo
	v_add_co_u32 v33, vcc_lo, s18, v33
	v_add_co_ci_u32_e32 v34, vcc_lo, s19, v34, vcc_lo
	s_clause 0x1
	global_load_b64 v[35:36], v[6:7], off
	global_load_b64 v[33:34], v[33:34], off
	s_waitcnt vmcnt(4)
	v_fma_f32 v6, v29, v31, v22
	v_fma_f32 v7, v30, v31, v23
	s_delay_alu instid0(VALU_DEP_2) | instskip(NEXT) | instid1(VALU_DEP_2)
	v_fmac_f32_e32 v6, v30, v32
	v_fma_f32 v7, v29, -v32, v7
	s_waitcnt vmcnt(2)
	s_delay_alu instid0(VALU_DEP_2) | instskip(NEXT) | instid1(VALU_DEP_2)
	v_fmac_f32_e32 v6, v24, v26
	v_fmac_f32_e32 v7, v25, v26
	s_delay_alu instid0(VALU_DEP_2) | instskip(NEXT) | instid1(VALU_DEP_2)
	v_fmac_f32_e32 v6, v25, v27
	v_fma_f32 v7, v24, -v27, v7
	s_waitcnt vmcnt(0)
	s_delay_alu instid0(VALU_DEP_2) | instskip(NEXT) | instid1(VALU_DEP_2)
	v_fmac_f32_e32 v6, v35, v33
	v_fmac_f32_e32 v7, v36, v33
	s_delay_alu instid0(VALU_DEP_2) | instskip(NEXT) | instid1(VALU_DEP_2)
	v_fmac_f32_e32 v6, v36, v34
	v_fma_f32 v7, v35, -v34, v7
	s_cbranch_execz .LBB42_28
	s_branch .LBB42_29
.LBB42_27:                              ;   in Loop: Header=BB42_9 Depth=1
                                        ; implicit-def: $vgpr7
.LBB42_28:                              ;   in Loop: Header=BB42_9 Depth=1
	s_waitcnt lgkmcnt(0)
	v_add_nc_u32_e32 v4, v4, v15
	v_add_nc_u32_e32 v6, v5, v14
	s_delay_alu instid0(VALU_DEP_2) | instskip(NEXT) | instid1(VALU_DEP_2)
	v_ashrrev_i32_e32 v5, 31, v4
	v_ashrrev_i32_e32 v7, 31, v6
	s_delay_alu instid0(VALU_DEP_2) | instskip(NEXT) | instid1(VALU_DEP_2)
	v_lshlrev_b64 v[4:5], 3, v[4:5]
	v_lshlrev_b64 v[6:7], 3, v[6:7]
	s_delay_alu instid0(VALU_DEP_2) | instskip(NEXT) | instid1(VALU_DEP_3)
	v_add_co_u32 v28, vcc_lo, s18, v4
	v_add_co_ci_u32_e32 v29, vcc_lo, s19, v5, vcc_lo
	s_delay_alu instid0(VALU_DEP_3) | instskip(NEXT) | instid1(VALU_DEP_4)
	v_add_co_u32 v30, vcc_lo, s18, v6
	v_add_co_ci_u32_e32 v31, vcc_lo, s19, v7, vcc_lo
	s_clause 0x3
	global_load_b128 v[4:7], v[28:29], off
	global_load_b128 v[24:27], v[30:31], off
	global_load_b64 v[28:29], v[28:29], off offset:16
	global_load_b64 v[30:31], v[30:31], off offset:16
	s_waitcnt vmcnt(2)
	v_fmac_f32_e32 v23, v5, v24
	v_fmac_f32_e32 v22, v4, v24
	s_delay_alu instid0(VALU_DEP_2) | instskip(NEXT) | instid1(VALU_DEP_2)
	v_fma_f32 v4, v4, -v25, v23
	v_fmac_f32_e32 v22, v5, v25
	s_delay_alu instid0(VALU_DEP_2) | instskip(NEXT) | instid1(VALU_DEP_2)
	v_fmac_f32_e32 v4, v7, v26
	v_fmac_f32_e32 v22, v6, v26
	s_delay_alu instid0(VALU_DEP_2) | instskip(NEXT) | instid1(VALU_DEP_2)
	v_fma_f32 v4, v6, -v27, v4
	v_fmac_f32_e32 v22, v7, v27
	s_waitcnt vmcnt(0)
	s_delay_alu instid0(VALU_DEP_2) | instskip(NEXT) | instid1(VALU_DEP_2)
	v_fmac_f32_e32 v4, v29, v30
	v_fmac_f32_e32 v22, v28, v30
	s_delay_alu instid0(VALU_DEP_2) | instskip(NEXT) | instid1(VALU_DEP_2)
	v_fma_f32 v7, v28, -v31, v4
	v_fmac_f32_e32 v22, v29, v31
	s_delay_alu instid0(VALU_DEP_1)
	v_mov_b32_e32 v6, v22
.LBB42_29:                              ;   in Loop: Header=BB42_9 Depth=1
	s_add_i32 s1, s1, -1
	s_add_i32 s20, s20, 4
	s_cmp_eq_u32 s1, 0
	s_cbranch_scc1 .LBB42_31
; %bb.30:                               ;   in Loop: Header=BB42_9 Depth=1
	v_dual_mov_b32 v23, v7 :: v_dual_mov_b32 v22, v6
	s_waitcnt lgkmcnt(0)
	v_mov_b32_e32 v4, s20
	s_and_b32 vcc_lo, exec_lo, s29
	ds_load_2addr_b32 v[4:5], v4 offset1:32
	s_cbranch_vccz .LBB42_27
	s_branch .LBB42_26
.LBB42_31:                              ;   in Loop: Header=BB42_9 Depth=1
	ds_store_b64 v20, v[6:7]
	s_waitcnt lgkmcnt(0)
	buffer_gl0_inv
	ds_load_b64 v[6:7], v0 offset:384
	ds_load_b64 v[4:5], v16
	s_waitcnt lgkmcnt(1)
	v_cmp_neq_f32_e32 vcc_lo, 0, v6
	v_cmp_neq_f32_e64 s1, 0, v7
	s_delay_alu instid0(VALU_DEP_1) | instskip(SKIP_2) | instid1(SALU_CYCLE_1)
	s_or_b32 vcc_lo, vcc_lo, s1
	v_dual_cndmask_b32 v6, 1.0, v6 :: v_dual_cndmask_b32 v7, 0, v7
	s_or_b32 s1, vcc_lo, s0
	s_xor_b32 s20, s1, -1
	s_delay_alu instid0(SALU_CYCLE_1)
	s_and_saveexec_b32 s1, s20
	s_cbranch_execz .LBB42_35
; %bb.32:                               ;   in Loop: Header=BB42_9 Depth=1
	v_mbcnt_lo_u32_b32 v6, exec_lo, 0
	s_mov_b32 s20, exec_lo
	s_delay_alu instid0(VALU_DEP_1)
	v_cmpx_eq_u32_e32 0, v6
	s_cbranch_execz .LBB42_34
; %bb.33:                               ;   in Loop: Header=BB42_9 Depth=1
	v_mov_b32_e32 v6, s3
	global_atomic_min_i32 v0, v6, s[10:11]
.LBB42_34:                              ;   in Loop: Header=BB42_9 Depth=1
	s_or_b32 exec_lo, exec_lo, s20
	v_dual_mov_b32 v6, 1.0 :: v_dual_mov_b32 v7, 0
.LBB42_35:                              ;   in Loop: Header=BB42_9 Depth=1
	s_or_b32 exec_lo, exec_lo, s1
	ds_load_b64 v[22:23], v17
	v_mul_f32_e32 v24, v7, v7
	s_waitcnt lgkmcnt(0)
	s_delay_alu instid0(VALU_DEP_1) | instskip(NEXT) | instid1(VALU_DEP_1)
	v_dual_fmac_f32 v24, v6, v6 :: v_dual_sub_f32 v5, v5, v23
	v_div_scale_f32 v25, null, v24, v24, 1.0
	v_div_scale_f32 v28, vcc_lo, 1.0, v24, 1.0
	v_sub_f32_e32 v4, v4, v22
	s_delay_alu instid0(VALU_DEP_3) | instskip(SKIP_1) | instid1(VALU_DEP_2)
	v_rcp_f32_e32 v26, v25
	v_mul_f32_e32 v22, v7, v5
	v_mul_f32_e64 v7, v7, -v4
	s_delay_alu instid0(VALU_DEP_1) | instskip(SKIP_2) | instid1(VALU_DEP_1)
	v_fmac_f32_e32 v7, v5, v6
	s_waitcnt_depctr 0xfff
	v_fma_f32 v27, -v25, v26, 1.0
	v_fmac_f32_e32 v26, v27, v26
	s_delay_alu instid0(VALU_DEP_1) | instskip(NEXT) | instid1(VALU_DEP_1)
	v_mul_f32_e32 v27, v28, v26
	v_fma_f32 v29, -v25, v27, v28
	s_delay_alu instid0(VALU_DEP_1) | instskip(NEXT) | instid1(VALU_DEP_1)
	v_fmac_f32_e32 v27, v29, v26
	v_fma_f32 v23, -v25, v27, v28
	s_delay_alu instid0(VALU_DEP_1) | instskip(NEXT) | instid1(VALU_DEP_1)
	v_div_fmas_f32 v23, v23, v26, v27
	v_div_fixup_f32 v23, v23, v24, 1.0
	s_delay_alu instid0(VALU_DEP_1) | instskip(NEXT) | instid1(VALU_DEP_1)
	v_dual_mul_f32 v5, v23, v7 :: v_dual_fmac_f32 v22, v4, v6
	v_mul_f32_e32 v4, v23, v22
	ds_store_b64 v16, v[4:5]
	s_waitcnt lgkmcnt(0)
	s_waitcnt_vscnt null, 0x0
	buffer_gl0_inv
	ds_load_b64 v[6:7], v21
	ds_load_b64 v[22:23], v12
	s_waitcnt lgkmcnt(0)
	v_fma_f32 v22, v4, v6, v22
	v_fmac_f32_e32 v23, v5, v6
	s_delay_alu instid0(VALU_DEP_2) | instskip(NEXT) | instid1(VALU_DEP_2)
	v_fmac_f32_e32 v22, v5, v7
	v_fma_f32 v23, v4, -v7, v23
	ds_store_b64 v12, v[22:23]
	s_waitcnt lgkmcnt(0)
	buffer_gl0_inv
	ds_load_b64 v[6:7], v0 offset:424
	ds_load_b64 v[4:5], v16 offset:8
	s_waitcnt lgkmcnt(1)
	v_cmp_neq_f32_e32 vcc_lo, 0, v6
	v_cmp_neq_f32_e64 s1, 0, v7
	s_delay_alu instid0(VALU_DEP_1) | instskip(SKIP_2) | instid1(SALU_CYCLE_1)
	s_or_b32 vcc_lo, vcc_lo, s1
	v_dual_cndmask_b32 v6, 1.0, v6 :: v_dual_cndmask_b32 v7, 0, v7
	s_or_b32 s1, vcc_lo, s0
	s_xor_b32 s20, s1, -1
	s_delay_alu instid0(SALU_CYCLE_1)
	s_and_saveexec_b32 s1, s20
	s_cbranch_execz .LBB42_39
; %bb.36:                               ;   in Loop: Header=BB42_9 Depth=1
	v_mbcnt_lo_u32_b32 v6, exec_lo, 0
	s_mov_b32 s20, exec_lo
	s_delay_alu instid0(VALU_DEP_1)
	v_cmpx_eq_u32_e32 0, v6
	s_cbranch_execz .LBB42_38
; %bb.37:                               ;   in Loop: Header=BB42_9 Depth=1
	v_mov_b32_e32 v6, s3
	global_atomic_min_i32 v0, v6, s[10:11]
.LBB42_38:                              ;   in Loop: Header=BB42_9 Depth=1
	s_or_b32 exec_lo, exec_lo, s20
	v_dual_mov_b32 v6, 1.0 :: v_dual_mov_b32 v7, 0
.LBB42_39:                              ;   in Loop: Header=BB42_9 Depth=1
	s_or_b32 exec_lo, exec_lo, s1
	ds_load_b64 v[22:23], v16
	ds_load_b64 v[24:25], v0 offset:416
	ds_load_b64 v[26:27], v17 offset:8
	v_mul_f32_e32 v28, v7, v7
	s_waitcnt lgkmcnt(0)
	v_fma_f32 v27, v25, v22, v27
	v_fmac_f32_e32 v26, v24, v22
	s_delay_alu instid0(VALU_DEP_2) | instskip(NEXT) | instid1(VALU_DEP_2)
	v_fma_f32 v22, v24, -v23, v27
	v_fmac_f32_e32 v26, v25, v23
	s_delay_alu instid0(VALU_DEP_2) | instskip(SKIP_1) | instid1(VALU_DEP_2)
	v_sub_f32_e32 v5, v5, v22
	v_fmac_f32_e32 v28, v6, v6
	v_dual_sub_f32 v4, v4, v26 :: v_dual_mul_f32 v23, v7, v5
	s_delay_alu instid0(VALU_DEP_2) | instskip(NEXT) | instid1(VALU_DEP_2)
	v_div_scale_f32 v29, null, v28, v28, 1.0
	v_mul_f32_e64 v7, v7, -v4
	v_div_scale_f32 v32, vcc_lo, 1.0, v28, 1.0
	s_delay_alu instid0(VALU_DEP_3) | instskip(SKIP_1) | instid1(VALU_DEP_3)
	v_rcp_f32_e32 v30, v29
	v_fmac_f32_e32 v23, v4, v6
	v_fmac_f32_e32 v7, v5, v6
	s_waitcnt_depctr 0xfff
	v_fma_f32 v31, -v29, v30, 1.0
	s_delay_alu instid0(VALU_DEP_1) | instskip(NEXT) | instid1(VALU_DEP_1)
	v_fmac_f32_e32 v30, v31, v30
	v_mul_f32_e32 v31, v32, v30
	s_delay_alu instid0(VALU_DEP_1) | instskip(NEXT) | instid1(VALU_DEP_1)
	v_fma_f32 v33, -v29, v31, v32
	v_fmac_f32_e32 v31, v33, v30
	s_delay_alu instid0(VALU_DEP_1) | instskip(NEXT) | instid1(VALU_DEP_1)
	v_fma_f32 v22, -v29, v31, v32
	v_div_fmas_f32 v22, v22, v30, v31
	s_delay_alu instid0(VALU_DEP_1) | instskip(NEXT) | instid1(VALU_DEP_1)
	v_div_fixup_f32 v22, v22, v28, 1.0
	v_mul_f32_e32 v4, v22, v23
	v_mul_f32_e32 v5, v22, v7
	ds_store_b64 v16, v[4:5] offset:8
	s_waitcnt lgkmcnt(0)
	s_waitcnt_vscnt null, 0x0
	buffer_gl0_inv
	ds_load_b64 v[6:7], v21 offset:8
	ds_load_b64 v[22:23], v12
	s_waitcnt lgkmcnt(0)
	v_fma_f32 v22, v4, v6, v22
	v_fmac_f32_e32 v23, v5, v6
	s_delay_alu instid0(VALU_DEP_2) | instskip(NEXT) | instid1(VALU_DEP_2)
	v_fmac_f32_e32 v22, v5, v7
	v_fma_f32 v23, v4, -v7, v23
	ds_store_b64 v12, v[22:23]
	s_waitcnt lgkmcnt(0)
	buffer_gl0_inv
	ds_load_b64 v[6:7], v0 offset:464
	ds_load_b64 v[4:5], v16 offset:16
	s_waitcnt lgkmcnt(1)
	v_cmp_neq_f32_e32 vcc_lo, 0, v6
	v_cmp_neq_f32_e64 s1, 0, v7
	s_delay_alu instid0(VALU_DEP_1) | instskip(SKIP_2) | instid1(SALU_CYCLE_1)
	s_or_b32 vcc_lo, vcc_lo, s1
	v_dual_cndmask_b32 v6, 1.0, v6 :: v_dual_cndmask_b32 v7, 0, v7
	s_or_b32 s1, vcc_lo, s0
	s_xor_b32 s20, s1, -1
	s_delay_alu instid0(SALU_CYCLE_1)
	s_and_saveexec_b32 s1, s20
	s_cbranch_execz .LBB42_7
; %bb.40:                               ;   in Loop: Header=BB42_9 Depth=1
	v_mbcnt_lo_u32_b32 v6, exec_lo, 0
	s_mov_b32 s20, exec_lo
	s_delay_alu instid0(VALU_DEP_1)
	v_cmpx_eq_u32_e32 0, v6
	s_cbranch_execz .LBB42_6
; %bb.41:                               ;   in Loop: Header=BB42_9 Depth=1
	v_mov_b32_e32 v6, s3
	global_atomic_min_i32 v0, v6, s[10:11]
	s_branch .LBB42_6
.LBB42_42:
	v_mov_b32_e32 v0, v10
	s_cmp_lg_u32 s28, 0
	s_cselect_b32 s3, -1, 0
	s_cmp_eq_u32 s28, 0
	s_cbranch_scc1 .LBB42_44
; %bb.43:
	v_mad_u32_u24 v0, v8, 3, v9
.LBB42_44:
	s_mul_i32 s26, s26, 9
	v_cmp_ne_u32_e64 s1, 0, v9
	s_delay_alu instid0(VALU_DEP_2) | instskip(SKIP_1) | instid1(VALU_DEP_1)
	v_add_nc_u32_e32 v0, s26, v0
	s_mov_b32 s2, exec_lo
	v_ashrrev_i32_e32 v1, 31, v0
	s_delay_alu instid0(VALU_DEP_1) | instskip(NEXT) | instid1(VALU_DEP_1)
	v_lshlrev_b64 v[0:1], 3, v[0:1]
	v_add_co_u32 v0, vcc_lo, s18, v0
	s_delay_alu instid0(VALU_DEP_2)
	v_add_co_ci_u32_e32 v1, vcc_lo, s19, v1, vcc_lo
	global_load_b64 v[0:1], v[0:1], off
	s_waitcnt vmcnt(0)
	ds_store_b64 v13, v[0:1] offset:576
	s_waitcnt lgkmcnt(0)
	buffer_gl0_inv
	v_cmpx_eq_u32_e32 0, v9
	s_cbranch_execz .LBB42_53
; %bb.45:
	v_mov_b32_e32 v2, 0
	ds_load_2addr_b64 v[3:6], v2 offset0:72 offset1:84
	s_waitcnt lgkmcnt(0)
	v_dual_sub_f32 v0, v3, v5 :: v_dual_sub_f32 v3, v4, v6
	s_delay_alu instid0(VALU_DEP_1) | instskip(SKIP_1) | instid1(VALU_DEP_3)
	v_cmp_gt_f32_e32 vcc_lo, 0, v0
	v_cndmask_b32_e64 v0, v0, -v0, vcc_lo
	v_cmp_gt_f32_e32 vcc_lo, 0, v3
	v_cndmask_b32_e64 v1, v3, -v3, vcc_lo
	s_delay_alu instid0(VALU_DEP_1)
	v_cmp_ngt_f32_e32 vcc_lo, v0, v1
	s_cbranch_vccz .LBB42_49
; %bb.46:
	v_cmp_eq_f32_e32 vcc_lo, 0, v3
	s_mov_b32 s4, 0
	s_cbranch_vccnz .LBB42_50
; %bb.47:
	v_div_scale_f32 v2, null, v1, v1, v0
	v_div_scale_f32 v5, vcc_lo, v0, v1, v0
	s_delay_alu instid0(VALU_DEP_2) | instskip(SKIP_2) | instid1(VALU_DEP_1)
	v_rcp_f32_e32 v3, v2
	s_waitcnt_depctr 0xfff
	v_fma_f32 v4, -v2, v3, 1.0
	v_fmac_f32_e32 v3, v4, v3
	s_delay_alu instid0(VALU_DEP_1) | instskip(NEXT) | instid1(VALU_DEP_1)
	v_mul_f32_e32 v4, v5, v3
	v_fma_f32 v6, -v2, v4, v5
	s_delay_alu instid0(VALU_DEP_1) | instskip(NEXT) | instid1(VALU_DEP_1)
	v_fmac_f32_e32 v4, v6, v3
	v_fma_f32 v2, -v2, v4, v5
	s_delay_alu instid0(VALU_DEP_1) | instskip(NEXT) | instid1(VALU_DEP_1)
	v_div_fmas_f32 v2, v2, v3, v4
	v_div_fixup_f32 v2, v2, v1, v0
	s_delay_alu instid0(VALU_DEP_1) | instskip(NEXT) | instid1(VALU_DEP_1)
	v_fma_f32 v2, v2, v2, 1.0
	v_mul_f32_e32 v3, 0x4f800000, v2
	v_cmp_gt_f32_e32 vcc_lo, 0xf800000, v2
	s_delay_alu instid0(VALU_DEP_2) | instskip(NEXT) | instid1(VALU_DEP_1)
	v_cndmask_b32_e32 v2, v2, v3, vcc_lo
	v_sqrt_f32_e32 v3, v2
	s_waitcnt_depctr 0xfff
	v_add_nc_u32_e32 v4, -1, v3
	v_add_nc_u32_e32 v5, 1, v3
	s_delay_alu instid0(VALU_DEP_2) | instskip(NEXT) | instid1(VALU_DEP_2)
	v_fma_f32 v6, -v4, v3, v2
	v_fma_f32 v7, -v5, v3, v2
	s_delay_alu instid0(VALU_DEP_2) | instskip(NEXT) | instid1(VALU_DEP_1)
	v_cmp_ge_f32_e64 s0, 0, v6
	v_cndmask_b32_e64 v3, v3, v4, s0
	s_delay_alu instid0(VALU_DEP_3) | instskip(NEXT) | instid1(VALU_DEP_1)
	v_cmp_lt_f32_e64 s0, 0, v7
	v_cndmask_b32_e64 v3, v3, v5, s0
	s_delay_alu instid0(VALU_DEP_1) | instskip(NEXT) | instid1(VALU_DEP_1)
	v_mul_f32_e32 v4, 0x37800000, v3
	v_cndmask_b32_e32 v3, v3, v4, vcc_lo
	v_cmp_class_f32_e64 vcc_lo, v2, 0x260
	s_delay_alu instid0(VALU_DEP_2) | instskip(NEXT) | instid1(VALU_DEP_1)
	v_cndmask_b32_e32 v2, v3, v2, vcc_lo
	v_mul_f32_e32 v2, v1, v2
	s_branch .LBB42_50
.LBB42_48:
	s_cbranch_execnz .LBB42_90
	s_branch .LBB42_95
.LBB42_49:
	s_mov_b32 s4, -1
                                        ; implicit-def: $vgpr2
.LBB42_50:
	s_delay_alu instid0(SALU_CYCLE_1)
	s_and_not1_b32 vcc_lo, exec_lo, s4
	s_cbranch_vccnz .LBB42_52
; %bb.51:
	v_div_scale_f32 v2, null, v0, v0, v1
	v_div_scale_f32 v5, vcc_lo, v1, v0, v1
	s_delay_alu instid0(VALU_DEP_2) | instskip(SKIP_2) | instid1(VALU_DEP_1)
	v_rcp_f32_e32 v3, v2
	s_waitcnt_depctr 0xfff
	v_fma_f32 v4, -v2, v3, 1.0
	v_fmac_f32_e32 v3, v4, v3
	s_delay_alu instid0(VALU_DEP_1) | instskip(NEXT) | instid1(VALU_DEP_1)
	v_mul_f32_e32 v4, v5, v3
	v_fma_f32 v6, -v2, v4, v5
	s_delay_alu instid0(VALU_DEP_1) | instskip(NEXT) | instid1(VALU_DEP_1)
	v_fmac_f32_e32 v4, v6, v3
	v_fma_f32 v2, -v2, v4, v5
	s_delay_alu instid0(VALU_DEP_1) | instskip(NEXT) | instid1(VALU_DEP_1)
	v_div_fmas_f32 v2, v2, v3, v4
	v_div_fixup_f32 v1, v2, v0, v1
	s_delay_alu instid0(VALU_DEP_1) | instskip(NEXT) | instid1(VALU_DEP_1)
	v_fma_f32 v1, v1, v1, 1.0
	v_mul_f32_e32 v2, 0x4f800000, v1
	v_cmp_gt_f32_e32 vcc_lo, 0xf800000, v1
	s_delay_alu instid0(VALU_DEP_2) | instskip(NEXT) | instid1(VALU_DEP_1)
	v_cndmask_b32_e32 v1, v1, v2, vcc_lo
	v_sqrt_f32_e32 v2, v1
	s_waitcnt_depctr 0xfff
	v_add_nc_u32_e32 v3, -1, v2
	v_add_nc_u32_e32 v4, 1, v2
	s_delay_alu instid0(VALU_DEP_2) | instskip(NEXT) | instid1(VALU_DEP_2)
	v_fma_f32 v5, -v3, v2, v1
	v_fma_f32 v6, -v4, v2, v1
	s_delay_alu instid0(VALU_DEP_2) | instskip(NEXT) | instid1(VALU_DEP_1)
	v_cmp_ge_f32_e64 s0, 0, v5
	v_cndmask_b32_e64 v2, v2, v3, s0
	s_delay_alu instid0(VALU_DEP_3) | instskip(NEXT) | instid1(VALU_DEP_1)
	v_cmp_lt_f32_e64 s0, 0, v6
	v_cndmask_b32_e64 v2, v2, v4, s0
	s_delay_alu instid0(VALU_DEP_1) | instskip(NEXT) | instid1(VALU_DEP_1)
	v_mul_f32_e32 v3, 0x37800000, v2
	v_cndmask_b32_e32 v2, v2, v3, vcc_lo
	v_cmp_class_f32_e64 vcc_lo, v1, 0x260
	s_delay_alu instid0(VALU_DEP_2) | instskip(NEXT) | instid1(VALU_DEP_1)
	v_cndmask_b32_e32 v1, v2, v1, vcc_lo
	v_mul_f32_e32 v2, v0, v1
.LBB42_52:
	s_delay_alu instid0(VALU_DEP_1) | instskip(SKIP_1) | instid1(VALU_DEP_2)
	v_mul_f32_e32 v0, 0x4f800000, v2
	v_cmp_gt_f32_e32 vcc_lo, 0xf800000, v2
	v_cndmask_b32_e32 v0, v2, v0, vcc_lo
	s_delay_alu instid0(VALU_DEP_1) | instskip(SKIP_3) | instid1(VALU_DEP_2)
	v_sqrt_f32_e32 v1, v0
	s_waitcnt_depctr 0xfff
	v_add_nc_u32_e32 v2, -1, v1
	v_add_nc_u32_e32 v3, 1, v1
	v_fma_f32 v4, -v2, v1, v0
	s_delay_alu instid0(VALU_DEP_2) | instskip(NEXT) | instid1(VALU_DEP_2)
	v_fma_f32 v5, -v3, v1, v0
	v_cmp_ge_f32_e64 s0, 0, v4
	s_delay_alu instid0(VALU_DEP_1) | instskip(NEXT) | instid1(VALU_DEP_3)
	v_cndmask_b32_e64 v1, v1, v2, s0
	v_cmp_lt_f32_e64 s0, 0, v5
	s_delay_alu instid0(VALU_DEP_1) | instskip(NEXT) | instid1(VALU_DEP_1)
	v_cndmask_b32_e64 v1, v1, v3, s0
	v_mul_f32_e32 v2, 0x37800000, v1
	s_delay_alu instid0(VALU_DEP_1) | instskip(SKIP_1) | instid1(VALU_DEP_2)
	v_cndmask_b32_e32 v1, v1, v2, vcc_lo
	v_cmp_class_f32_e64 vcc_lo, v0, 0x260
	v_dual_cndmask_b32 v0, v1, v0 :: v_dual_mov_b32 v1, 0
	ds_store_b64 v1, v[0:1] offset:576
.LBB42_53:
	s_or_b32 exec_lo, exec_lo, s2
	v_dual_mov_b32 v1, 0 :: v_dual_add_nc_u32 v0, 0x240, v13
	s_waitcnt lgkmcnt(0)
	buffer_gl0_inv
	ds_load_b64 v[2:3], v1 offset:576
	v_or_b32_e32 v1, v8, v9
	s_delay_alu instid0(VALU_DEP_1) | instskip(SKIP_3) | instid1(VALU_DEP_1)
	v_cmp_ne_u32_e64 s0, 0, v1
	s_waitcnt lgkmcnt(0)
	v_cmp_neq_f32_e32 vcc_lo, 0, v2
	v_cmp_neq_f32_e64 s2, 0, v3
	s_or_b32 vcc_lo, vcc_lo, s2
	s_add_i32 s2, s16, s17
	v_dual_cndmask_b32 v2, 1.0, v2 :: v_dual_cndmask_b32 v3, 0, v3
	s_or_b32 s4, vcc_lo, s0
	s_delay_alu instid0(SALU_CYCLE_1) | instskip(NEXT) | instid1(SALU_CYCLE_1)
	s_xor_b32 s5, s4, -1
	s_and_saveexec_b32 s4, s5
	s_cbranch_execz .LBB42_57
; %bb.54:
	v_mbcnt_lo_u32_b32 v2, exec_lo, 0
	s_mov_b32 s5, exec_lo
	s_delay_alu instid0(VALU_DEP_1)
	v_cmpx_eq_u32_e32 0, v2
	s_cbranch_execz .LBB42_56
; %bb.55:
	v_dual_mov_b32 v2, 0 :: v_dual_mov_b32 v3, s2
	global_atomic_min_i32 v2, v3, s[10:11]
.LBB42_56:
	s_or_b32 exec_lo, exec_lo, s5
	v_dual_mov_b32 v2, 1.0 :: v_dual_mov_b32 v3, 0
.LBB42_57:
	s_or_b32 exec_lo, exec_lo, s4
	s_and_saveexec_b32 s4, s1
	s_cbranch_execz .LBB42_59
; %bb.58:
	s_delay_alu instid0(VALU_DEP_1) | instskip(SKIP_3) | instid1(VALU_DEP_1)
	v_dual_mul_f32 v13, v3, v3 :: v_dual_lshlrev_b32 v16, 5, v9
	ds_load_2addr_b64 v[4:7], v16 offset0:72 offset1:84
	s_waitcnt lgkmcnt(0)
	v_dual_sub_f32 v5, v5, v7 :: v_dual_sub_f32 v4, v4, v6
	v_dual_fmac_f32 v13, v2, v2 :: v_dual_mul_f32 v6, v3, v5
	s_delay_alu instid0(VALU_DEP_2) | instskip(NEXT) | instid1(VALU_DEP_2)
	v_mul_f32_e64 v3, v3, -v4
	v_div_scale_f32 v14, null, v13, v13, 1.0
	v_div_scale_f32 v18, vcc_lo, 1.0, v13, 1.0
	s_delay_alu instid0(VALU_DEP_3) | instskip(NEXT) | instid1(VALU_DEP_3)
	v_fmac_f32_e32 v3, v5, v2
	v_rcp_f32_e32 v15, v14
	v_fmac_f32_e32 v6, v4, v2
	s_waitcnt_depctr 0xfff
	v_fma_f32 v17, -v14, v15, 1.0
	s_delay_alu instid0(VALU_DEP_1) | instskip(NEXT) | instid1(VALU_DEP_1)
	v_fmac_f32_e32 v15, v17, v15
	v_mul_f32_e32 v17, v18, v15
	s_delay_alu instid0(VALU_DEP_1) | instskip(NEXT) | instid1(VALU_DEP_1)
	v_fma_f32 v19, -v14, v17, v18
	v_fmac_f32_e32 v17, v19, v15
	s_delay_alu instid0(VALU_DEP_1) | instskip(NEXT) | instid1(VALU_DEP_1)
	v_fma_f32 v7, -v14, v17, v18
	v_div_fmas_f32 v7, v7, v15, v17
	s_delay_alu instid0(VALU_DEP_1) | instskip(NEXT) | instid1(VALU_DEP_1)
	v_div_fixup_f32 v4, v7, v13, 1.0
	v_mul_f32_e32 v2, v4, v6
	v_dual_mul_f32 v3, v4, v3 :: v_dual_lshlrev_b32 v4, 5, v8
	ds_store_b64 v16, v[2:3] offset:576
	s_waitcnt lgkmcnt(0)
	s_waitcnt_vscnt null, 0x0
	buffer_gl0_inv
	ds_load_b64 v[4:5], v4 offset:576
	ds_load_b64 v[6:7], v12
	s_waitcnt lgkmcnt(0)
	v_fma_f32 v6, v2, v4, v6
	v_fmac_f32_e32 v7, v3, v4
	s_delay_alu instid0(VALU_DEP_2) | instskip(NEXT) | instid1(VALU_DEP_2)
	v_fmac_f32_e32 v6, v3, v5
	v_fma_f32 v7, v2, -v5, v7
	ds_store_b64 v12, v[6:7]
.LBB42_59:
	s_or_b32 exec_lo, exec_lo, s4
	s_delay_alu instid0(SALU_CYCLE_1)
	s_mov_b32 s4, exec_lo
	s_waitcnt lgkmcnt(0)
	s_waitcnt_vscnt null, 0x0
	buffer_gl0_inv
	v_cmpx_eq_u32_e32 1, v9
	s_cbranch_execz .LBB42_67
; %bb.60:
	v_mov_b32_e32 v4, 0
	ds_load_2addr_b64 v[13:16], v4 offset0:77 offset1:89
	s_waitcnt lgkmcnt(0)
	v_dual_sub_f32 v5, v14, v16 :: v_dual_sub_f32 v2, v13, v15
	s_delay_alu instid0(VALU_DEP_1) | instskip(SKIP_1) | instid1(VALU_DEP_3)
	v_cmp_gt_f32_e32 vcc_lo, 0, v2
	v_cndmask_b32_e64 v2, v2, -v2, vcc_lo
	v_cmp_gt_f32_e32 vcc_lo, 0, v5
	v_cndmask_b32_e64 v3, v5, -v5, vcc_lo
	s_delay_alu instid0(VALU_DEP_1)
	v_cmp_gt_f32_e32 vcc_lo, v2, v3
	s_cbranch_vccnz .LBB42_64
; %bb.61:
	v_cmp_eq_f32_e32 vcc_lo, 0, v5
	s_cbranch_vccnz .LBB42_63
; %bb.62:
	v_div_scale_f32 v4, null, v3, v3, v2
	v_div_scale_f32 v7, vcc_lo, v2, v3, v2
	s_delay_alu instid0(VALU_DEP_2) | instskip(SKIP_2) | instid1(VALU_DEP_1)
	v_rcp_f32_e32 v5, v4
	s_waitcnt_depctr 0xfff
	v_fma_f32 v6, -v4, v5, 1.0
	v_fmac_f32_e32 v5, v6, v5
	s_delay_alu instid0(VALU_DEP_1) | instskip(NEXT) | instid1(VALU_DEP_1)
	v_mul_f32_e32 v6, v7, v5
	v_fma_f32 v13, -v4, v6, v7
	s_delay_alu instid0(VALU_DEP_1) | instskip(NEXT) | instid1(VALU_DEP_1)
	v_fmac_f32_e32 v6, v13, v5
	v_fma_f32 v4, -v4, v6, v7
	s_delay_alu instid0(VALU_DEP_1) | instskip(NEXT) | instid1(VALU_DEP_1)
	v_div_fmas_f32 v4, v4, v5, v6
	v_div_fixup_f32 v4, v4, v3, v2
	s_delay_alu instid0(VALU_DEP_1) | instskip(NEXT) | instid1(VALU_DEP_1)
	v_fma_f32 v4, v4, v4, 1.0
	v_mul_f32_e32 v5, 0x4f800000, v4
	v_cmp_gt_f32_e32 vcc_lo, 0xf800000, v4
	s_delay_alu instid0(VALU_DEP_2) | instskip(NEXT) | instid1(VALU_DEP_1)
	v_cndmask_b32_e32 v4, v4, v5, vcc_lo
	v_sqrt_f32_e32 v5, v4
	s_waitcnt_depctr 0xfff
	v_add_nc_u32_e32 v6, -1, v5
	v_add_nc_u32_e32 v7, 1, v5
	s_delay_alu instid0(VALU_DEP_2) | instskip(NEXT) | instid1(VALU_DEP_2)
	v_fma_f32 v13, -v6, v5, v4
	v_fma_f32 v14, -v7, v5, v4
	s_delay_alu instid0(VALU_DEP_2) | instskip(NEXT) | instid1(VALU_DEP_1)
	v_cmp_ge_f32_e64 s1, 0, v13
	v_cndmask_b32_e64 v5, v5, v6, s1
	s_delay_alu instid0(VALU_DEP_3) | instskip(NEXT) | instid1(VALU_DEP_1)
	v_cmp_lt_f32_e64 s1, 0, v14
	v_cndmask_b32_e64 v5, v5, v7, s1
	s_delay_alu instid0(VALU_DEP_1) | instskip(NEXT) | instid1(VALU_DEP_1)
	v_mul_f32_e32 v6, 0x37800000, v5
	v_cndmask_b32_e32 v5, v5, v6, vcc_lo
	v_cmp_class_f32_e64 vcc_lo, v4, 0x260
	s_delay_alu instid0(VALU_DEP_2) | instskip(NEXT) | instid1(VALU_DEP_1)
	v_cndmask_b32_e32 v4, v5, v4, vcc_lo
	v_mul_f32_e32 v4, v3, v4
.LBB42_63:
	s_cbranch_execz .LBB42_65
	s_branch .LBB42_66
.LBB42_64:
                                        ; implicit-def: $vgpr4
.LBB42_65:
	v_div_scale_f32 v4, null, v2, v2, v3
	v_div_scale_f32 v7, vcc_lo, v3, v2, v3
	s_delay_alu instid0(VALU_DEP_2) | instskip(SKIP_2) | instid1(VALU_DEP_1)
	v_rcp_f32_e32 v5, v4
	s_waitcnt_depctr 0xfff
	v_fma_f32 v6, -v4, v5, 1.0
	v_fmac_f32_e32 v5, v6, v5
	s_delay_alu instid0(VALU_DEP_1) | instskip(NEXT) | instid1(VALU_DEP_1)
	v_mul_f32_e32 v6, v7, v5
	v_fma_f32 v13, -v4, v6, v7
	s_delay_alu instid0(VALU_DEP_1) | instskip(NEXT) | instid1(VALU_DEP_1)
	v_fmac_f32_e32 v6, v13, v5
	v_fma_f32 v4, -v4, v6, v7
	s_delay_alu instid0(VALU_DEP_1) | instskip(NEXT) | instid1(VALU_DEP_1)
	v_div_fmas_f32 v4, v4, v5, v6
	v_div_fixup_f32 v3, v4, v2, v3
	s_delay_alu instid0(VALU_DEP_1) | instskip(NEXT) | instid1(VALU_DEP_1)
	v_fma_f32 v3, v3, v3, 1.0
	v_mul_f32_e32 v4, 0x4f800000, v3
	v_cmp_gt_f32_e32 vcc_lo, 0xf800000, v3
	s_delay_alu instid0(VALU_DEP_2) | instskip(NEXT) | instid1(VALU_DEP_1)
	v_cndmask_b32_e32 v3, v3, v4, vcc_lo
	v_sqrt_f32_e32 v4, v3
	s_waitcnt_depctr 0xfff
	v_add_nc_u32_e32 v5, -1, v4
	v_add_nc_u32_e32 v6, 1, v4
	s_delay_alu instid0(VALU_DEP_2) | instskip(NEXT) | instid1(VALU_DEP_2)
	v_fma_f32 v7, -v5, v4, v3
	v_fma_f32 v13, -v6, v4, v3
	s_delay_alu instid0(VALU_DEP_2) | instskip(NEXT) | instid1(VALU_DEP_1)
	v_cmp_ge_f32_e64 s1, 0, v7
	v_cndmask_b32_e64 v4, v4, v5, s1
	s_delay_alu instid0(VALU_DEP_3) | instskip(NEXT) | instid1(VALU_DEP_1)
	v_cmp_lt_f32_e64 s1, 0, v13
	v_cndmask_b32_e64 v4, v4, v6, s1
	s_delay_alu instid0(VALU_DEP_1) | instskip(NEXT) | instid1(VALU_DEP_1)
	v_mul_f32_e32 v5, 0x37800000, v4
	v_cndmask_b32_e32 v4, v4, v5, vcc_lo
	v_cmp_class_f32_e64 vcc_lo, v3, 0x260
	s_delay_alu instid0(VALU_DEP_2) | instskip(NEXT) | instid1(VALU_DEP_1)
	v_cndmask_b32_e32 v3, v4, v3, vcc_lo
	v_mul_f32_e32 v4, v2, v3
.LBB42_66:
	s_delay_alu instid0(VALU_DEP_1) | instskip(SKIP_1) | instid1(VALU_DEP_2)
	v_mul_f32_e32 v2, 0x4f800000, v4
	v_cmp_gt_f32_e32 vcc_lo, 0xf800000, v4
	v_cndmask_b32_e32 v2, v4, v2, vcc_lo
	s_delay_alu instid0(VALU_DEP_1) | instskip(SKIP_3) | instid1(VALU_DEP_2)
	v_sqrt_f32_e32 v3, v2
	s_waitcnt_depctr 0xfff
	v_add_nc_u32_e32 v4, -1, v3
	v_add_nc_u32_e32 v5, 1, v3
	v_fma_f32 v6, -v4, v3, v2
	s_delay_alu instid0(VALU_DEP_2) | instskip(NEXT) | instid1(VALU_DEP_2)
	v_fma_f32 v7, -v5, v3, v2
	v_cmp_ge_f32_e64 s1, 0, v6
	s_delay_alu instid0(VALU_DEP_1) | instskip(NEXT) | instid1(VALU_DEP_3)
	v_cndmask_b32_e64 v3, v3, v4, s1
	v_cmp_lt_f32_e64 s1, 0, v7
	s_delay_alu instid0(VALU_DEP_1) | instskip(NEXT) | instid1(VALU_DEP_1)
	v_cndmask_b32_e64 v3, v3, v5, s1
	v_mul_f32_e32 v4, 0x37800000, v3
	s_delay_alu instid0(VALU_DEP_1) | instskip(SKIP_1) | instid1(VALU_DEP_2)
	v_cndmask_b32_e32 v3, v3, v4, vcc_lo
	v_cmp_class_f32_e64 vcc_lo, v2, 0x260
	v_dual_cndmask_b32 v2, v3, v2 :: v_dual_mov_b32 v3, 0
	ds_store_b64 v3, v[2:3] offset:616
.LBB42_67:
	s_or_b32 exec_lo, exec_lo, s4
	v_mov_b32_e32 v2, 0
	s_waitcnt lgkmcnt(0)
	buffer_gl0_inv
	ds_load_b64 v[2:3], v2 offset:616
	s_waitcnt lgkmcnt(0)
	v_cmp_neq_f32_e32 vcc_lo, 0, v2
	v_cmp_neq_f32_e64 s1, 0, v3
	s_delay_alu instid0(VALU_DEP_1) | instskip(SKIP_2) | instid1(SALU_CYCLE_1)
	s_or_b32 vcc_lo, vcc_lo, s1
	v_dual_cndmask_b32 v3, 0, v3 :: v_dual_cndmask_b32 v2, 1.0, v2
	s_or_b32 s1, vcc_lo, s0
	s_xor_b32 s4, s1, -1
	s_delay_alu instid0(SALU_CYCLE_1)
	s_and_saveexec_b32 s1, s4
	s_cbranch_execz .LBB42_71
; %bb.68:
	v_mbcnt_lo_u32_b32 v2, exec_lo, 0
	s_mov_b32 s4, exec_lo
	s_delay_alu instid0(VALU_DEP_1)
	v_cmpx_eq_u32_e32 0, v2
	s_cbranch_execz .LBB42_70
; %bb.69:
	v_dual_mov_b32 v2, 0 :: v_dual_mov_b32 v3, s2
	global_atomic_min_i32 v2, v3, s[10:11]
.LBB42_70:
	s_or_b32 exec_lo, exec_lo, s4
	v_dual_mov_b32 v2, 1.0 :: v_dual_mov_b32 v3, 0
.LBB42_71:
	s_or_b32 exec_lo, exec_lo, s1
	s_delay_alu instid0(SALU_CYCLE_1)
	s_mov_b32 s1, exec_lo
	v_cmpx_lt_u32_e32 1, v9
	s_cbranch_execz .LBB42_73
; %bb.72:
	v_dual_mul_f32 v13, v3, v3 :: v_dual_lshlrev_b32 v16, 5, v9
	ds_load_2addr_b64 v[4:7], v16 offset0:73 offset1:85
	s_waitcnt lgkmcnt(0)
	v_dual_sub_f32 v5, v5, v7 :: v_dual_sub_f32 v4, v4, v6
	s_delay_alu instid0(VALU_DEP_1) | instskip(NEXT) | instid1(VALU_DEP_2)
	v_dual_fmac_f32 v13, v2, v2 :: v_dual_mul_f32 v6, v3, v5
	v_mul_f32_e64 v3, v3, -v4
	s_delay_alu instid0(VALU_DEP_2) | instskip(SKIP_1) | instid1(VALU_DEP_3)
	v_div_scale_f32 v14, null, v13, v13, 1.0
	v_div_scale_f32 v18, vcc_lo, 1.0, v13, 1.0
	v_fmac_f32_e32 v3, v5, v2
	s_delay_alu instid0(VALU_DEP_3) | instskip(SKIP_3) | instid1(VALU_DEP_1)
	v_rcp_f32_e32 v15, v14
	v_fmac_f32_e32 v6, v4, v2
	s_waitcnt_depctr 0xfff
	v_fma_f32 v17, -v14, v15, 1.0
	v_fmac_f32_e32 v15, v17, v15
	s_delay_alu instid0(VALU_DEP_1) | instskip(NEXT) | instid1(VALU_DEP_1)
	v_mul_f32_e32 v17, v18, v15
	v_fma_f32 v19, -v14, v17, v18
	s_delay_alu instid0(VALU_DEP_1) | instskip(NEXT) | instid1(VALU_DEP_1)
	v_fmac_f32_e32 v17, v19, v15
	v_fma_f32 v7, -v14, v17, v18
	s_delay_alu instid0(VALU_DEP_1) | instskip(NEXT) | instid1(VALU_DEP_1)
	v_div_fmas_f32 v7, v7, v15, v17
	v_div_fixup_f32 v4, v7, v13, 1.0
	s_delay_alu instid0(VALU_DEP_1)
	v_mul_f32_e32 v2, v4, v6
	v_dual_mul_f32 v3, v4, v3 :: v_dual_lshlrev_b32 v4, 5, v8
	ds_store_b64 v16, v[2:3] offset:584
	s_waitcnt lgkmcnt(0)
	s_waitcnt_vscnt null, 0x0
	buffer_gl0_inv
	ds_load_b64 v[4:5], v4 offset:584
	ds_load_b64 v[6:7], v12
	s_waitcnt lgkmcnt(0)
	v_fma_f32 v6, v2, v4, v6
	v_fmac_f32_e32 v7, v3, v4
	s_delay_alu instid0(VALU_DEP_2) | instskip(NEXT) | instid1(VALU_DEP_2)
	v_fmac_f32_e32 v6, v3, v5
	v_fma_f32 v7, v2, -v5, v7
	ds_store_b64 v12, v[6:7]
.LBB42_73:
	s_or_b32 exec_lo, exec_lo, s1
	s_delay_alu instid0(SALU_CYCLE_1)
	s_mov_b32 s4, exec_lo
	s_waitcnt lgkmcnt(0)
	s_waitcnt_vscnt null, 0x0
	buffer_gl0_inv
	v_cmpx_eq_u32_e32 2, v9
	s_cbranch_execz .LBB42_81
; %bb.74:
	v_mov_b32_e32 v4, 0
	ds_load_2addr_b64 v[13:16], v4 offset0:82 offset1:94
	s_waitcnt lgkmcnt(0)
	v_dual_sub_f32 v5, v14, v16 :: v_dual_sub_f32 v2, v13, v15
	s_delay_alu instid0(VALU_DEP_1) | instskip(SKIP_1) | instid1(VALU_DEP_3)
	v_cmp_gt_f32_e32 vcc_lo, 0, v2
	v_cndmask_b32_e64 v2, v2, -v2, vcc_lo
	v_cmp_gt_f32_e32 vcc_lo, 0, v5
	v_cndmask_b32_e64 v3, v5, -v5, vcc_lo
	s_delay_alu instid0(VALU_DEP_1)
	v_cmp_gt_f32_e32 vcc_lo, v2, v3
	s_cbranch_vccnz .LBB42_78
; %bb.75:
	v_cmp_eq_f32_e32 vcc_lo, 0, v5
	s_cbranch_vccnz .LBB42_77
; %bb.76:
	v_div_scale_f32 v4, null, v3, v3, v2
	v_div_scale_f32 v7, vcc_lo, v2, v3, v2
	s_delay_alu instid0(VALU_DEP_2) | instskip(SKIP_2) | instid1(VALU_DEP_1)
	v_rcp_f32_e32 v5, v4
	s_waitcnt_depctr 0xfff
	v_fma_f32 v6, -v4, v5, 1.0
	v_fmac_f32_e32 v5, v6, v5
	s_delay_alu instid0(VALU_DEP_1) | instskip(NEXT) | instid1(VALU_DEP_1)
	v_mul_f32_e32 v6, v7, v5
	v_fma_f32 v13, -v4, v6, v7
	s_delay_alu instid0(VALU_DEP_1) | instskip(NEXT) | instid1(VALU_DEP_1)
	v_fmac_f32_e32 v6, v13, v5
	v_fma_f32 v4, -v4, v6, v7
	s_delay_alu instid0(VALU_DEP_1) | instskip(NEXT) | instid1(VALU_DEP_1)
	v_div_fmas_f32 v4, v4, v5, v6
	v_div_fixup_f32 v4, v4, v3, v2
	s_delay_alu instid0(VALU_DEP_1) | instskip(NEXT) | instid1(VALU_DEP_1)
	v_fma_f32 v4, v4, v4, 1.0
	v_mul_f32_e32 v5, 0x4f800000, v4
	v_cmp_gt_f32_e32 vcc_lo, 0xf800000, v4
	s_delay_alu instid0(VALU_DEP_2) | instskip(NEXT) | instid1(VALU_DEP_1)
	v_cndmask_b32_e32 v4, v4, v5, vcc_lo
	v_sqrt_f32_e32 v5, v4
	s_waitcnt_depctr 0xfff
	v_add_nc_u32_e32 v6, -1, v5
	v_add_nc_u32_e32 v7, 1, v5
	s_delay_alu instid0(VALU_DEP_2) | instskip(NEXT) | instid1(VALU_DEP_2)
	v_fma_f32 v13, -v6, v5, v4
	v_fma_f32 v14, -v7, v5, v4
	s_delay_alu instid0(VALU_DEP_2) | instskip(NEXT) | instid1(VALU_DEP_1)
	v_cmp_ge_f32_e64 s1, 0, v13
	v_cndmask_b32_e64 v5, v5, v6, s1
	s_delay_alu instid0(VALU_DEP_3) | instskip(NEXT) | instid1(VALU_DEP_1)
	v_cmp_lt_f32_e64 s1, 0, v14
	v_cndmask_b32_e64 v5, v5, v7, s1
	s_delay_alu instid0(VALU_DEP_1) | instskip(NEXT) | instid1(VALU_DEP_1)
	v_mul_f32_e32 v6, 0x37800000, v5
	v_cndmask_b32_e32 v5, v5, v6, vcc_lo
	v_cmp_class_f32_e64 vcc_lo, v4, 0x260
	s_delay_alu instid0(VALU_DEP_2) | instskip(NEXT) | instid1(VALU_DEP_1)
	v_cndmask_b32_e32 v4, v5, v4, vcc_lo
	v_mul_f32_e32 v4, v3, v4
.LBB42_77:
	s_cbranch_execz .LBB42_79
	s_branch .LBB42_80
.LBB42_78:
                                        ; implicit-def: $vgpr4
.LBB42_79:
	v_div_scale_f32 v4, null, v2, v2, v3
	v_div_scale_f32 v7, vcc_lo, v3, v2, v3
	s_delay_alu instid0(VALU_DEP_2) | instskip(SKIP_2) | instid1(VALU_DEP_1)
	v_rcp_f32_e32 v5, v4
	s_waitcnt_depctr 0xfff
	v_fma_f32 v6, -v4, v5, 1.0
	v_fmac_f32_e32 v5, v6, v5
	s_delay_alu instid0(VALU_DEP_1) | instskip(NEXT) | instid1(VALU_DEP_1)
	v_mul_f32_e32 v6, v7, v5
	v_fma_f32 v13, -v4, v6, v7
	s_delay_alu instid0(VALU_DEP_1) | instskip(NEXT) | instid1(VALU_DEP_1)
	v_fmac_f32_e32 v6, v13, v5
	v_fma_f32 v4, -v4, v6, v7
	s_delay_alu instid0(VALU_DEP_1) | instskip(NEXT) | instid1(VALU_DEP_1)
	v_div_fmas_f32 v4, v4, v5, v6
	v_div_fixup_f32 v3, v4, v2, v3
	s_delay_alu instid0(VALU_DEP_1) | instskip(NEXT) | instid1(VALU_DEP_1)
	v_fma_f32 v3, v3, v3, 1.0
	v_mul_f32_e32 v4, 0x4f800000, v3
	v_cmp_gt_f32_e32 vcc_lo, 0xf800000, v3
	s_delay_alu instid0(VALU_DEP_2) | instskip(NEXT) | instid1(VALU_DEP_1)
	v_cndmask_b32_e32 v3, v3, v4, vcc_lo
	v_sqrt_f32_e32 v4, v3
	s_waitcnt_depctr 0xfff
	v_add_nc_u32_e32 v5, -1, v4
	v_add_nc_u32_e32 v6, 1, v4
	s_delay_alu instid0(VALU_DEP_2) | instskip(NEXT) | instid1(VALU_DEP_2)
	v_fma_f32 v7, -v5, v4, v3
	v_fma_f32 v13, -v6, v4, v3
	s_delay_alu instid0(VALU_DEP_2) | instskip(NEXT) | instid1(VALU_DEP_1)
	v_cmp_ge_f32_e64 s1, 0, v7
	v_cndmask_b32_e64 v4, v4, v5, s1
	s_delay_alu instid0(VALU_DEP_3) | instskip(NEXT) | instid1(VALU_DEP_1)
	v_cmp_lt_f32_e64 s1, 0, v13
	v_cndmask_b32_e64 v4, v4, v6, s1
	s_delay_alu instid0(VALU_DEP_1) | instskip(NEXT) | instid1(VALU_DEP_1)
	v_mul_f32_e32 v5, 0x37800000, v4
	v_cndmask_b32_e32 v4, v4, v5, vcc_lo
	v_cmp_class_f32_e64 vcc_lo, v3, 0x260
	s_delay_alu instid0(VALU_DEP_2) | instskip(NEXT) | instid1(VALU_DEP_1)
	v_cndmask_b32_e32 v3, v4, v3, vcc_lo
	v_mul_f32_e32 v4, v2, v3
.LBB42_80:
	s_delay_alu instid0(VALU_DEP_1) | instskip(SKIP_1) | instid1(VALU_DEP_2)
	v_mul_f32_e32 v2, 0x4f800000, v4
	v_cmp_gt_f32_e32 vcc_lo, 0xf800000, v4
	v_cndmask_b32_e32 v2, v4, v2, vcc_lo
	s_delay_alu instid0(VALU_DEP_1) | instskip(SKIP_3) | instid1(VALU_DEP_2)
	v_sqrt_f32_e32 v3, v2
	s_waitcnt_depctr 0xfff
	v_add_nc_u32_e32 v4, -1, v3
	v_add_nc_u32_e32 v5, 1, v3
	v_fma_f32 v6, -v4, v3, v2
	s_delay_alu instid0(VALU_DEP_2) | instskip(NEXT) | instid1(VALU_DEP_2)
	v_fma_f32 v7, -v5, v3, v2
	v_cmp_ge_f32_e64 s1, 0, v6
	s_delay_alu instid0(VALU_DEP_1) | instskip(NEXT) | instid1(VALU_DEP_3)
	v_cndmask_b32_e64 v3, v3, v4, s1
	v_cmp_lt_f32_e64 s1, 0, v7
	s_delay_alu instid0(VALU_DEP_1) | instskip(NEXT) | instid1(VALU_DEP_1)
	v_cndmask_b32_e64 v3, v3, v5, s1
	v_mul_f32_e32 v4, 0x37800000, v3
	s_delay_alu instid0(VALU_DEP_1) | instskip(SKIP_1) | instid1(VALU_DEP_2)
	v_cndmask_b32_e32 v3, v3, v4, vcc_lo
	v_cmp_class_f32_e64 vcc_lo, v2, 0x260
	v_dual_cndmask_b32 v2, v3, v2 :: v_dual_mov_b32 v3, 0
	ds_store_b64 v3, v[2:3] offset:656
.LBB42_81:
	s_or_b32 exec_lo, exec_lo, s4
	v_mov_b32_e32 v2, 0
	s_waitcnt lgkmcnt(0)
	buffer_gl0_inv
	ds_load_b64 v[2:3], v2 offset:656
	s_waitcnt lgkmcnt(0)
	v_cmp_neq_f32_e32 vcc_lo, 0, v2
	v_cmp_neq_f32_e64 s1, 0, v3
	s_delay_alu instid0(VALU_DEP_1) | instskip(SKIP_2) | instid1(SALU_CYCLE_1)
	s_or_b32 vcc_lo, vcc_lo, s1
	v_dual_cndmask_b32 v3, 0, v3 :: v_dual_cndmask_b32 v2, 1.0, v2
	s_or_b32 s0, vcc_lo, s0
	s_xor_b32 s1, s0, -1
	s_delay_alu instid0(SALU_CYCLE_1)
	s_and_saveexec_b32 s0, s1
	s_cbranch_execz .LBB42_85
; %bb.82:
	v_mbcnt_lo_u32_b32 v2, exec_lo, 0
	s_mov_b32 s1, exec_lo
	s_delay_alu instid0(VALU_DEP_1)
	v_cmpx_eq_u32_e32 0, v2
	s_cbranch_execz .LBB42_84
; %bb.83:
	v_dual_mov_b32 v2, 0 :: v_dual_mov_b32 v3, s2
	global_atomic_min_i32 v2, v3, s[10:11]
.LBB42_84:
	s_or_b32 exec_lo, exec_lo, s1
	v_dual_mov_b32 v2, 1.0 :: v_dual_mov_b32 v3, 0
.LBB42_85:
	s_or_b32 exec_lo, exec_lo, s0
	s_delay_alu instid0(SALU_CYCLE_1)
	s_mov_b32 s0, exec_lo
	v_cmpx_lt_u32_e32 2, v9
	s_cbranch_execz .LBB42_87
; %bb.86:
	v_dual_mul_f32 v13, v3, v3 :: v_dual_lshlrev_b32 v16, 5, v9
	ds_load_2addr_b64 v[4:7], v16 offset0:74 offset1:86
	s_waitcnt lgkmcnt(0)
	v_dual_sub_f32 v5, v5, v7 :: v_dual_sub_f32 v4, v4, v6
	s_delay_alu instid0(VALU_DEP_1) | instskip(NEXT) | instid1(VALU_DEP_2)
	v_dual_fmac_f32 v13, v2, v2 :: v_dual_mul_f32 v6, v3, v5
	v_mul_f32_e64 v3, v3, -v4
	s_delay_alu instid0(VALU_DEP_2) | instskip(SKIP_1) | instid1(VALU_DEP_3)
	v_div_scale_f32 v14, null, v13, v13, 1.0
	v_div_scale_f32 v18, vcc_lo, 1.0, v13, 1.0
	v_fmac_f32_e32 v3, v5, v2
	s_delay_alu instid0(VALU_DEP_3) | instskip(SKIP_3) | instid1(VALU_DEP_1)
	v_rcp_f32_e32 v15, v14
	v_fmac_f32_e32 v6, v4, v2
	s_waitcnt_depctr 0xfff
	v_fma_f32 v17, -v14, v15, 1.0
	v_fmac_f32_e32 v15, v17, v15
	s_delay_alu instid0(VALU_DEP_1) | instskip(NEXT) | instid1(VALU_DEP_1)
	v_mul_f32_e32 v17, v18, v15
	v_fma_f32 v19, -v14, v17, v18
	s_delay_alu instid0(VALU_DEP_1) | instskip(NEXT) | instid1(VALU_DEP_1)
	v_fmac_f32_e32 v17, v19, v15
	v_fma_f32 v7, -v14, v17, v18
	s_delay_alu instid0(VALU_DEP_1) | instskip(NEXT) | instid1(VALU_DEP_1)
	v_div_fmas_f32 v7, v7, v15, v17
	v_div_fixup_f32 v4, v7, v13, 1.0
	s_delay_alu instid0(VALU_DEP_1)
	v_mul_f32_e32 v2, v4, v6
	v_dual_mul_f32 v3, v4, v3 :: v_dual_lshlrev_b32 v4, 5, v8
	ds_store_b64 v16, v[2:3] offset:592
	s_waitcnt lgkmcnt(0)
	s_waitcnt_vscnt null, 0x0
	buffer_gl0_inv
	ds_load_b64 v[4:5], v4 offset:592
	ds_load_b64 v[6:7], v12
	s_waitcnt lgkmcnt(0)
	v_fma_f32 v6, v2, v4, v6
	v_fmac_f32_e32 v7, v3, v4
	s_delay_alu instid0(VALU_DEP_2) | instskip(NEXT) | instid1(VALU_DEP_2)
	v_fmac_f32_e32 v6, v3, v5
	v_fma_f32 v7, v2, -v5, v7
	ds_store_b64 v12, v[6:7]
.LBB42_87:
	s_or_b32 exec_lo, exec_lo, s0
	s_delay_alu instid0(SALU_CYCLE_1)
	s_and_not1_b32 vcc_lo, exec_lo, s3
	s_waitcnt lgkmcnt(0)
	s_waitcnt_vscnt null, 0x0
	buffer_gl0_inv
	s_cbranch_vccnz .LBB42_89
; %bb.88:
	v_mov_b32_e32 v10, v11
.LBB42_89:
	s_delay_alu instid0(VALU_DEP_1) | instskip(SKIP_3) | instid1(VALU_DEP_1)
	v_add_nc_u32_e32 v2, s26, v10
	ds_load_b64 v[4:5], v0
	v_cmp_eq_u32_e64 s3, 0, v1
	v_ashrrev_i32_e32 v3, 31, v2
	v_lshlrev_b64 v[2:3], 3, v[2:3]
	s_delay_alu instid0(VALU_DEP_1) | instskip(NEXT) | instid1(VALU_DEP_2)
	v_add_co_u32 v2, vcc_lo, s18, v2
	v_add_co_ci_u32_e32 v3, vcc_lo, s19, v3, vcc_lo
	s_waitcnt lgkmcnt(0)
	global_store_b64 v[2:3], v[4:5], off
	s_branch .LBB42_95
.LBB42_90:
	v_or_b32_e32 v0, v8, v9
	s_mov_b32 s0, exec_lo
	s_delay_alu instid0(VALU_DEP_1)
	v_cmpx_eq_u32_e32 0, v0
	s_cbranch_execz .LBB42_94
; %bb.91:
	v_mbcnt_lo_u32_b32 v0, exec_lo, 0
	s_mov_b32 s1, exec_lo
	s_delay_alu instid0(VALU_DEP_1)
	v_cmpx_eq_u32_e32 0, v0
	s_cbranch_execz .LBB42_93
; %bb.92:
	s_add_i32 s2, s16, s17
	s_delay_alu instid0(SALU_CYCLE_1)
	v_dual_mov_b32 v0, 0 :: v_dual_mov_b32 v1, s2
	global_atomic_min_i32 v0, v1, s[10:11]
.LBB42_93:
	s_or_b32 exec_lo, exec_lo, s1
	s_delay_alu instid0(SALU_CYCLE_1)
	s_or_b32 s3, s3, exec_lo
.LBB42_94:
	s_or_b32 exec_lo, exec_lo, s0
.LBB42_95:
	s_and_saveexec_b32 s0, s3
	s_cbranch_execnz .LBB42_97
; %bb.96:
	s_nop 0
	s_sendmsg sendmsg(MSG_DEALLOC_VGPRS)
	s_endpgm
.LBB42_97:
	v_dual_mov_b32 v0, 0 :: v_dual_mov_b32 v1, 1
	s_add_u32 s0, s6, s8
	s_addc_u32 s1, s7, s9
	s_waitcnt_vscnt null, 0x0
	global_store_b32 v0, v1, s[0:1]
	s_nop 0
	s_sendmsg sendmsg(MSG_DEALLOC_VGPRS)
	s_endpgm
	.section	.rodata,"a",@progbits
	.p2align	6, 0x0
	.amdhsa_kernel _ZN9rocsparseL26bsric0_2_8_unrolled_kernelILi9ELi32ELi3E21rocsparse_complex_numIfEEEv20rocsparse_direction_iiPKiS5_PT2_S5_PiS5_S8_21rocsparse_index_base_
		.amdhsa_group_segment_fixed_size 768
		.amdhsa_private_segment_fixed_size 0
		.amdhsa_kernarg_size 76
		.amdhsa_user_sgpr_count 15
		.amdhsa_user_sgpr_dispatch_ptr 0
		.amdhsa_user_sgpr_queue_ptr 0
		.amdhsa_user_sgpr_kernarg_segment_ptr 1
		.amdhsa_user_sgpr_dispatch_id 0
		.amdhsa_user_sgpr_private_segment_size 0
		.amdhsa_wavefront_size32 1
		.amdhsa_uses_dynamic_stack 0
		.amdhsa_enable_private_segment 0
		.amdhsa_system_sgpr_workgroup_id_x 1
		.amdhsa_system_sgpr_workgroup_id_y 0
		.amdhsa_system_sgpr_workgroup_id_z 0
		.amdhsa_system_sgpr_workgroup_info 0
		.amdhsa_system_vgpr_workitem_id 1
		.amdhsa_next_free_vgpr 37
		.amdhsa_next_free_sgpr 37
		.amdhsa_reserve_vcc 1
		.amdhsa_float_round_mode_32 0
		.amdhsa_float_round_mode_16_64 0
		.amdhsa_float_denorm_mode_32 3
		.amdhsa_float_denorm_mode_16_64 3
		.amdhsa_dx10_clamp 1
		.amdhsa_ieee_mode 1
		.amdhsa_fp16_overflow 0
		.amdhsa_workgroup_processor_mode 1
		.amdhsa_memory_ordered 1
		.amdhsa_forward_progress 0
		.amdhsa_shared_vgpr_count 0
		.amdhsa_exception_fp_ieee_invalid_op 0
		.amdhsa_exception_fp_denorm_src 0
		.amdhsa_exception_fp_ieee_div_zero 0
		.amdhsa_exception_fp_ieee_overflow 0
		.amdhsa_exception_fp_ieee_underflow 0
		.amdhsa_exception_fp_ieee_inexact 0
		.amdhsa_exception_int_div_zero 0
	.end_amdhsa_kernel
	.section	.text._ZN9rocsparseL26bsric0_2_8_unrolled_kernelILi9ELi32ELi3E21rocsparse_complex_numIfEEEv20rocsparse_direction_iiPKiS5_PT2_S5_PiS5_S8_21rocsparse_index_base_,"axG",@progbits,_ZN9rocsparseL26bsric0_2_8_unrolled_kernelILi9ELi32ELi3E21rocsparse_complex_numIfEEEv20rocsparse_direction_iiPKiS5_PT2_S5_PiS5_S8_21rocsparse_index_base_,comdat
.Lfunc_end42:
	.size	_ZN9rocsparseL26bsric0_2_8_unrolled_kernelILi9ELi32ELi3E21rocsparse_complex_numIfEEEv20rocsparse_direction_iiPKiS5_PT2_S5_PiS5_S8_21rocsparse_index_base_, .Lfunc_end42-_ZN9rocsparseL26bsric0_2_8_unrolled_kernelILi9ELi32ELi3E21rocsparse_complex_numIfEEEv20rocsparse_direction_iiPKiS5_PT2_S5_PiS5_S8_21rocsparse_index_base_
                                        ; -- End function
	.section	.AMDGPU.csdata,"",@progbits
; Kernel info:
; codeLenInByte = 6896
; NumSgprs: 39
; NumVgprs: 37
; ScratchSize: 0
; MemoryBound: 0
; FloatMode: 240
; IeeeMode: 1
; LDSByteSize: 768 bytes/workgroup (compile time only)
; SGPRBlocks: 4
; VGPRBlocks: 4
; NumSGPRsForWavesPerEU: 39
; NumVGPRsForWavesPerEU: 37
; Occupancy: 16
; WaveLimiterHint : 1
; COMPUTE_PGM_RSRC2:SCRATCH_EN: 0
; COMPUTE_PGM_RSRC2:USER_SGPR: 15
; COMPUTE_PGM_RSRC2:TRAP_HANDLER: 0
; COMPUTE_PGM_RSRC2:TGID_X_EN: 1
; COMPUTE_PGM_RSRC2:TGID_Y_EN: 0
; COMPUTE_PGM_RSRC2:TGID_Z_EN: 0
; COMPUTE_PGM_RSRC2:TIDIG_COMP_CNT: 1
	.section	.text._ZN9rocsparseL26bsric0_2_8_unrolled_kernelILi16ELi32ELi4E21rocsparse_complex_numIfEEEv20rocsparse_direction_iiPKiS5_PT2_S5_PiS5_S8_21rocsparse_index_base_,"axG",@progbits,_ZN9rocsparseL26bsric0_2_8_unrolled_kernelILi16ELi32ELi4E21rocsparse_complex_numIfEEEv20rocsparse_direction_iiPKiS5_PT2_S5_PiS5_S8_21rocsparse_index_base_,comdat
	.globl	_ZN9rocsparseL26bsric0_2_8_unrolled_kernelILi16ELi32ELi4E21rocsparse_complex_numIfEEEv20rocsparse_direction_iiPKiS5_PT2_S5_PiS5_S8_21rocsparse_index_base_ ; -- Begin function _ZN9rocsparseL26bsric0_2_8_unrolled_kernelILi16ELi32ELi4E21rocsparse_complex_numIfEEEv20rocsparse_direction_iiPKiS5_PT2_S5_PiS5_S8_21rocsparse_index_base_
	.p2align	8
	.type	_ZN9rocsparseL26bsric0_2_8_unrolled_kernelILi16ELi32ELi4E21rocsparse_complex_numIfEEEv20rocsparse_direction_iiPKiS5_PT2_S5_PiS5_S8_21rocsparse_index_base_,@function
_ZN9rocsparseL26bsric0_2_8_unrolled_kernelILi16ELi32ELi4E21rocsparse_complex_numIfEEEv20rocsparse_direction_iiPKiS5_PT2_S5_PiS5_S8_21rocsparse_index_base_: ; @_ZN9rocsparseL26bsric0_2_8_unrolled_kernelILi16ELi32ELi4E21rocsparse_complex_numIfEEEv20rocsparse_direction_iiPKiS5_PT2_S5_PiS5_S8_21rocsparse_index_base_
; %bb.0:
	s_load_b256 s[4:11], s[0:1], 0x28
	s_mov_b32 s2, s15
	s_mov_b32 s3, 0
	v_and_b32_e32 v6, 0x3ff, v0
	s_lshl_b64 s[12:13], s[2:3], 2
	v_bfe_u32 v7, v0, 10, 10
	s_waitcnt lgkmcnt(0)
	s_add_u32 s8, s8, s12
	s_addc_u32 s9, s9, s13
	s_load_b32 s16, s[8:9], 0x0
	s_waitcnt lgkmcnt(0)
	s_ashr_i32 s17, s16, 31
	s_delay_alu instid0(SALU_CYCLE_1) | instskip(NEXT) | instid1(SALU_CYCLE_1)
	s_lshl_b64 s[8:9], s[16:17], 2
	s_add_u32 s12, s4, s8
	s_addc_u32 s13, s5, s9
	s_load_b32 s26, s[12:13], 0x0
	s_load_b32 s17, s[0:1], 0x48
	s_waitcnt lgkmcnt(0)
	s_cmp_lg_u32 s26, -1
	s_cbranch_scc0 .LBB43_6
; %bb.1:
	s_clause 0x1
	s_load_b128 s[12:15], s[0:1], 0x10
	s_load_b64 s[18:19], s[0:1], 0x20
	v_lshlrev_b32_e32 v12, 2, v7
	s_delay_alu instid0(VALU_DEP_1)
	v_add_nc_u32_e32 v11, v12, v6
	s_waitcnt lgkmcnt(0)
	s_add_u32 s2, s12, s8
	s_addc_u32 s3, s13, s9
	s_load_b32 s2, s[2:3], 0x0
	s_mov_b32 s3, exec_lo
	s_waitcnt lgkmcnt(0)
	s_sub_i32 s27, s2, s17
	s_delay_alu instid0(SALU_CYCLE_1) | instskip(NEXT) | instid1(VALU_DEP_1)
	v_add_nc_u32_e32 v0, s27, v11
	v_cmpx_ge_i32_e64 s26, v0
	s_cbranch_execz .LBB43_4
; %bb.2:
	v_ashrrev_i32_e32 v1, 31, v0
	v_lshlrev_b32_e32 v3, 4, v7
	v_lshlrev_b32_e32 v4, 2, v6
	s_mov_b32 s20, 0
	s_delay_alu instid0(VALU_DEP_3) | instskip(NEXT) | instid1(VALU_DEP_2)
	v_lshlrev_b64 v[1:2], 2, v[0:1]
	v_add3_u32 v3, v3, v4, 0x380
	s_delay_alu instid0(VALU_DEP_2) | instskip(NEXT) | instid1(VALU_DEP_3)
	v_add_co_u32 v1, vcc_lo, s14, v1
	v_add_co_ci_u32_e32 v2, vcc_lo, s15, v2, vcc_lo
.LBB43_3:                               ; =>This Inner Loop Header: Depth=1
	global_load_b32 v4, v[1:2], off
	v_add_nc_u32_e32 v0, 16, v0
	v_add_co_u32 v1, vcc_lo, v1, 64
	v_add_co_ci_u32_e32 v2, vcc_lo, 0, v2, vcc_lo
	s_delay_alu instid0(VALU_DEP_3) | instskip(NEXT) | instid1(VALU_DEP_1)
	v_cmp_lt_i32_e64 s2, s26, v0
	s_or_b32 s20, s2, s20
	s_waitcnt vmcnt(0)
	v_subrev_nc_u32_e32 v4, s17, v4
	ds_store_b32 v3, v4
	v_add_nc_u32_e32 v3, 64, v3
	s_and_not1_b32 exec_lo, exec_lo, s20
	s_cbranch_execnz .LBB43_3
.LBB43_4:
	s_or_b32 exec_lo, exec_lo, s3
	v_dual_mov_b32 v1, 0 :: v_dual_lshlrev_b32 v0, 3, v6
	s_mov_b32 s2, 0
	s_cmp_lt_i32 s27, s26
	s_delay_alu instid0(VALU_DEP_1) | instskip(NEXT) | instid1(VALU_DEP_2)
	v_mad_u32_u24 v10, v7, 40, v0
	v_mov_b32_e32 v2, v1
	ds_store_b64 v10, v[1:2] offset:480
	s_waitcnt lgkmcnt(0)
	buffer_gl0_inv
	s_cbranch_scc1 .LBB43_7
; %bb.5:
	v_lshl_add_u32 v13, v6, 2, v7
	v_or_b32_e32 v8, v6, v7
	s_load_b32 s28, s[0:1], 0x0
	v_add_nc_u32_e32 v9, 0x1e0, v10
	s_and_not1_b32 vcc_lo, exec_lo, s2
	s_cbranch_vccz .LBB43_8
	s_branch .LBB43_49
.LBB43_6:
	s_cbranch_execnz .LBB43_106
	s_branch .LBB43_111
.LBB43_7:
                                        ; implicit-def: $vgpr13
                                        ; implicit-def: $vgpr8
	s_load_b32 s28, s[0:1], 0x0
	v_add_nc_u32_e32 v9, 0x1e0, v10
.LBB43_8:
	v_dual_mov_b32 v21, 0 :: v_dual_lshlrev_b32 v14, 2, v6
	v_mad_u32_u24 v15, v7, 40, 0x140
	v_mad_u32_u24 v16, v7, 40, 0xa0
	v_or_b32_e32 v8, v6, v7
	s_delay_alu instid0(VALU_DEP_4)
	v_add_nc_u32_e32 v13, v14, v7
	s_waitcnt lgkmcnt(0)
	s_cmp_eq_u32 s28, 0
	v_mad_u32_u24 v19, v6, 40, 0x140
	s_cselect_b32 vcc_lo, -1, 0
	v_dual_cndmask_b32 v20, v13, v11 :: v_dual_add_nc_u32 v17, v15, v0
	v_add_nc_u32_e32 v18, v16, v0
	v_cmp_ne_u32_e64 s0, 0, v8
	s_cmp_lg_u32 s28, 0
	s_mov_b32 s2, s27
	s_cselect_b32 s29, -1, 0
	s_branch .LBB43_12
.LBB43_9:                               ;   in Loop: Header=BB43_12 Depth=1
	s_or_b32 exec_lo, exec_lo, s20
	v_dual_mov_b32 v4, 1.0 :: v_dual_mov_b32 v5, 0
.LBB43_10:                              ;   in Loop: Header=BB43_12 Depth=1
	s_or_b32 exec_lo, exec_lo, s1
	ds_load_2addr_b64 v[22:25], v15 offset1:1
	ds_load_2addr_b64 v[26:29], v21 offset0:15 offset1:16
	ds_load_b64 v[30:31], v16 offset:24
	ds_load_b64 v[32:33], v15 offset:16
	;; [unrolled: 1-line block ×3, first 2 shown]
	s_add_i32 s2, s2, 1
	s_delay_alu instid0(SALU_CYCLE_1) | instskip(SKIP_4) | instid1(VALU_DEP_2)
	s_cmp_ge_i32 s2, s26
	s_cselect_b32 s23, -1, 0
	s_waitcnt lgkmcnt(2)
	v_fma_f32 v31, v27, v22, v31
	v_fmac_f32_e32 v30, v26, v22
	v_fma_f32 v26, v26, -v23, v31
	s_delay_alu instid0(VALU_DEP_2) | instskip(NEXT) | instid1(VALU_DEP_2)
	v_fmac_f32_e32 v30, v27, v23
	v_fmac_f32_e32 v26, v29, v24
	s_delay_alu instid0(VALU_DEP_2) | instskip(NEXT) | instid1(VALU_DEP_2)
	v_fmac_f32_e32 v30, v28, v24
	v_fma_f32 v24, v28, -v25, v26
	s_delay_alu instid0(VALU_DEP_2) | instskip(SKIP_1) | instid1(VALU_DEP_2)
	v_fmac_f32_e32 v30, v29, v25
	s_waitcnt lgkmcnt(0)
	v_fmac_f32_e32 v24, v35, v32
	s_delay_alu instid0(VALU_DEP_2) | instskip(NEXT) | instid1(VALU_DEP_2)
	v_fmac_f32_e32 v30, v34, v32
	v_fma_f32 v24, v34, -v33, v24
	v_mul_f32_e32 v36, v5, v5
	s_delay_alu instid0(VALU_DEP_3) | instskip(NEXT) | instid1(VALU_DEP_3)
	v_fmac_f32_e32 v30, v35, v33
	v_sub_f32_e32 v3, v3, v24
	s_delay_alu instid0(VALU_DEP_3) | instskip(NEXT) | instid1(VALU_DEP_3)
	v_fmac_f32_e32 v36, v4, v4
	v_sub_f32_e32 v2, v2, v30
	s_delay_alu instid0(VALU_DEP_2) | instskip(SKIP_1) | instid1(VALU_DEP_2)
	v_div_scale_f32 v37, null, v36, v36, 1.0
	v_div_scale_f32 v23, vcc_lo, 1.0, v36, 1.0
	v_rcp_f32_e32 v38, v37
	s_waitcnt_depctr 0xfff
	v_fma_f32 v22, -v37, v38, 1.0
	s_delay_alu instid0(VALU_DEP_1) | instskip(NEXT) | instid1(VALU_DEP_1)
	v_fmac_f32_e32 v38, v22, v38
	v_mul_f32_e32 v22, v23, v38
	s_delay_alu instid0(VALU_DEP_1) | instskip(NEXT) | instid1(VALU_DEP_1)
	v_fma_f32 v25, -v37, v22, v23
	v_fmac_f32_e32 v22, v25, v38
	s_delay_alu instid0(VALU_DEP_1) | instskip(NEXT) | instid1(VALU_DEP_1)
	v_fma_f32 v23, -v37, v22, v23
	v_div_fmas_f32 v22, v23, v38, v22
	v_mul_f32_e32 v23, v5, v3
	v_mul_f32_e64 v5, v5, -v2
	s_delay_alu instid0(VALU_DEP_3) | instskip(NEXT) | instid1(VALU_DEP_3)
	v_div_fixup_f32 v22, v22, v36, 1.0
	v_fmac_f32_e32 v23, v2, v4
	s_delay_alu instid0(VALU_DEP_1) | instskip(NEXT) | instid1(VALU_DEP_1)
	v_dual_fmac_f32 v5, v3, v4 :: v_dual_mul_f32 v2, v22, v23
	v_mul_f32_e32 v3, v22, v5
	ds_store_b64 v15, v[2:3] offset:24
	s_waitcnt lgkmcnt(0)
	s_waitcnt_vscnt null, 0x0
	buffer_gl0_inv
	ds_load_b64 v[4:5], v19 offset:24
	ds_load_b64 v[22:23], v9
	s_waitcnt lgkmcnt(0)
	v_fmac_f32_e32 v23, v3, v4
	v_fma_f32 v22, v2, v4, v22
	s_delay_alu instid0(VALU_DEP_2) | instskip(NEXT) | instid1(VALU_DEP_2)
	v_fma_f32 v23, v2, -v5, v23
	v_fmac_f32_e32 v22, v3, v5
	ds_store_b64 v9, v[22:23]
	s_waitcnt lgkmcnt(0)
	buffer_gl0_inv
	ds_load_b64 v[2:3], v17
	s_waitcnt lgkmcnt(0)
	global_store_b64 v[0:1], v[2:3], off
	s_waitcnt_vscnt null, 0x0
	buffer_gl1_inv
	buffer_gl0_inv
.LBB43_11:                              ;   in Loop: Header=BB43_12 Depth=1
	s_and_b32 vcc_lo, exec_lo, s23
	s_cbranch_vccnz .LBB43_49
.LBB43_12:                              ; =>This Loop Header: Depth=1
                                        ;     Child Loop BB43_15 Depth 2
                                        ;     Child Loop BB43_26 Depth 2
	s_ashr_i32 s3, s2, 31
	s_delay_alu instid0(SALU_CYCLE_1) | instskip(NEXT) | instid1(SALU_CYCLE_1)
	s_lshl_b64 s[20:21], s[2:3], 2
	s_add_u32 s20, s14, s20
	s_addc_u32 s21, s15, s21
	s_load_b32 s3, s[20:21], 0x0
	s_waitcnt lgkmcnt(0)
	s_sub_i32 s22, s3, s17
	s_delay_alu instid0(SALU_CYCLE_1) | instskip(NEXT) | instid1(SALU_CYCLE_1)
	s_ashr_i32 s23, s22, 31
	s_lshl_b64 s[20:21], s[22:23], 2
	s_mov_b32 s23, -1
	s_add_u32 s24, s4, s20
	s_addc_u32 s25, s5, s21
	s_load_b32 s1, s[24:25], 0x0
	s_waitcnt lgkmcnt(0)
	s_cmp_eq_u32 s1, -1
	s_cbranch_scc1 .LBB43_11
; %bb.13:                               ;   in Loop: Header=BB43_12 Depth=1
	v_lshl_add_u32 v0, s2, 4, v20
	s_add_u32 s24, s12, s20
	s_addc_u32 s25, s13, s21
	ds_load_b32 v4, v21 offset:896
	s_load_b32 s23, s[24:25], 0x0
	v_ashrrev_i32_e32 v1, 31, v0
	s_delay_alu instid0(VALU_DEP_1) | instskip(NEXT) | instid1(VALU_DEP_1)
	v_lshlrev_b64 v[0:1], 3, v[0:1]
	v_add_co_u32 v0, vcc_lo, s18, v0
	s_delay_alu instid0(VALU_DEP_2) | instskip(SKIP_4) | instid1(SALU_CYCLE_1)
	v_add_co_ci_u32_e32 v1, vcc_lo, s19, v1, vcc_lo
	s_waitcnt lgkmcnt(0)
	v_cmp_ge_i32_e32 vcc_lo, s22, v4
	global_load_b64 v[2:3], v[0:1], off
	s_sub_i32 s24, s23, s17
	s_cmp_le_i32 s24, s1
	s_cselect_b32 s23, -1, 0
	s_delay_alu instid0(SALU_CYCLE_1) | instskip(NEXT) | instid1(SALU_CYCLE_1)
	s_and_b32 s23, s23, vcc_lo
	s_and_not1_b32 vcc_lo, exec_lo, s23
	s_mov_b32 s23, 0
	s_waitcnt vmcnt(0)
	ds_store_b64 v17, v[2:3]
	s_cbranch_vccnz .LBB43_25
; %bb.14:                               ;   in Loop: Header=BB43_12 Depth=1
	s_mov_b32 s30, 0
	s_mov_b32 s31, 0
.LBB43_15:                              ;   Parent Loop BB43_12 Depth=1
                                        ; =>  This Inner Loop Header: Depth=2
	s_ashr_i32 s25, s24, 31
                                        ; implicit-def: $sgpr33
	s_delay_alu instid0(SALU_CYCLE_1) | instskip(NEXT) | instid1(SALU_CYCLE_1)
	s_lshl_b64 s[34:35], s[24:25], 2
	s_add_u32 s34, s14, s34
	s_addc_u32 s35, s15, s35
	s_lshl_b32 s23, s31, 2
	s_delay_alu instid0(SALU_CYCLE_1)
	v_mov_b32_e32 v2, s23
	s_load_b32 s23, s[34:35], 0x0
	s_mov_b32 s35, -1
                                        ; implicit-def: $sgpr34
	ds_load_b32 v2, v2 offset:896
	s_waitcnt lgkmcnt(0)
	s_sub_i32 s36, s23, s17
                                        ; implicit-def: $sgpr23
	s_delay_alu instid0(SALU_CYCLE_1)
	v_cmp_ge_i32_e32 vcc_lo, s36, v2
	v_readfirstlane_b32 s25, v2
	s_cbranch_vccz .LBB43_21
; %bb.16:                               ;   in Loop: Header=BB43_15 Depth=2
	s_delay_alu instid0(VALU_DEP_1)
	s_cmp_le_i32 s36, s25
                                        ; implicit-def: $sgpr23
                                        ; implicit-def: $sgpr34
                                        ; implicit-def: $sgpr33
	s_cbranch_scc0 .LBB43_18
; %bb.17:                               ;   in Loop: Header=BB43_15 Depth=2
	s_add_i32 s23, s31, s27
	s_lshl_b32 s33, s30, 2
	s_lshl_b32 s23, s23, 4
	s_delay_alu instid0(SALU_CYCLE_1)
	v_dual_mov_b32 v2, s33 :: v_dual_mov_b32 v3, s23
	s_lshl_b32 s33, s24, 4
	s_add_i32 s34, s24, 1
	v_mov_b32_e32 v4, s33
	s_add_i32 s33, s31, 1
	s_add_i32 s23, s30, 1
	s_mov_b32 s35, 0
	ds_store_2addr_b32 v2, v4, v3 offset0:160 offset1:192
.LBB43_18:                              ;   in Loop: Header=BB43_15 Depth=2
	s_and_not1_b32 vcc_lo, exec_lo, s35
	s_cbranch_vccnz .LBB43_20
; %bb.19:                               ;   in Loop: Header=BB43_15 Depth=2
	s_add_i32 s33, s31, 1
	s_mov_b32 s23, s30
	s_mov_b32 s34, s24
.LBB43_20:                              ;   in Loop: Header=BB43_15 Depth=2
	s_mov_b32 s35, 0
.LBB43_21:                              ;   in Loop: Header=BB43_15 Depth=2
	s_delay_alu instid0(SALU_CYCLE_1)
	s_and_not1_b32 vcc_lo, exec_lo, s35
	s_cbranch_vccnz .LBB43_23
; %bb.22:                               ;   in Loop: Header=BB43_15 Depth=2
	s_add_i32 s34, s24, 1
	s_mov_b32 s33, s31
	s_mov_b32 s23, s30
.LBB43_23:                              ;   in Loop: Header=BB43_15 Depth=2
	s_cmp_le_i32 s34, s1
	s_cselect_b32 s24, -1, 0
	s_cmp_le_i32 s25, s22
	s_cselect_b32 s25, -1, 0
	s_delay_alu instid0(SALU_CYCLE_1) | instskip(NEXT) | instid1(SALU_CYCLE_1)
	s_and_b32 s24, s24, s25
	s_and_b32 vcc_lo, exec_lo, s24
	s_cbranch_vccz .LBB43_25
; %bb.24:                               ;   in Loop: Header=BB43_15 Depth=2
	s_mov_b32 s30, s23
	s_mov_b32 s24, s34
	;; [unrolled: 1-line block ×3, first 2 shown]
	s_branch .LBB43_15
.LBB43_25:                              ;   in Loop: Header=BB43_12 Depth=1
	s_add_u32 s20, s6, s20
	s_addc_u32 s21, s7, s21
	s_waitcnt lgkmcnt(0)
	buffer_gl0_inv
.LBB43_26:                              ;   Parent Loop BB43_12 Depth=1
                                        ; =>  This Inner Loop Header: Depth=2
	global_load_b32 v2, v21, s[20:21] glc
	s_waitcnt vmcnt(0)
	v_cmp_eq_u32_e32 vcc_lo, 0, v2
	s_cbranch_vccnz .LBB43_26
; %bb.27:                               ;   in Loop: Header=BB43_12 Depth=1
	v_lshl_add_u32 v2, s1, 4, v20
	buffer_gl1_inv
	buffer_gl0_inv
	v_dual_mov_b32 v5, 0 :: v_dual_mov_b32 v4, 0
	s_cmp_lt_i32 s23, 2
	v_ashrrev_i32_e32 v3, 31, v2
	s_delay_alu instid0(VALU_DEP_1) | instskip(NEXT) | instid1(VALU_DEP_1)
	v_lshlrev_b64 v[2:3], 3, v[2:3]
	v_add_co_u32 v2, vcc_lo, s18, v2
	s_delay_alu instid0(VALU_DEP_2)
	v_add_co_ci_u32_e32 v3, vcc_lo, s19, v3, vcc_lo
	global_load_b64 v[2:3], v[2:3], off
	s_waitcnt vmcnt(0)
	ds_store_b64 v10, v[2:3]
	s_waitcnt lgkmcnt(0)
	buffer_gl0_inv
	s_cbranch_scc1 .LBB43_34
; %bb.28:                               ;   in Loop: Header=BB43_12 Depth=1
	v_dual_mov_b32 v23, 0 :: v_dual_mov_b32 v22, 0
	s_add_i32 s1, s23, -1
	s_movk_i32 s20, 0x280
	s_delay_alu instid0(SALU_CYCLE_1)
	v_mov_b32_e32 v2, s20
	s_and_b32 vcc_lo, exec_lo, s29
	ds_load_2addr_b32 v[2:3], v2 offset1:32
	s_cbranch_vccz .LBB43_30
.LBB43_29:                              ;   in Loop: Header=BB43_12 Depth=1
	s_waitcnt lgkmcnt(0)
	v_add_nc_u32_e32 v4, v2, v6
	v_add_nc_u32_e32 v24, v3, v7
	s_delay_alu instid0(VALU_DEP_2) | instskip(SKIP_1) | instid1(VALU_DEP_3)
	v_ashrrev_i32_e32 v5, 31, v4
	v_add_nc_u32_e32 v26, 4, v4
	v_ashrrev_i32_e32 v25, 31, v24
	v_add_nc_u32_e32 v28, 4, v24
	v_add_nc_u32_e32 v34, 8, v4
	v_lshlrev_b64 v[30:31], 3, v[4:5]
	v_ashrrev_i32_e32 v27, 31, v26
	v_lshlrev_b64 v[32:33], 3, v[24:25]
	v_ashrrev_i32_e32 v29, 31, v28
	v_ashrrev_i32_e32 v35, 31, v34
	v_add_nc_u32_e32 v36, 8, v24
	v_lshlrev_b64 v[25:26], 3, v[26:27]
	v_add_co_u32 v30, vcc_lo, s18, v30
	v_add_co_ci_u32_e32 v31, vcc_lo, s19, v31, vcc_lo
	v_add_co_u32 v32, vcc_lo, s18, v32
	v_lshlrev_b64 v[27:28], 3, v[28:29]
	v_add_co_ci_u32_e32 v33, vcc_lo, s19, v33, vcc_lo
	v_add_co_u32 v25, vcc_lo, s18, v25
	v_add_co_ci_u32_e32 v26, vcc_lo, s19, v26, vcc_lo
	s_delay_alu instid0(VALU_DEP_4)
	v_add_co_u32 v27, vcc_lo, s18, v27
	v_add_co_ci_u32_e32 v28, vcc_lo, s19, v28, vcc_lo
	v_lshlrev_b64 v[34:35], 3, v[34:35]
	v_ashrrev_i32_e32 v37, 31, v36
	s_clause 0x3
	global_load_b64 v[29:30], v[30:31], off
	global_load_b64 v[31:32], v[32:33], off
	;; [unrolled: 1-line block ×4, first 2 shown]
	v_add_nc_u32_e32 v4, 12, v4
	v_add_co_u32 v33, vcc_lo, s18, v34
	v_lshlrev_b64 v[36:37], 3, v[36:37]
	v_add_co_ci_u32_e32 v34, vcc_lo, s19, v35, vcc_lo
	v_add_nc_u32_e32 v35, 12, v24
	v_ashrrev_i32_e32 v5, 31, v4
	s_delay_alu instid0(VALU_DEP_4) | instskip(NEXT) | instid1(VALU_DEP_3)
	v_add_co_u32 v38, vcc_lo, s18, v36
	v_ashrrev_i32_e32 v36, 31, v35
	s_delay_alu instid0(VALU_DEP_3)
	v_lshlrev_b64 v[4:5], 3, v[4:5]
	v_add_co_ci_u32_e32 v39, vcc_lo, s19, v37, vcc_lo
	s_clause 0x1
	global_load_b64 v[33:34], v[33:34], off
	global_load_b64 v[37:38], v[38:39], off
	v_lshlrev_b64 v[35:36], 3, v[35:36]
	v_add_co_u32 v4, vcc_lo, s18, v4
	v_add_co_ci_u32_e32 v5, vcc_lo, s19, v5, vcc_lo
	s_delay_alu instid0(VALU_DEP_3) | instskip(NEXT) | instid1(VALU_DEP_4)
	v_add_co_u32 v35, vcc_lo, s18, v35
	v_add_co_ci_u32_e32 v36, vcc_lo, s19, v36, vcc_lo
	s_clause 0x1
	global_load_b64 v[39:40], v[4:5], off
	global_load_b64 v[35:36], v[35:36], off
	s_waitcnt vmcnt(6)
	v_fma_f32 v4, v29, v31, v22
	v_fma_f32 v5, v30, v31, v23
	s_delay_alu instid0(VALU_DEP_2) | instskip(NEXT) | instid1(VALU_DEP_2)
	v_fmac_f32_e32 v4, v30, v32
	v_fma_f32 v5, v29, -v32, v5
	s_waitcnt vmcnt(4)
	s_delay_alu instid0(VALU_DEP_2) | instskip(NEXT) | instid1(VALU_DEP_2)
	v_fmac_f32_e32 v4, v25, v27
	v_fmac_f32_e32 v5, v26, v27
	s_delay_alu instid0(VALU_DEP_2) | instskip(NEXT) | instid1(VALU_DEP_2)
	v_fmac_f32_e32 v4, v26, v28
	v_fma_f32 v5, v25, -v28, v5
	s_waitcnt vmcnt(2)
	s_delay_alu instid0(VALU_DEP_2) | instskip(NEXT) | instid1(VALU_DEP_2)
	v_fmac_f32_e32 v4, v33, v37
	v_fmac_f32_e32 v5, v34, v37
	;; [unrolled: 7-line block ×3, first 2 shown]
	s_delay_alu instid0(VALU_DEP_2) | instskip(NEXT) | instid1(VALU_DEP_2)
	v_fmac_f32_e32 v4, v40, v36
	v_fma_f32 v5, v39, -v36, v5
	s_cbranch_execz .LBB43_31
	s_branch .LBB43_32
.LBB43_30:                              ;   in Loop: Header=BB43_12 Depth=1
                                        ; implicit-def: $vgpr5
.LBB43_31:                              ;   in Loop: Header=BB43_12 Depth=1
	s_waitcnt lgkmcnt(0)
	v_add_nc_u32_e32 v2, v2, v14
	v_add_nc_u32_e32 v4, v3, v12
	s_delay_alu instid0(VALU_DEP_2) | instskip(NEXT) | instid1(VALU_DEP_2)
	v_ashrrev_i32_e32 v3, 31, v2
	v_ashrrev_i32_e32 v5, 31, v4
	s_delay_alu instid0(VALU_DEP_2) | instskip(NEXT) | instid1(VALU_DEP_2)
	v_lshlrev_b64 v[2:3], 3, v[2:3]
	v_lshlrev_b64 v[4:5], 3, v[4:5]
	s_delay_alu instid0(VALU_DEP_2) | instskip(NEXT) | instid1(VALU_DEP_3)
	v_add_co_u32 v28, vcc_lo, s18, v2
	v_add_co_ci_u32_e32 v29, vcc_lo, s19, v3, vcc_lo
	s_delay_alu instid0(VALU_DEP_3) | instskip(NEXT) | instid1(VALU_DEP_4)
	v_add_co_u32 v32, vcc_lo, s18, v4
	v_add_co_ci_u32_e32 v33, vcc_lo, s19, v5, vcc_lo
	s_clause 0x3
	global_load_b128 v[2:5], v[28:29], off
	global_load_b128 v[24:27], v[32:33], off
	global_load_b128 v[28:31], v[28:29], off offset:16
	global_load_b128 v[32:35], v[32:33], off offset:16
	s_waitcnt vmcnt(2)
	v_fmac_f32_e32 v23, v3, v24
	v_fmac_f32_e32 v22, v2, v24
	s_delay_alu instid0(VALU_DEP_2) | instskip(NEXT) | instid1(VALU_DEP_2)
	v_fma_f32 v2, v2, -v25, v23
	v_fmac_f32_e32 v22, v3, v25
	s_delay_alu instid0(VALU_DEP_2) | instskip(NEXT) | instid1(VALU_DEP_2)
	v_fmac_f32_e32 v2, v5, v26
	v_fmac_f32_e32 v22, v4, v26
	s_delay_alu instid0(VALU_DEP_2) | instskip(NEXT) | instid1(VALU_DEP_2)
	v_fma_f32 v2, v4, -v27, v2
	v_fmac_f32_e32 v22, v5, v27
	s_waitcnt vmcnt(0)
	s_delay_alu instid0(VALU_DEP_2) | instskip(NEXT) | instid1(VALU_DEP_2)
	v_fmac_f32_e32 v2, v29, v32
	v_fmac_f32_e32 v22, v28, v32
	s_delay_alu instid0(VALU_DEP_2) | instskip(NEXT) | instid1(VALU_DEP_2)
	v_fma_f32 v2, v28, -v33, v2
	v_fmac_f32_e32 v22, v29, v33
	s_delay_alu instid0(VALU_DEP_2) | instskip(NEXT) | instid1(VALU_DEP_2)
	v_fmac_f32_e32 v2, v31, v34
	v_fmac_f32_e32 v22, v30, v34
	s_delay_alu instid0(VALU_DEP_2) | instskip(NEXT) | instid1(VALU_DEP_2)
	v_fma_f32 v5, v30, -v35, v2
	v_fmac_f32_e32 v22, v31, v35
	s_delay_alu instid0(VALU_DEP_1)
	v_mov_b32_e32 v4, v22
.LBB43_32:                              ;   in Loop: Header=BB43_12 Depth=1
	s_add_i32 s1, s1, -1
	s_add_i32 s20, s20, 4
	s_cmp_eq_u32 s1, 0
	s_cbranch_scc1 .LBB43_34
; %bb.33:                               ;   in Loop: Header=BB43_12 Depth=1
	v_dual_mov_b32 v23, v5 :: v_dual_mov_b32 v22, v4
	s_waitcnt lgkmcnt(0)
	v_mov_b32_e32 v2, s20
	s_and_b32 vcc_lo, exec_lo, s29
	ds_load_2addr_b32 v[2:3], v2 offset1:32
	s_cbranch_vccz .LBB43_30
	s_branch .LBB43_29
.LBB43_34:                              ;   in Loop: Header=BB43_12 Depth=1
	ds_store_b64 v18, v[4:5]
	s_waitcnt lgkmcnt(0)
	buffer_gl0_inv
	ds_load_b64 v[4:5], v21
	ds_load_b64 v[2:3], v15
	s_waitcnt lgkmcnt(1)
	v_cmp_neq_f32_e32 vcc_lo, 0, v4
	v_cmp_neq_f32_e64 s1, 0, v5
	s_delay_alu instid0(VALU_DEP_1) | instskip(SKIP_2) | instid1(SALU_CYCLE_1)
	s_or_b32 vcc_lo, vcc_lo, s1
	v_dual_cndmask_b32 v4, 1.0, v4 :: v_dual_cndmask_b32 v5, 0, v5
	s_or_b32 s1, vcc_lo, s0
	s_xor_b32 s20, s1, -1
	s_delay_alu instid0(SALU_CYCLE_1)
	s_and_saveexec_b32 s1, s20
	s_cbranch_execz .LBB43_38
; %bb.35:                               ;   in Loop: Header=BB43_12 Depth=1
	v_mbcnt_lo_u32_b32 v4, exec_lo, 0
	s_mov_b32 s20, exec_lo
	s_delay_alu instid0(VALU_DEP_1)
	v_cmpx_eq_u32_e32 0, v4
	s_cbranch_execz .LBB43_37
; %bb.36:                               ;   in Loop: Header=BB43_12 Depth=1
	v_mov_b32_e32 v4, s3
	global_atomic_min_i32 v21, v4, s[10:11]
.LBB43_37:                              ;   in Loop: Header=BB43_12 Depth=1
	s_or_b32 exec_lo, exec_lo, s20
	v_dual_mov_b32 v4, 1.0 :: v_dual_mov_b32 v5, 0
.LBB43_38:                              ;   in Loop: Header=BB43_12 Depth=1
	s_or_b32 exec_lo, exec_lo, s1
	s_delay_alu instid0(VALU_DEP_1) | instskip(SKIP_2) | instid1(VALU_DEP_1)
	v_mul_f32_e32 v24, v5, v5
	ds_load_b64 v[22:23], v16
	v_fmac_f32_e32 v24, v4, v4
	v_div_scale_f32 v25, null, v24, v24, 1.0
	v_div_scale_f32 v28, vcc_lo, 1.0, v24, 1.0
	s_delay_alu instid0(VALU_DEP_2)
	v_rcp_f32_e32 v26, v25
	s_waitcnt lgkmcnt(0)
	v_dual_sub_f32 v3, v3, v23 :: v_dual_sub_f32 v2, v2, v22
	s_waitcnt_depctr 0xfff
	v_fma_f32 v27, -v25, v26, 1.0
	v_mul_f32_e32 v22, v5, v3
	v_mul_f32_e64 v5, v5, -v2
	s_delay_alu instid0(VALU_DEP_3) | instskip(NEXT) | instid1(VALU_DEP_2)
	v_fmac_f32_e32 v26, v27, v26
	v_fmac_f32_e32 v5, v3, v4
	s_delay_alu instid0(VALU_DEP_2) | instskip(NEXT) | instid1(VALU_DEP_1)
	v_mul_f32_e32 v27, v28, v26
	v_fma_f32 v29, -v25, v27, v28
	s_delay_alu instid0(VALU_DEP_1) | instskip(NEXT) | instid1(VALU_DEP_1)
	v_fmac_f32_e32 v27, v29, v26
	v_fma_f32 v23, -v25, v27, v28
	s_delay_alu instid0(VALU_DEP_1) | instskip(NEXT) | instid1(VALU_DEP_1)
	v_div_fmas_f32 v23, v23, v26, v27
	v_div_fixup_f32 v23, v23, v24, 1.0
	s_delay_alu instid0(VALU_DEP_1) | instskip(NEXT) | instid1(VALU_DEP_1)
	v_dual_fmac_f32 v22, v2, v4 :: v_dual_mul_f32 v3, v23, v5
	v_mul_f32_e32 v2, v23, v22
	ds_store_b64 v15, v[2:3]
	s_waitcnt lgkmcnt(0)
	s_waitcnt_vscnt null, 0x0
	buffer_gl0_inv
	ds_load_b64 v[4:5], v19
	ds_load_b64 v[22:23], v9
	s_waitcnt lgkmcnt(0)
	v_fma_f32 v22, v2, v4, v22
	v_fmac_f32_e32 v23, v3, v4
	s_delay_alu instid0(VALU_DEP_2) | instskip(NEXT) | instid1(VALU_DEP_2)
	v_fmac_f32_e32 v22, v3, v5
	v_fma_f32 v23, v2, -v5, v23
	ds_store_b64 v9, v[22:23]
	s_waitcnt lgkmcnt(0)
	buffer_gl0_inv
	ds_load_b64 v[4:5], v21 offset:48
	ds_load_b64 v[2:3], v15 offset:8
	s_waitcnt lgkmcnt(1)
	v_cmp_neq_f32_e32 vcc_lo, 0, v4
	v_cmp_neq_f32_e64 s1, 0, v5
	s_delay_alu instid0(VALU_DEP_1) | instskip(SKIP_2) | instid1(SALU_CYCLE_1)
	s_or_b32 vcc_lo, vcc_lo, s1
	v_dual_cndmask_b32 v4, 1.0, v4 :: v_dual_cndmask_b32 v5, 0, v5
	s_or_b32 s1, vcc_lo, s0
	s_xor_b32 s20, s1, -1
	s_delay_alu instid0(SALU_CYCLE_1)
	s_and_saveexec_b32 s1, s20
	s_cbranch_execz .LBB43_42
; %bb.39:                               ;   in Loop: Header=BB43_12 Depth=1
	v_mbcnt_lo_u32_b32 v4, exec_lo, 0
	s_mov_b32 s20, exec_lo
	s_delay_alu instid0(VALU_DEP_1)
	v_cmpx_eq_u32_e32 0, v4
	s_cbranch_execz .LBB43_41
; %bb.40:                               ;   in Loop: Header=BB43_12 Depth=1
	v_mov_b32_e32 v4, s3
	global_atomic_min_i32 v21, v4, s[10:11]
.LBB43_41:                              ;   in Loop: Header=BB43_12 Depth=1
	s_or_b32 exec_lo, exec_lo, s20
	v_dual_mov_b32 v4, 1.0 :: v_dual_mov_b32 v5, 0
.LBB43_42:                              ;   in Loop: Header=BB43_12 Depth=1
	s_or_b32 exec_lo, exec_lo, s1
	s_delay_alu instid0(VALU_DEP_1) | instskip(SKIP_4) | instid1(VALU_DEP_1)
	v_mul_f32_e32 v28, v5, v5
	ds_load_b64 v[22:23], v15
	ds_load_b64 v[24:25], v21 offset:40
	ds_load_b64 v[26:27], v16 offset:8
	v_fmac_f32_e32 v28, v4, v4
	v_div_scale_f32 v29, null, v28, v28, 1.0
	v_div_scale_f32 v32, vcc_lo, 1.0, v28, 1.0
	s_delay_alu instid0(VALU_DEP_2)
	v_rcp_f32_e32 v30, v29
	s_waitcnt lgkmcnt(0)
	v_fma_f32 v27, v25, v22, v27
	v_fmac_f32_e32 v26, v24, v22
	s_waitcnt_depctr 0xfff
	v_fma_f32 v31, -v29, v30, 1.0
	v_fma_f32 v22, v24, -v23, v27
	s_delay_alu instid0(VALU_DEP_1) | instskip(NEXT) | instid1(VALU_DEP_3)
	v_dual_fmac_f32 v26, v25, v23 :: v_dual_sub_f32 v3, v3, v22
	v_fmac_f32_e32 v30, v31, v30
	s_delay_alu instid0(VALU_DEP_2) | instskip(NEXT) | instid1(VALU_DEP_2)
	v_dual_sub_f32 v2, v2, v26 :: v_dual_mul_f32 v23, v5, v3
	v_mul_f32_e32 v31, v32, v30
	s_delay_alu instid0(VALU_DEP_2) | instskip(NEXT) | instid1(VALU_DEP_2)
	v_mul_f32_e64 v5, v5, -v2
	v_fma_f32 v33, -v29, v31, v32
	s_delay_alu instid0(VALU_DEP_2) | instskip(SKIP_1) | instid1(VALU_DEP_3)
	v_fmac_f32_e32 v5, v3, v4
	v_fmac_f32_e32 v23, v2, v4
	;; [unrolled: 1-line block ×3, first 2 shown]
	s_delay_alu instid0(VALU_DEP_1) | instskip(NEXT) | instid1(VALU_DEP_1)
	v_fma_f32 v22, -v29, v31, v32
	v_div_fmas_f32 v22, v22, v30, v31
	s_delay_alu instid0(VALU_DEP_1) | instskip(NEXT) | instid1(VALU_DEP_1)
	v_div_fixup_f32 v22, v22, v28, 1.0
	v_mul_f32_e32 v3, v22, v5
	v_mul_f32_e32 v2, v22, v23
	ds_store_b64 v15, v[2:3] offset:8
	s_waitcnt lgkmcnt(0)
	s_waitcnt_vscnt null, 0x0
	buffer_gl0_inv
	ds_load_b64 v[4:5], v19 offset:8
	ds_load_b64 v[22:23], v9
	s_waitcnt lgkmcnt(0)
	v_fmac_f32_e32 v23, v3, v4
	v_fma_f32 v22, v2, v4, v22
	s_delay_alu instid0(VALU_DEP_2) | instskip(NEXT) | instid1(VALU_DEP_2)
	v_fma_f32 v23, v2, -v5, v23
	v_fmac_f32_e32 v22, v3, v5
	ds_store_b64 v9, v[22:23]
	s_waitcnt lgkmcnt(0)
	buffer_gl0_inv
	ds_load_b64 v[4:5], v21 offset:96
	ds_load_b64 v[2:3], v15 offset:16
	s_waitcnt lgkmcnt(1)
	v_cmp_neq_f32_e32 vcc_lo, 0, v4
	v_cmp_neq_f32_e64 s1, 0, v5
	s_delay_alu instid0(VALU_DEP_1) | instskip(SKIP_2) | instid1(SALU_CYCLE_1)
	s_or_b32 vcc_lo, vcc_lo, s1
	v_dual_cndmask_b32 v4, 1.0, v4 :: v_dual_cndmask_b32 v5, 0, v5
	s_or_b32 s1, vcc_lo, s0
	s_xor_b32 s20, s1, -1
	s_delay_alu instid0(SALU_CYCLE_1)
	s_and_saveexec_b32 s1, s20
	s_cbranch_execz .LBB43_46
; %bb.43:                               ;   in Loop: Header=BB43_12 Depth=1
	v_mbcnt_lo_u32_b32 v4, exec_lo, 0
	s_mov_b32 s20, exec_lo
	s_delay_alu instid0(VALU_DEP_1)
	v_cmpx_eq_u32_e32 0, v4
	s_cbranch_execz .LBB43_45
; %bb.44:                               ;   in Loop: Header=BB43_12 Depth=1
	v_mov_b32_e32 v4, s3
	global_atomic_min_i32 v21, v4, s[10:11]
.LBB43_45:                              ;   in Loop: Header=BB43_12 Depth=1
	s_or_b32 exec_lo, exec_lo, s20
	v_dual_mov_b32 v4, 1.0 :: v_dual_mov_b32 v5, 0
.LBB43_46:                              ;   in Loop: Header=BB43_12 Depth=1
	s_or_b32 exec_lo, exec_lo, s1
	ds_load_b128 v[22:25], v21 offset:80
	ds_load_2addr_b64 v[26:29], v15 offset1:1
	ds_load_b64 v[30:31], v16 offset:16
	s_waitcnt lgkmcnt(0)
	v_fma_f32 v31, v23, v26, v31
	v_fmac_f32_e32 v30, v22, v26
	s_delay_alu instid0(VALU_DEP_2) | instskip(NEXT) | instid1(VALU_DEP_2)
	v_fma_f32 v22, v22, -v27, v31
	v_fmac_f32_e32 v30, v23, v27
	s_delay_alu instid0(VALU_DEP_2) | instskip(NEXT) | instid1(VALU_DEP_2)
	v_fmac_f32_e32 v22, v25, v28
	v_fmac_f32_e32 v30, v24, v28
	s_delay_alu instid0(VALU_DEP_2) | instskip(SKIP_1) | instid1(VALU_DEP_2)
	v_fma_f32 v22, v24, -v29, v22
	v_mul_f32_e32 v32, v5, v5
	v_dual_fmac_f32 v30, v25, v29 :: v_dual_sub_f32 v3, v3, v22
	s_delay_alu instid0(VALU_DEP_2) | instskip(NEXT) | instid1(VALU_DEP_2)
	v_fmac_f32_e32 v32, v4, v4
	v_sub_f32_e32 v2, v2, v30
	s_delay_alu instid0(VALU_DEP_2) | instskip(SKIP_1) | instid1(VALU_DEP_2)
	v_div_scale_f32 v33, null, v32, v32, 1.0
	v_div_scale_f32 v36, vcc_lo, 1.0, v32, 1.0
	v_rcp_f32_e32 v34, v33
	s_waitcnt_depctr 0xfff
	v_fma_f32 v35, -v33, v34, 1.0
	s_delay_alu instid0(VALU_DEP_1) | instskip(NEXT) | instid1(VALU_DEP_1)
	v_fmac_f32_e32 v34, v35, v34
	v_mul_f32_e32 v26, v36, v34
	s_delay_alu instid0(VALU_DEP_1) | instskip(NEXT) | instid1(VALU_DEP_1)
	v_fma_f32 v23, -v33, v26, v36
	v_dual_fmac_f32 v26, v23, v34 :: v_dual_mul_f32 v23, v5, v3
	v_mul_f32_e64 v5, v5, -v2
	s_delay_alu instid0(VALU_DEP_2) | instskip(NEXT) | instid1(VALU_DEP_3)
	v_fma_f32 v22, -v33, v26, v36
	v_fmac_f32_e32 v23, v2, v4
	s_delay_alu instid0(VALU_DEP_3) | instskip(NEXT) | instid1(VALU_DEP_3)
	v_fmac_f32_e32 v5, v3, v4
	v_div_fmas_f32 v22, v22, v34, v26
	s_delay_alu instid0(VALU_DEP_1) | instskip(NEXT) | instid1(VALU_DEP_1)
	v_div_fixup_f32 v22, v22, v32, 1.0
	v_mul_f32_e32 v3, v22, v5
	v_mul_f32_e32 v2, v22, v23
	ds_store_b64 v15, v[2:3] offset:16
	s_waitcnt lgkmcnt(0)
	s_waitcnt_vscnt null, 0x0
	buffer_gl0_inv
	ds_load_b64 v[4:5], v19 offset:16
	ds_load_b64 v[22:23], v9
	s_waitcnt lgkmcnt(0)
	v_fma_f32 v22, v2, v4, v22
	v_fmac_f32_e32 v23, v3, v4
	s_delay_alu instid0(VALU_DEP_2) | instskip(NEXT) | instid1(VALU_DEP_2)
	v_fmac_f32_e32 v22, v3, v5
	v_fma_f32 v23, v2, -v5, v23
	ds_store_b64 v9, v[22:23]
	s_waitcnt lgkmcnt(0)
	buffer_gl0_inv
	ds_load_b64 v[4:5], v21 offset:144
	ds_load_b64 v[2:3], v15 offset:24
	s_waitcnt lgkmcnt(1)
	v_cmp_neq_f32_e32 vcc_lo, 0, v4
	v_cmp_neq_f32_e64 s1, 0, v5
	s_delay_alu instid0(VALU_DEP_1) | instskip(SKIP_2) | instid1(SALU_CYCLE_1)
	s_or_b32 vcc_lo, vcc_lo, s1
	v_dual_cndmask_b32 v4, 1.0, v4 :: v_dual_cndmask_b32 v5, 0, v5
	s_or_b32 s1, vcc_lo, s0
	s_xor_b32 s20, s1, -1
	s_delay_alu instid0(SALU_CYCLE_1)
	s_and_saveexec_b32 s1, s20
	s_cbranch_execz .LBB43_10
; %bb.47:                               ;   in Loop: Header=BB43_12 Depth=1
	v_mbcnt_lo_u32_b32 v4, exec_lo, 0
	s_mov_b32 s20, exec_lo
	s_delay_alu instid0(VALU_DEP_1)
	v_cmpx_eq_u32_e32 0, v4
	s_cbranch_execz .LBB43_9
; %bb.48:                               ;   in Loop: Header=BB43_12 Depth=1
	v_mov_b32_e32 v4, s3
	global_atomic_min_i32 v21, v4, s[10:11]
	s_branch .LBB43_9
.LBB43_49:
	s_waitcnt lgkmcnt(0)
	s_cmp_eq_u32 s28, 0
	v_cmp_ne_u32_e64 s1, 0, v7
	s_cselect_b32 vcc_lo, -1, 0
	s_mov_b32 s2, exec_lo
	v_cndmask_b32_e32 v0, v13, v11, vcc_lo
	s_delay_alu instid0(VALU_DEP_1) | instskip(NEXT) | instid1(VALU_DEP_1)
	v_lshl_add_u32 v0, s26, 4, v0
	v_ashrrev_i32_e32 v1, 31, v0
	s_delay_alu instid0(VALU_DEP_1) | instskip(NEXT) | instid1(VALU_DEP_1)
	v_lshlrev_b64 v[0:1], 3, v[0:1]
	v_add_co_u32 v0, vcc_lo, s18, v0
	s_delay_alu instid0(VALU_DEP_2)
	v_add_co_ci_u32_e32 v1, vcc_lo, s19, v1, vcc_lo
	global_load_b64 v[2:3], v[0:1], off
	s_waitcnt vmcnt(0)
	ds_store_b64 v10, v[2:3] offset:320
	s_waitcnt lgkmcnt(0)
	buffer_gl0_inv
	v_cmpx_eq_u32_e32 0, v7
	s_cbranch_execz .LBB43_57
; %bb.50:
	v_mov_b32_e32 v4, 0
	ds_load_2addr_b64 v[11:14], v4 offset0:40 offset1:60
	s_waitcnt lgkmcnt(0)
	v_dual_sub_f32 v5, v12, v14 :: v_dual_sub_f32 v2, v11, v13
	s_delay_alu instid0(VALU_DEP_1) | instskip(SKIP_1) | instid1(VALU_DEP_3)
	v_cmp_gt_f32_e32 vcc_lo, 0, v2
	v_cndmask_b32_e64 v2, v2, -v2, vcc_lo
	v_cmp_gt_f32_e32 vcc_lo, 0, v5
	v_cndmask_b32_e64 v3, v5, -v5, vcc_lo
	s_delay_alu instid0(VALU_DEP_1)
	v_cmp_ngt_f32_e32 vcc_lo, v2, v3
	s_cbranch_vccz .LBB43_53
; %bb.51:
	v_cmp_eq_f32_e32 vcc_lo, 0, v5
	s_mov_b32 s3, 0
	s_cbranch_vccnz .LBB43_54
; %bb.52:
	v_div_scale_f32 v4, null, v3, v3, v2
	v_div_scale_f32 v12, vcc_lo, v2, v3, v2
	s_delay_alu instid0(VALU_DEP_2) | instskip(SKIP_2) | instid1(VALU_DEP_1)
	v_rcp_f32_e32 v5, v4
	s_waitcnt_depctr 0xfff
	v_fma_f32 v11, -v4, v5, 1.0
	v_fmac_f32_e32 v5, v11, v5
	s_delay_alu instid0(VALU_DEP_1) | instskip(NEXT) | instid1(VALU_DEP_1)
	v_mul_f32_e32 v11, v12, v5
	v_fma_f32 v13, -v4, v11, v12
	s_delay_alu instid0(VALU_DEP_1) | instskip(NEXT) | instid1(VALU_DEP_1)
	v_fmac_f32_e32 v11, v13, v5
	v_fma_f32 v4, -v4, v11, v12
	s_delay_alu instid0(VALU_DEP_1) | instskip(NEXT) | instid1(VALU_DEP_1)
	v_div_fmas_f32 v4, v4, v5, v11
	v_div_fixup_f32 v4, v4, v3, v2
	s_delay_alu instid0(VALU_DEP_1) | instskip(NEXT) | instid1(VALU_DEP_1)
	v_fma_f32 v4, v4, v4, 1.0
	v_mul_f32_e32 v5, 0x4f800000, v4
	v_cmp_gt_f32_e32 vcc_lo, 0xf800000, v4
	s_delay_alu instid0(VALU_DEP_2) | instskip(NEXT) | instid1(VALU_DEP_1)
	v_cndmask_b32_e32 v4, v4, v5, vcc_lo
	v_sqrt_f32_e32 v5, v4
	s_waitcnt_depctr 0xfff
	v_add_nc_u32_e32 v11, -1, v5
	v_add_nc_u32_e32 v12, 1, v5
	s_delay_alu instid0(VALU_DEP_2) | instskip(NEXT) | instid1(VALU_DEP_2)
	v_fma_f32 v13, -v11, v5, v4
	v_fma_f32 v14, -v12, v5, v4
	s_delay_alu instid0(VALU_DEP_2) | instskip(NEXT) | instid1(VALU_DEP_1)
	v_cmp_ge_f32_e64 s0, 0, v13
	v_cndmask_b32_e64 v5, v5, v11, s0
	s_delay_alu instid0(VALU_DEP_3) | instskip(NEXT) | instid1(VALU_DEP_1)
	v_cmp_lt_f32_e64 s0, 0, v14
	v_cndmask_b32_e64 v5, v5, v12, s0
	s_delay_alu instid0(VALU_DEP_1) | instskip(NEXT) | instid1(VALU_DEP_1)
	v_mul_f32_e32 v11, 0x37800000, v5
	v_cndmask_b32_e32 v5, v5, v11, vcc_lo
	v_cmp_class_f32_e64 vcc_lo, v4, 0x260
	s_delay_alu instid0(VALU_DEP_2) | instskip(NEXT) | instid1(VALU_DEP_1)
	v_cndmask_b32_e32 v4, v5, v4, vcc_lo
	v_mul_f32_e32 v4, v3, v4
	s_branch .LBB43_54
.LBB43_53:
	s_mov_b32 s3, -1
                                        ; implicit-def: $vgpr4
.LBB43_54:
	s_delay_alu instid0(SALU_CYCLE_1)
	s_and_not1_b32 vcc_lo, exec_lo, s3
	s_cbranch_vccnz .LBB43_56
; %bb.55:
	v_div_scale_f32 v4, null, v2, v2, v3
	v_div_scale_f32 v12, vcc_lo, v3, v2, v3
	s_delay_alu instid0(VALU_DEP_2) | instskip(SKIP_2) | instid1(VALU_DEP_1)
	v_rcp_f32_e32 v5, v4
	s_waitcnt_depctr 0xfff
	v_fma_f32 v11, -v4, v5, 1.0
	v_fmac_f32_e32 v5, v11, v5
	s_delay_alu instid0(VALU_DEP_1) | instskip(NEXT) | instid1(VALU_DEP_1)
	v_mul_f32_e32 v11, v12, v5
	v_fma_f32 v13, -v4, v11, v12
	s_delay_alu instid0(VALU_DEP_1) | instskip(NEXT) | instid1(VALU_DEP_1)
	v_fmac_f32_e32 v11, v13, v5
	v_fma_f32 v4, -v4, v11, v12
	s_delay_alu instid0(VALU_DEP_1) | instskip(NEXT) | instid1(VALU_DEP_1)
	v_div_fmas_f32 v4, v4, v5, v11
	v_div_fixup_f32 v3, v4, v2, v3
	s_delay_alu instid0(VALU_DEP_1) | instskip(NEXT) | instid1(VALU_DEP_1)
	v_fma_f32 v3, v3, v3, 1.0
	v_mul_f32_e32 v4, 0x4f800000, v3
	v_cmp_gt_f32_e32 vcc_lo, 0xf800000, v3
	s_delay_alu instid0(VALU_DEP_2) | instskip(NEXT) | instid1(VALU_DEP_1)
	v_cndmask_b32_e32 v3, v3, v4, vcc_lo
	v_sqrt_f32_e32 v4, v3
	s_waitcnt_depctr 0xfff
	v_add_nc_u32_e32 v5, -1, v4
	v_add_nc_u32_e32 v11, 1, v4
	s_delay_alu instid0(VALU_DEP_2) | instskip(NEXT) | instid1(VALU_DEP_2)
	v_fma_f32 v12, -v5, v4, v3
	v_fma_f32 v13, -v11, v4, v3
	s_delay_alu instid0(VALU_DEP_2) | instskip(NEXT) | instid1(VALU_DEP_1)
	v_cmp_ge_f32_e64 s0, 0, v12
	v_cndmask_b32_e64 v4, v4, v5, s0
	s_delay_alu instid0(VALU_DEP_3) | instskip(NEXT) | instid1(VALU_DEP_1)
	v_cmp_lt_f32_e64 s0, 0, v13
	v_cndmask_b32_e64 v4, v4, v11, s0
	s_delay_alu instid0(VALU_DEP_1) | instskip(NEXT) | instid1(VALU_DEP_1)
	v_mul_f32_e32 v5, 0x37800000, v4
	v_cndmask_b32_e32 v4, v4, v5, vcc_lo
	v_cmp_class_f32_e64 vcc_lo, v3, 0x260
	s_delay_alu instid0(VALU_DEP_2) | instskip(NEXT) | instid1(VALU_DEP_1)
	v_cndmask_b32_e32 v3, v4, v3, vcc_lo
	v_mul_f32_e32 v4, v2, v3
.LBB43_56:
	s_delay_alu instid0(VALU_DEP_1) | instskip(SKIP_1) | instid1(VALU_DEP_2)
	v_mul_f32_e32 v2, 0x4f800000, v4
	v_cmp_gt_f32_e32 vcc_lo, 0xf800000, v4
	v_cndmask_b32_e32 v2, v4, v2, vcc_lo
	s_delay_alu instid0(VALU_DEP_1) | instskip(SKIP_3) | instid1(VALU_DEP_2)
	v_sqrt_f32_e32 v3, v2
	s_waitcnt_depctr 0xfff
	v_add_nc_u32_e32 v4, -1, v3
	v_add_nc_u32_e32 v5, 1, v3
	v_fma_f32 v11, -v4, v3, v2
	s_delay_alu instid0(VALU_DEP_2) | instskip(NEXT) | instid1(VALU_DEP_2)
	v_fma_f32 v12, -v5, v3, v2
	v_cmp_ge_f32_e64 s0, 0, v11
	s_delay_alu instid0(VALU_DEP_1) | instskip(NEXT) | instid1(VALU_DEP_3)
	v_cndmask_b32_e64 v3, v3, v4, s0
	v_cmp_lt_f32_e64 s0, 0, v12
	s_delay_alu instid0(VALU_DEP_1) | instskip(NEXT) | instid1(VALU_DEP_1)
	v_cndmask_b32_e64 v3, v3, v5, s0
	v_mul_f32_e32 v4, 0x37800000, v3
	s_delay_alu instid0(VALU_DEP_1) | instskip(SKIP_1) | instid1(VALU_DEP_2)
	v_cndmask_b32_e32 v3, v3, v4, vcc_lo
	v_cmp_class_f32_e64 vcc_lo, v2, 0x260
	v_dual_cndmask_b32 v2, v3, v2 :: v_dual_mov_b32 v3, 0
	ds_store_b64 v3, v[2:3] offset:320
.LBB43_57:
	s_or_b32 exec_lo, exec_lo, s2
	v_dual_mov_b32 v3, 0 :: v_dual_add_nc_u32 v2, 0x140, v10
	s_waitcnt lgkmcnt(0)
	buffer_gl0_inv
	v_cmp_ne_u32_e64 s0, 0, v8
	ds_load_b64 v[3:4], v3 offset:320
	s_waitcnt lgkmcnt(0)
	v_cmp_neq_f32_e32 vcc_lo, 0, v3
	v_cmp_neq_f32_e64 s2, 0, v4
	s_delay_alu instid0(VALU_DEP_1) | instskip(SKIP_3) | instid1(SALU_CYCLE_1)
	s_or_b32 vcc_lo, vcc_lo, s2
	s_add_i32 s2, s16, s17
	v_dual_cndmask_b32 v3, 1.0, v3 :: v_dual_cndmask_b32 v4, 0, v4
	s_or_b32 s3, vcc_lo, s0
	s_xor_b32 s4, s3, -1
	s_delay_alu instid0(SALU_CYCLE_1)
	s_and_saveexec_b32 s3, s4
	s_cbranch_execz .LBB43_61
; %bb.58:
	v_mbcnt_lo_u32_b32 v3, exec_lo, 0
	s_mov_b32 s4, exec_lo
	s_delay_alu instid0(VALU_DEP_1)
	v_cmpx_eq_u32_e32 0, v3
	s_cbranch_execz .LBB43_60
; %bb.59:
	v_dual_mov_b32 v3, 0 :: v_dual_mov_b32 v4, s2
	global_atomic_min_i32 v3, v4, s[10:11]
.LBB43_60:
	s_or_b32 exec_lo, exec_lo, s4
	v_dual_mov_b32 v3, 1.0 :: v_dual_mov_b32 v4, 0
.LBB43_61:
	s_or_b32 exec_lo, exec_lo, s3
	s_and_saveexec_b32 s3, s1
	s_cbranch_execz .LBB43_63
; %bb.62:
	v_mul_u32_u24_e32 v16, 40, v7
	ds_load_2addr_b64 v[10:13], v16 offset0:40 offset1:60
	s_waitcnt lgkmcnt(0)
	v_dual_sub_f32 v11, v11, v13 :: v_dual_sub_f32 v10, v10, v12
	s_delay_alu instid0(VALU_DEP_1) | instskip(SKIP_1) | instid1(VALU_DEP_3)
	v_mul_f32_e32 v12, v4, v11
	v_mul_f32_e32 v5, v4, v4
	v_mul_f32_e64 v4, v4, -v10
	s_delay_alu instid0(VALU_DEP_3) | instskip(NEXT) | instid1(VALU_DEP_3)
	v_fmac_f32_e32 v12, v10, v3
	v_fmac_f32_e32 v5, v3, v3
	s_delay_alu instid0(VALU_DEP_3) | instskip(NEXT) | instid1(VALU_DEP_2)
	v_fmac_f32_e32 v4, v11, v3
	v_div_scale_f32 v14, null, v5, v5, 1.0
	v_div_scale_f32 v18, vcc_lo, 1.0, v5, 1.0
	s_delay_alu instid0(VALU_DEP_2) | instskip(SKIP_2) | instid1(VALU_DEP_1)
	v_rcp_f32_e32 v15, v14
	s_waitcnt_depctr 0xfff
	v_fma_f32 v17, -v14, v15, 1.0
	v_fmac_f32_e32 v15, v17, v15
	s_delay_alu instid0(VALU_DEP_1) | instskip(NEXT) | instid1(VALU_DEP_1)
	v_mul_f32_e32 v17, v18, v15
	v_fma_f32 v19, -v14, v17, v18
	s_delay_alu instid0(VALU_DEP_1) | instskip(NEXT) | instid1(VALU_DEP_1)
	v_fmac_f32_e32 v17, v19, v15
	v_fma_f32 v13, -v14, v17, v18
	s_delay_alu instid0(VALU_DEP_1) | instskip(NEXT) | instid1(VALU_DEP_1)
	v_div_fmas_f32 v13, v13, v15, v17
	v_div_fixup_f32 v5, v13, v5, 1.0
	s_delay_alu instid0(VALU_DEP_1)
	v_mul_f32_e32 v3, v5, v12
	v_mul_f32_e32 v4, v5, v4
	v_mul_u32_u24_e32 v5, 40, v6
	ds_store_b64 v16, v[3:4] offset:320
	s_waitcnt lgkmcnt(0)
	s_waitcnt_vscnt null, 0x0
	buffer_gl0_inv
	ds_load_b64 v[10:11], v5 offset:320
	ds_load_b64 v[12:13], v9
	s_waitcnt lgkmcnt(0)
	v_fma_f32 v12, v3, v10, v12
	v_fmac_f32_e32 v13, v4, v10
	s_delay_alu instid0(VALU_DEP_2) | instskip(NEXT) | instid1(VALU_DEP_2)
	v_fmac_f32_e32 v12, v4, v11
	v_fma_f32 v13, v3, -v11, v13
	ds_store_b64 v9, v[12:13]
.LBB43_63:
	s_or_b32 exec_lo, exec_lo, s3
	s_delay_alu instid0(SALU_CYCLE_1)
	s_mov_b32 s3, exec_lo
	s_waitcnt lgkmcnt(0)
	s_waitcnt_vscnt null, 0x0
	buffer_gl0_inv
	v_cmpx_eq_u32_e32 1, v7
	s_cbranch_execz .LBB43_71
; %bb.64:
	v_mov_b32_e32 v5, 0
	ds_load_2addr_b64 v[10:13], v5 offset0:46 offset1:66
	s_waitcnt lgkmcnt(0)
	v_dual_sub_f32 v3, v10, v12 :: v_dual_sub_f32 v10, v11, v13
	s_delay_alu instid0(VALU_DEP_1) | instskip(SKIP_1) | instid1(VALU_DEP_3)
	v_cmp_gt_f32_e32 vcc_lo, 0, v3
	v_cndmask_b32_e64 v3, v3, -v3, vcc_lo
	v_cmp_gt_f32_e32 vcc_lo, 0, v10
	v_cndmask_b32_e64 v4, v10, -v10, vcc_lo
	s_delay_alu instid0(VALU_DEP_1)
	v_cmp_gt_f32_e32 vcc_lo, v3, v4
	s_cbranch_vccnz .LBB43_68
; %bb.65:
	v_cmp_eq_f32_e32 vcc_lo, 0, v10
	s_cbranch_vccnz .LBB43_67
; %bb.66:
	v_div_scale_f32 v5, null, v4, v4, v3
	v_div_scale_f32 v12, vcc_lo, v3, v4, v3
	s_delay_alu instid0(VALU_DEP_2) | instskip(SKIP_2) | instid1(VALU_DEP_1)
	v_rcp_f32_e32 v10, v5
	s_waitcnt_depctr 0xfff
	v_fma_f32 v11, -v5, v10, 1.0
	v_fmac_f32_e32 v10, v11, v10
	s_delay_alu instid0(VALU_DEP_1) | instskip(NEXT) | instid1(VALU_DEP_1)
	v_mul_f32_e32 v11, v12, v10
	v_fma_f32 v13, -v5, v11, v12
	s_delay_alu instid0(VALU_DEP_1) | instskip(NEXT) | instid1(VALU_DEP_1)
	v_fmac_f32_e32 v11, v13, v10
	v_fma_f32 v5, -v5, v11, v12
	s_delay_alu instid0(VALU_DEP_1) | instskip(NEXT) | instid1(VALU_DEP_1)
	v_div_fmas_f32 v5, v5, v10, v11
	v_div_fixup_f32 v5, v5, v4, v3
	s_delay_alu instid0(VALU_DEP_1) | instskip(NEXT) | instid1(VALU_DEP_1)
	v_fma_f32 v5, v5, v5, 1.0
	v_mul_f32_e32 v10, 0x4f800000, v5
	v_cmp_gt_f32_e32 vcc_lo, 0xf800000, v5
	s_delay_alu instid0(VALU_DEP_2) | instskip(NEXT) | instid1(VALU_DEP_1)
	v_cndmask_b32_e32 v5, v5, v10, vcc_lo
	v_sqrt_f32_e32 v10, v5
	s_waitcnt_depctr 0xfff
	v_add_nc_u32_e32 v11, -1, v10
	v_add_nc_u32_e32 v12, 1, v10
	s_delay_alu instid0(VALU_DEP_2) | instskip(NEXT) | instid1(VALU_DEP_2)
	v_fma_f32 v13, -v11, v10, v5
	v_fma_f32 v14, -v12, v10, v5
	s_delay_alu instid0(VALU_DEP_2) | instskip(NEXT) | instid1(VALU_DEP_1)
	v_cmp_ge_f32_e64 s1, 0, v13
	v_cndmask_b32_e64 v10, v10, v11, s1
	s_delay_alu instid0(VALU_DEP_3) | instskip(NEXT) | instid1(VALU_DEP_1)
	v_cmp_lt_f32_e64 s1, 0, v14
	v_cndmask_b32_e64 v10, v10, v12, s1
	s_delay_alu instid0(VALU_DEP_1) | instskip(NEXT) | instid1(VALU_DEP_1)
	v_mul_f32_e32 v11, 0x37800000, v10
	v_cndmask_b32_e32 v10, v10, v11, vcc_lo
	v_cmp_class_f32_e64 vcc_lo, v5, 0x260
	s_delay_alu instid0(VALU_DEP_2) | instskip(NEXT) | instid1(VALU_DEP_1)
	v_cndmask_b32_e32 v5, v10, v5, vcc_lo
	v_mul_f32_e32 v5, v4, v5
.LBB43_67:
	s_cbranch_execz .LBB43_69
	s_branch .LBB43_70
.LBB43_68:
                                        ; implicit-def: $vgpr5
.LBB43_69:
	v_div_scale_f32 v5, null, v3, v3, v4
	v_div_scale_f32 v12, vcc_lo, v4, v3, v4
	s_delay_alu instid0(VALU_DEP_2) | instskip(SKIP_2) | instid1(VALU_DEP_1)
	v_rcp_f32_e32 v10, v5
	s_waitcnt_depctr 0xfff
	v_fma_f32 v11, -v5, v10, 1.0
	v_fmac_f32_e32 v10, v11, v10
	s_delay_alu instid0(VALU_DEP_1) | instskip(NEXT) | instid1(VALU_DEP_1)
	v_mul_f32_e32 v11, v12, v10
	v_fma_f32 v13, -v5, v11, v12
	s_delay_alu instid0(VALU_DEP_1) | instskip(NEXT) | instid1(VALU_DEP_1)
	v_fmac_f32_e32 v11, v13, v10
	v_fma_f32 v5, -v5, v11, v12
	s_delay_alu instid0(VALU_DEP_1) | instskip(NEXT) | instid1(VALU_DEP_1)
	v_div_fmas_f32 v5, v5, v10, v11
	v_div_fixup_f32 v4, v5, v3, v4
	s_delay_alu instid0(VALU_DEP_1) | instskip(NEXT) | instid1(VALU_DEP_1)
	v_fma_f32 v4, v4, v4, 1.0
	v_mul_f32_e32 v5, 0x4f800000, v4
	v_cmp_gt_f32_e32 vcc_lo, 0xf800000, v4
	s_delay_alu instid0(VALU_DEP_2) | instskip(NEXT) | instid1(VALU_DEP_1)
	v_cndmask_b32_e32 v4, v4, v5, vcc_lo
	v_sqrt_f32_e32 v5, v4
	s_waitcnt_depctr 0xfff
	v_add_nc_u32_e32 v10, -1, v5
	v_add_nc_u32_e32 v11, 1, v5
	s_delay_alu instid0(VALU_DEP_2) | instskip(NEXT) | instid1(VALU_DEP_2)
	v_fma_f32 v12, -v10, v5, v4
	v_fma_f32 v13, -v11, v5, v4
	s_delay_alu instid0(VALU_DEP_2) | instskip(NEXT) | instid1(VALU_DEP_1)
	v_cmp_ge_f32_e64 s1, 0, v12
	v_cndmask_b32_e64 v5, v5, v10, s1
	s_delay_alu instid0(VALU_DEP_3) | instskip(NEXT) | instid1(VALU_DEP_1)
	v_cmp_lt_f32_e64 s1, 0, v13
	v_cndmask_b32_e64 v5, v5, v11, s1
	s_delay_alu instid0(VALU_DEP_1) | instskip(NEXT) | instid1(VALU_DEP_1)
	v_mul_f32_e32 v10, 0x37800000, v5
	v_cndmask_b32_e32 v5, v5, v10, vcc_lo
	v_cmp_class_f32_e64 vcc_lo, v4, 0x260
	s_delay_alu instid0(VALU_DEP_2) | instskip(NEXT) | instid1(VALU_DEP_1)
	v_cndmask_b32_e32 v4, v5, v4, vcc_lo
	v_mul_f32_e32 v5, v3, v4
.LBB43_70:
	s_delay_alu instid0(VALU_DEP_1) | instskip(SKIP_1) | instid1(VALU_DEP_2)
	v_mul_f32_e32 v3, 0x4f800000, v5
	v_cmp_gt_f32_e32 vcc_lo, 0xf800000, v5
	v_cndmask_b32_e32 v3, v5, v3, vcc_lo
	s_delay_alu instid0(VALU_DEP_1) | instskip(SKIP_3) | instid1(VALU_DEP_2)
	v_sqrt_f32_e32 v4, v3
	s_waitcnt_depctr 0xfff
	v_add_nc_u32_e32 v5, -1, v4
	v_add_nc_u32_e32 v10, 1, v4
	v_fma_f32 v11, -v5, v4, v3
	s_delay_alu instid0(VALU_DEP_2) | instskip(NEXT) | instid1(VALU_DEP_2)
	v_fma_f32 v12, -v10, v4, v3
	v_cmp_ge_f32_e64 s1, 0, v11
	s_delay_alu instid0(VALU_DEP_1) | instskip(NEXT) | instid1(VALU_DEP_3)
	v_cndmask_b32_e64 v4, v4, v5, s1
	v_cmp_lt_f32_e64 s1, 0, v12
	s_delay_alu instid0(VALU_DEP_1) | instskip(NEXT) | instid1(VALU_DEP_1)
	v_cndmask_b32_e64 v4, v4, v10, s1
	v_mul_f32_e32 v5, 0x37800000, v4
	s_delay_alu instid0(VALU_DEP_1) | instskip(SKIP_1) | instid1(VALU_DEP_2)
	v_cndmask_b32_e32 v4, v4, v5, vcc_lo
	v_cmp_class_f32_e64 vcc_lo, v3, 0x260
	v_dual_cndmask_b32 v3, v4, v3 :: v_dual_mov_b32 v4, 0
	ds_store_b64 v4, v[3:4] offset:368
.LBB43_71:
	s_or_b32 exec_lo, exec_lo, s3
	v_mov_b32_e32 v3, 0
	s_waitcnt lgkmcnt(0)
	buffer_gl0_inv
	ds_load_b64 v[3:4], v3 offset:368
	s_waitcnt lgkmcnt(0)
	v_cmp_neq_f32_e32 vcc_lo, 0, v3
	v_cmp_neq_f32_e64 s1, 0, v4
	s_delay_alu instid0(VALU_DEP_1) | instskip(SKIP_2) | instid1(SALU_CYCLE_1)
	s_or_b32 vcc_lo, vcc_lo, s1
	v_dual_cndmask_b32 v4, 0, v4 :: v_dual_cndmask_b32 v3, 1.0, v3
	s_or_b32 s1, vcc_lo, s0
	s_xor_b32 s3, s1, -1
	s_delay_alu instid0(SALU_CYCLE_1)
	s_and_saveexec_b32 s1, s3
	s_cbranch_execz .LBB43_75
; %bb.72:
	v_mbcnt_lo_u32_b32 v3, exec_lo, 0
	s_mov_b32 s3, exec_lo
	s_delay_alu instid0(VALU_DEP_1)
	v_cmpx_eq_u32_e32 0, v3
	s_cbranch_execz .LBB43_74
; %bb.73:
	v_dual_mov_b32 v3, 0 :: v_dual_mov_b32 v4, s2
	global_atomic_min_i32 v3, v4, s[10:11]
.LBB43_74:
	s_or_b32 exec_lo, exec_lo, s3
	v_dual_mov_b32 v3, 1.0 :: v_dual_mov_b32 v4, 0
.LBB43_75:
	s_or_b32 exec_lo, exec_lo, s1
	s_delay_alu instid0(SALU_CYCLE_1)
	s_mov_b32 s1, exec_lo
	v_cmpx_lt_u32_e32 1, v7
	s_cbranch_execz .LBB43_77
; %bb.76:
	v_mul_u32_u24_e32 v16, 40, v7
	ds_load_2addr_b64 v[10:13], v16 offset0:41 offset1:61
	s_waitcnt lgkmcnt(0)
	v_dual_sub_f32 v11, v11, v13 :: v_dual_sub_f32 v10, v10, v12
	s_delay_alu instid0(VALU_DEP_1) | instskip(SKIP_1) | instid1(VALU_DEP_3)
	v_mul_f32_e32 v12, v4, v11
	v_mul_f32_e32 v5, v4, v4
	v_mul_f32_e64 v4, v4, -v10
	s_delay_alu instid0(VALU_DEP_3) | instskip(NEXT) | instid1(VALU_DEP_3)
	v_fmac_f32_e32 v12, v10, v3
	v_fmac_f32_e32 v5, v3, v3
	s_delay_alu instid0(VALU_DEP_3) | instskip(NEXT) | instid1(VALU_DEP_2)
	v_fmac_f32_e32 v4, v11, v3
	v_div_scale_f32 v14, null, v5, v5, 1.0
	v_div_scale_f32 v18, vcc_lo, 1.0, v5, 1.0
	s_delay_alu instid0(VALU_DEP_2) | instskip(SKIP_2) | instid1(VALU_DEP_1)
	v_rcp_f32_e32 v15, v14
	s_waitcnt_depctr 0xfff
	v_fma_f32 v17, -v14, v15, 1.0
	v_fmac_f32_e32 v15, v17, v15
	s_delay_alu instid0(VALU_DEP_1) | instskip(NEXT) | instid1(VALU_DEP_1)
	v_mul_f32_e32 v17, v18, v15
	v_fma_f32 v19, -v14, v17, v18
	s_delay_alu instid0(VALU_DEP_1) | instskip(NEXT) | instid1(VALU_DEP_1)
	v_fmac_f32_e32 v17, v19, v15
	v_fma_f32 v13, -v14, v17, v18
	s_delay_alu instid0(VALU_DEP_1) | instskip(NEXT) | instid1(VALU_DEP_1)
	v_div_fmas_f32 v13, v13, v15, v17
	v_div_fixup_f32 v5, v13, v5, 1.0
	s_delay_alu instid0(VALU_DEP_1)
	v_mul_f32_e32 v3, v5, v12
	v_mul_f32_e32 v4, v5, v4
	v_mul_u32_u24_e32 v5, 40, v6
	ds_store_b64 v16, v[3:4] offset:328
	s_waitcnt lgkmcnt(0)
	s_waitcnt_vscnt null, 0x0
	buffer_gl0_inv
	ds_load_b64 v[10:11], v5 offset:328
	ds_load_b64 v[12:13], v9
	s_waitcnt lgkmcnt(0)
	v_fma_f32 v12, v3, v10, v12
	v_fmac_f32_e32 v13, v4, v10
	s_delay_alu instid0(VALU_DEP_2) | instskip(NEXT) | instid1(VALU_DEP_2)
	v_fmac_f32_e32 v12, v4, v11
	v_fma_f32 v13, v3, -v11, v13
	ds_store_b64 v9, v[12:13]
.LBB43_77:
	s_or_b32 exec_lo, exec_lo, s1
	s_delay_alu instid0(SALU_CYCLE_1)
	s_mov_b32 s3, exec_lo
	s_waitcnt lgkmcnt(0)
	s_waitcnt_vscnt null, 0x0
	buffer_gl0_inv
	v_cmpx_eq_u32_e32 2, v7
	s_cbranch_execz .LBB43_85
; %bb.78:
	v_mov_b32_e32 v5, 0
	ds_load_2addr_b64 v[10:13], v5 offset0:52 offset1:72
	s_waitcnt lgkmcnt(0)
	v_dual_sub_f32 v3, v10, v12 :: v_dual_sub_f32 v10, v11, v13
	s_delay_alu instid0(VALU_DEP_1) | instskip(SKIP_1) | instid1(VALU_DEP_3)
	v_cmp_gt_f32_e32 vcc_lo, 0, v3
	v_cndmask_b32_e64 v3, v3, -v3, vcc_lo
	v_cmp_gt_f32_e32 vcc_lo, 0, v10
	v_cndmask_b32_e64 v4, v10, -v10, vcc_lo
	s_delay_alu instid0(VALU_DEP_1)
	v_cmp_gt_f32_e32 vcc_lo, v3, v4
	s_cbranch_vccnz .LBB43_82
; %bb.79:
	v_cmp_eq_f32_e32 vcc_lo, 0, v10
	s_cbranch_vccnz .LBB43_81
; %bb.80:
	v_div_scale_f32 v5, null, v4, v4, v3
	v_div_scale_f32 v12, vcc_lo, v3, v4, v3
	s_delay_alu instid0(VALU_DEP_2) | instskip(SKIP_2) | instid1(VALU_DEP_1)
	v_rcp_f32_e32 v10, v5
	s_waitcnt_depctr 0xfff
	v_fma_f32 v11, -v5, v10, 1.0
	v_fmac_f32_e32 v10, v11, v10
	s_delay_alu instid0(VALU_DEP_1) | instskip(NEXT) | instid1(VALU_DEP_1)
	v_mul_f32_e32 v11, v12, v10
	v_fma_f32 v13, -v5, v11, v12
	s_delay_alu instid0(VALU_DEP_1) | instskip(NEXT) | instid1(VALU_DEP_1)
	v_fmac_f32_e32 v11, v13, v10
	v_fma_f32 v5, -v5, v11, v12
	s_delay_alu instid0(VALU_DEP_1) | instskip(NEXT) | instid1(VALU_DEP_1)
	v_div_fmas_f32 v5, v5, v10, v11
	v_div_fixup_f32 v5, v5, v4, v3
	s_delay_alu instid0(VALU_DEP_1) | instskip(NEXT) | instid1(VALU_DEP_1)
	v_fma_f32 v5, v5, v5, 1.0
	v_mul_f32_e32 v10, 0x4f800000, v5
	v_cmp_gt_f32_e32 vcc_lo, 0xf800000, v5
	s_delay_alu instid0(VALU_DEP_2) | instskip(NEXT) | instid1(VALU_DEP_1)
	v_cndmask_b32_e32 v5, v5, v10, vcc_lo
	v_sqrt_f32_e32 v10, v5
	s_waitcnt_depctr 0xfff
	v_add_nc_u32_e32 v11, -1, v10
	v_add_nc_u32_e32 v12, 1, v10
	s_delay_alu instid0(VALU_DEP_2) | instskip(NEXT) | instid1(VALU_DEP_2)
	v_fma_f32 v13, -v11, v10, v5
	v_fma_f32 v14, -v12, v10, v5
	s_delay_alu instid0(VALU_DEP_2) | instskip(NEXT) | instid1(VALU_DEP_1)
	v_cmp_ge_f32_e64 s1, 0, v13
	v_cndmask_b32_e64 v10, v10, v11, s1
	s_delay_alu instid0(VALU_DEP_3) | instskip(NEXT) | instid1(VALU_DEP_1)
	v_cmp_lt_f32_e64 s1, 0, v14
	v_cndmask_b32_e64 v10, v10, v12, s1
	s_delay_alu instid0(VALU_DEP_1) | instskip(NEXT) | instid1(VALU_DEP_1)
	v_mul_f32_e32 v11, 0x37800000, v10
	v_cndmask_b32_e32 v10, v10, v11, vcc_lo
	v_cmp_class_f32_e64 vcc_lo, v5, 0x260
	s_delay_alu instid0(VALU_DEP_2) | instskip(NEXT) | instid1(VALU_DEP_1)
	v_cndmask_b32_e32 v5, v10, v5, vcc_lo
	v_mul_f32_e32 v5, v4, v5
.LBB43_81:
	s_cbranch_execz .LBB43_83
	s_branch .LBB43_84
.LBB43_82:
                                        ; implicit-def: $vgpr5
.LBB43_83:
	v_div_scale_f32 v5, null, v3, v3, v4
	v_div_scale_f32 v12, vcc_lo, v4, v3, v4
	s_delay_alu instid0(VALU_DEP_2) | instskip(SKIP_2) | instid1(VALU_DEP_1)
	v_rcp_f32_e32 v10, v5
	s_waitcnt_depctr 0xfff
	v_fma_f32 v11, -v5, v10, 1.0
	v_fmac_f32_e32 v10, v11, v10
	s_delay_alu instid0(VALU_DEP_1) | instskip(NEXT) | instid1(VALU_DEP_1)
	v_mul_f32_e32 v11, v12, v10
	v_fma_f32 v13, -v5, v11, v12
	s_delay_alu instid0(VALU_DEP_1) | instskip(NEXT) | instid1(VALU_DEP_1)
	v_fmac_f32_e32 v11, v13, v10
	v_fma_f32 v5, -v5, v11, v12
	s_delay_alu instid0(VALU_DEP_1) | instskip(NEXT) | instid1(VALU_DEP_1)
	v_div_fmas_f32 v5, v5, v10, v11
	v_div_fixup_f32 v4, v5, v3, v4
	s_delay_alu instid0(VALU_DEP_1) | instskip(NEXT) | instid1(VALU_DEP_1)
	v_fma_f32 v4, v4, v4, 1.0
	v_mul_f32_e32 v5, 0x4f800000, v4
	v_cmp_gt_f32_e32 vcc_lo, 0xf800000, v4
	s_delay_alu instid0(VALU_DEP_2) | instskip(NEXT) | instid1(VALU_DEP_1)
	v_cndmask_b32_e32 v4, v4, v5, vcc_lo
	v_sqrt_f32_e32 v5, v4
	s_waitcnt_depctr 0xfff
	v_add_nc_u32_e32 v10, -1, v5
	v_add_nc_u32_e32 v11, 1, v5
	s_delay_alu instid0(VALU_DEP_2) | instskip(NEXT) | instid1(VALU_DEP_2)
	v_fma_f32 v12, -v10, v5, v4
	v_fma_f32 v13, -v11, v5, v4
	s_delay_alu instid0(VALU_DEP_2) | instskip(NEXT) | instid1(VALU_DEP_1)
	v_cmp_ge_f32_e64 s1, 0, v12
	v_cndmask_b32_e64 v5, v5, v10, s1
	s_delay_alu instid0(VALU_DEP_3) | instskip(NEXT) | instid1(VALU_DEP_1)
	v_cmp_lt_f32_e64 s1, 0, v13
	v_cndmask_b32_e64 v5, v5, v11, s1
	s_delay_alu instid0(VALU_DEP_1) | instskip(NEXT) | instid1(VALU_DEP_1)
	v_mul_f32_e32 v10, 0x37800000, v5
	v_cndmask_b32_e32 v5, v5, v10, vcc_lo
	v_cmp_class_f32_e64 vcc_lo, v4, 0x260
	s_delay_alu instid0(VALU_DEP_2) | instskip(NEXT) | instid1(VALU_DEP_1)
	v_cndmask_b32_e32 v4, v5, v4, vcc_lo
	v_mul_f32_e32 v5, v3, v4
.LBB43_84:
	s_delay_alu instid0(VALU_DEP_1) | instskip(SKIP_1) | instid1(VALU_DEP_2)
	v_mul_f32_e32 v3, 0x4f800000, v5
	v_cmp_gt_f32_e32 vcc_lo, 0xf800000, v5
	v_cndmask_b32_e32 v3, v5, v3, vcc_lo
	s_delay_alu instid0(VALU_DEP_1) | instskip(SKIP_3) | instid1(VALU_DEP_2)
	v_sqrt_f32_e32 v4, v3
	s_waitcnt_depctr 0xfff
	v_add_nc_u32_e32 v5, -1, v4
	v_add_nc_u32_e32 v10, 1, v4
	v_fma_f32 v11, -v5, v4, v3
	s_delay_alu instid0(VALU_DEP_2) | instskip(NEXT) | instid1(VALU_DEP_2)
	v_fma_f32 v12, -v10, v4, v3
	v_cmp_ge_f32_e64 s1, 0, v11
	s_delay_alu instid0(VALU_DEP_1) | instskip(NEXT) | instid1(VALU_DEP_3)
	v_cndmask_b32_e64 v4, v4, v5, s1
	v_cmp_lt_f32_e64 s1, 0, v12
	s_delay_alu instid0(VALU_DEP_1) | instskip(NEXT) | instid1(VALU_DEP_1)
	v_cndmask_b32_e64 v4, v4, v10, s1
	v_mul_f32_e32 v5, 0x37800000, v4
	s_delay_alu instid0(VALU_DEP_1) | instskip(SKIP_1) | instid1(VALU_DEP_2)
	v_cndmask_b32_e32 v4, v4, v5, vcc_lo
	v_cmp_class_f32_e64 vcc_lo, v3, 0x260
	v_dual_cndmask_b32 v3, v4, v3 :: v_dual_mov_b32 v4, 0
	ds_store_b64 v4, v[3:4] offset:416
.LBB43_85:
	s_or_b32 exec_lo, exec_lo, s3
	v_mov_b32_e32 v3, 0
	s_waitcnt lgkmcnt(0)
	buffer_gl0_inv
	ds_load_b64 v[3:4], v3 offset:416
	s_waitcnt lgkmcnt(0)
	v_cmp_neq_f32_e32 vcc_lo, 0, v3
	v_cmp_neq_f32_e64 s1, 0, v4
	s_delay_alu instid0(VALU_DEP_1) | instskip(SKIP_2) | instid1(SALU_CYCLE_1)
	s_or_b32 vcc_lo, vcc_lo, s1
	v_dual_cndmask_b32 v4, 0, v4 :: v_dual_cndmask_b32 v3, 1.0, v3
	s_or_b32 s1, vcc_lo, s0
	s_xor_b32 s3, s1, -1
	s_delay_alu instid0(SALU_CYCLE_1)
	s_and_saveexec_b32 s1, s3
	s_cbranch_execz .LBB43_89
; %bb.86:
	v_mbcnt_lo_u32_b32 v3, exec_lo, 0
	s_mov_b32 s3, exec_lo
	s_delay_alu instid0(VALU_DEP_1)
	v_cmpx_eq_u32_e32 0, v3
	s_cbranch_execz .LBB43_88
; %bb.87:
	v_dual_mov_b32 v3, 0 :: v_dual_mov_b32 v4, s2
	global_atomic_min_i32 v3, v4, s[10:11]
.LBB43_88:
	s_or_b32 exec_lo, exec_lo, s3
	v_dual_mov_b32 v3, 1.0 :: v_dual_mov_b32 v4, 0
.LBB43_89:
	s_or_b32 exec_lo, exec_lo, s1
	s_delay_alu instid0(SALU_CYCLE_1)
	s_mov_b32 s1, exec_lo
	v_cmpx_lt_u32_e32 2, v7
	s_cbranch_execz .LBB43_91
; %bb.90:
	v_mul_u32_u24_e32 v16, 40, v7
	ds_load_2addr_b64 v[10:13], v16 offset0:42 offset1:62
	s_waitcnt lgkmcnt(0)
	v_dual_sub_f32 v11, v11, v13 :: v_dual_sub_f32 v10, v10, v12
	s_delay_alu instid0(VALU_DEP_1) | instskip(SKIP_1) | instid1(VALU_DEP_3)
	v_mul_f32_e32 v12, v4, v11
	v_mul_f32_e32 v5, v4, v4
	v_mul_f32_e64 v4, v4, -v10
	s_delay_alu instid0(VALU_DEP_3) | instskip(NEXT) | instid1(VALU_DEP_3)
	v_fmac_f32_e32 v12, v10, v3
	v_fmac_f32_e32 v5, v3, v3
	s_delay_alu instid0(VALU_DEP_3) | instskip(NEXT) | instid1(VALU_DEP_2)
	v_fmac_f32_e32 v4, v11, v3
	v_div_scale_f32 v14, null, v5, v5, 1.0
	v_div_scale_f32 v18, vcc_lo, 1.0, v5, 1.0
	s_delay_alu instid0(VALU_DEP_2) | instskip(SKIP_2) | instid1(VALU_DEP_1)
	v_rcp_f32_e32 v15, v14
	s_waitcnt_depctr 0xfff
	v_fma_f32 v17, -v14, v15, 1.0
	v_fmac_f32_e32 v15, v17, v15
	s_delay_alu instid0(VALU_DEP_1) | instskip(NEXT) | instid1(VALU_DEP_1)
	v_mul_f32_e32 v17, v18, v15
	v_fma_f32 v19, -v14, v17, v18
	s_delay_alu instid0(VALU_DEP_1) | instskip(NEXT) | instid1(VALU_DEP_1)
	v_fmac_f32_e32 v17, v19, v15
	v_fma_f32 v13, -v14, v17, v18
	s_delay_alu instid0(VALU_DEP_1) | instskip(NEXT) | instid1(VALU_DEP_1)
	v_div_fmas_f32 v13, v13, v15, v17
	v_div_fixup_f32 v5, v13, v5, 1.0
	s_delay_alu instid0(VALU_DEP_1)
	v_mul_f32_e32 v3, v5, v12
	v_mul_f32_e32 v4, v5, v4
	v_mul_u32_u24_e32 v5, 40, v6
	ds_store_b64 v16, v[3:4] offset:336
	s_waitcnt lgkmcnt(0)
	s_waitcnt_vscnt null, 0x0
	buffer_gl0_inv
	ds_load_b64 v[10:11], v5 offset:336
	ds_load_b64 v[12:13], v9
	s_waitcnt lgkmcnt(0)
	v_fma_f32 v12, v3, v10, v12
	v_fmac_f32_e32 v13, v4, v10
	s_delay_alu instid0(VALU_DEP_2) | instskip(NEXT) | instid1(VALU_DEP_2)
	v_fmac_f32_e32 v12, v4, v11
	v_fma_f32 v13, v3, -v11, v13
	ds_store_b64 v9, v[12:13]
.LBB43_91:
	s_or_b32 exec_lo, exec_lo, s1
	s_delay_alu instid0(SALU_CYCLE_1)
	s_mov_b32 s3, exec_lo
	s_waitcnt lgkmcnt(0)
	s_waitcnt_vscnt null, 0x0
	buffer_gl0_inv
	v_cmpx_eq_u32_e32 3, v7
	s_cbranch_execz .LBB43_99
; %bb.92:
	v_mov_b32_e32 v5, 0
	ds_load_2addr_b64 v[10:13], v5 offset0:58 offset1:78
	s_waitcnt lgkmcnt(0)
	v_dual_sub_f32 v3, v10, v12 :: v_dual_sub_f32 v10, v11, v13
	s_delay_alu instid0(VALU_DEP_1) | instskip(SKIP_1) | instid1(VALU_DEP_3)
	v_cmp_gt_f32_e32 vcc_lo, 0, v3
	v_cndmask_b32_e64 v3, v3, -v3, vcc_lo
	v_cmp_gt_f32_e32 vcc_lo, 0, v10
	v_cndmask_b32_e64 v4, v10, -v10, vcc_lo
	s_delay_alu instid0(VALU_DEP_1)
	v_cmp_gt_f32_e32 vcc_lo, v3, v4
	s_cbranch_vccnz .LBB43_96
; %bb.93:
	v_cmp_eq_f32_e32 vcc_lo, 0, v10
	s_cbranch_vccnz .LBB43_95
; %bb.94:
	v_div_scale_f32 v5, null, v4, v4, v3
	v_div_scale_f32 v12, vcc_lo, v3, v4, v3
	s_delay_alu instid0(VALU_DEP_2) | instskip(SKIP_2) | instid1(VALU_DEP_1)
	v_rcp_f32_e32 v10, v5
	s_waitcnt_depctr 0xfff
	v_fma_f32 v11, -v5, v10, 1.0
	v_fmac_f32_e32 v10, v11, v10
	s_delay_alu instid0(VALU_DEP_1) | instskip(NEXT) | instid1(VALU_DEP_1)
	v_mul_f32_e32 v11, v12, v10
	v_fma_f32 v13, -v5, v11, v12
	s_delay_alu instid0(VALU_DEP_1) | instskip(NEXT) | instid1(VALU_DEP_1)
	v_fmac_f32_e32 v11, v13, v10
	v_fma_f32 v5, -v5, v11, v12
	s_delay_alu instid0(VALU_DEP_1) | instskip(NEXT) | instid1(VALU_DEP_1)
	v_div_fmas_f32 v5, v5, v10, v11
	v_div_fixup_f32 v5, v5, v4, v3
	s_delay_alu instid0(VALU_DEP_1) | instskip(NEXT) | instid1(VALU_DEP_1)
	v_fma_f32 v5, v5, v5, 1.0
	v_mul_f32_e32 v10, 0x4f800000, v5
	v_cmp_gt_f32_e32 vcc_lo, 0xf800000, v5
	s_delay_alu instid0(VALU_DEP_2) | instskip(NEXT) | instid1(VALU_DEP_1)
	v_cndmask_b32_e32 v5, v5, v10, vcc_lo
	v_sqrt_f32_e32 v10, v5
	s_waitcnt_depctr 0xfff
	v_add_nc_u32_e32 v11, -1, v10
	v_add_nc_u32_e32 v12, 1, v10
	s_delay_alu instid0(VALU_DEP_2) | instskip(NEXT) | instid1(VALU_DEP_2)
	v_fma_f32 v13, -v11, v10, v5
	v_fma_f32 v14, -v12, v10, v5
	s_delay_alu instid0(VALU_DEP_2) | instskip(NEXT) | instid1(VALU_DEP_1)
	v_cmp_ge_f32_e64 s1, 0, v13
	v_cndmask_b32_e64 v10, v10, v11, s1
	s_delay_alu instid0(VALU_DEP_3) | instskip(NEXT) | instid1(VALU_DEP_1)
	v_cmp_lt_f32_e64 s1, 0, v14
	v_cndmask_b32_e64 v10, v10, v12, s1
	s_delay_alu instid0(VALU_DEP_1) | instskip(NEXT) | instid1(VALU_DEP_1)
	v_mul_f32_e32 v11, 0x37800000, v10
	v_cndmask_b32_e32 v10, v10, v11, vcc_lo
	v_cmp_class_f32_e64 vcc_lo, v5, 0x260
	s_delay_alu instid0(VALU_DEP_2) | instskip(NEXT) | instid1(VALU_DEP_1)
	v_cndmask_b32_e32 v5, v10, v5, vcc_lo
	v_mul_f32_e32 v5, v4, v5
.LBB43_95:
	s_cbranch_execz .LBB43_97
	s_branch .LBB43_98
.LBB43_96:
                                        ; implicit-def: $vgpr5
.LBB43_97:
	v_div_scale_f32 v5, null, v3, v3, v4
	v_div_scale_f32 v12, vcc_lo, v4, v3, v4
	s_delay_alu instid0(VALU_DEP_2) | instskip(SKIP_2) | instid1(VALU_DEP_1)
	v_rcp_f32_e32 v10, v5
	s_waitcnt_depctr 0xfff
	v_fma_f32 v11, -v5, v10, 1.0
	v_fmac_f32_e32 v10, v11, v10
	s_delay_alu instid0(VALU_DEP_1) | instskip(NEXT) | instid1(VALU_DEP_1)
	v_mul_f32_e32 v11, v12, v10
	v_fma_f32 v13, -v5, v11, v12
	s_delay_alu instid0(VALU_DEP_1) | instskip(NEXT) | instid1(VALU_DEP_1)
	v_fmac_f32_e32 v11, v13, v10
	v_fma_f32 v5, -v5, v11, v12
	s_delay_alu instid0(VALU_DEP_1) | instskip(NEXT) | instid1(VALU_DEP_1)
	v_div_fmas_f32 v5, v5, v10, v11
	v_div_fixup_f32 v4, v5, v3, v4
	s_delay_alu instid0(VALU_DEP_1) | instskip(NEXT) | instid1(VALU_DEP_1)
	v_fma_f32 v4, v4, v4, 1.0
	v_mul_f32_e32 v5, 0x4f800000, v4
	v_cmp_gt_f32_e32 vcc_lo, 0xf800000, v4
	s_delay_alu instid0(VALU_DEP_2) | instskip(NEXT) | instid1(VALU_DEP_1)
	v_cndmask_b32_e32 v4, v4, v5, vcc_lo
	v_sqrt_f32_e32 v5, v4
	s_waitcnt_depctr 0xfff
	v_add_nc_u32_e32 v10, -1, v5
	v_add_nc_u32_e32 v11, 1, v5
	s_delay_alu instid0(VALU_DEP_2) | instskip(NEXT) | instid1(VALU_DEP_2)
	v_fma_f32 v12, -v10, v5, v4
	v_fma_f32 v13, -v11, v5, v4
	s_delay_alu instid0(VALU_DEP_2) | instskip(NEXT) | instid1(VALU_DEP_1)
	v_cmp_ge_f32_e64 s1, 0, v12
	v_cndmask_b32_e64 v5, v5, v10, s1
	s_delay_alu instid0(VALU_DEP_3) | instskip(NEXT) | instid1(VALU_DEP_1)
	v_cmp_lt_f32_e64 s1, 0, v13
	v_cndmask_b32_e64 v5, v5, v11, s1
	s_delay_alu instid0(VALU_DEP_1) | instskip(NEXT) | instid1(VALU_DEP_1)
	v_mul_f32_e32 v10, 0x37800000, v5
	v_cndmask_b32_e32 v5, v5, v10, vcc_lo
	v_cmp_class_f32_e64 vcc_lo, v4, 0x260
	s_delay_alu instid0(VALU_DEP_2) | instskip(NEXT) | instid1(VALU_DEP_1)
	v_cndmask_b32_e32 v4, v5, v4, vcc_lo
	v_mul_f32_e32 v5, v3, v4
.LBB43_98:
	s_delay_alu instid0(VALU_DEP_1) | instskip(SKIP_1) | instid1(VALU_DEP_2)
	v_mul_f32_e32 v3, 0x4f800000, v5
	v_cmp_gt_f32_e32 vcc_lo, 0xf800000, v5
	v_cndmask_b32_e32 v3, v5, v3, vcc_lo
	s_delay_alu instid0(VALU_DEP_1) | instskip(SKIP_3) | instid1(VALU_DEP_2)
	v_sqrt_f32_e32 v4, v3
	s_waitcnt_depctr 0xfff
	v_add_nc_u32_e32 v5, -1, v4
	v_add_nc_u32_e32 v10, 1, v4
	v_fma_f32 v11, -v5, v4, v3
	s_delay_alu instid0(VALU_DEP_2) | instskip(NEXT) | instid1(VALU_DEP_2)
	v_fma_f32 v12, -v10, v4, v3
	v_cmp_ge_f32_e64 s1, 0, v11
	s_delay_alu instid0(VALU_DEP_1) | instskip(NEXT) | instid1(VALU_DEP_3)
	v_cndmask_b32_e64 v4, v4, v5, s1
	v_cmp_lt_f32_e64 s1, 0, v12
	s_delay_alu instid0(VALU_DEP_1) | instskip(NEXT) | instid1(VALU_DEP_1)
	v_cndmask_b32_e64 v4, v4, v10, s1
	v_mul_f32_e32 v5, 0x37800000, v4
	s_delay_alu instid0(VALU_DEP_1) | instskip(SKIP_1) | instid1(VALU_DEP_2)
	v_cndmask_b32_e32 v4, v4, v5, vcc_lo
	v_cmp_class_f32_e64 vcc_lo, v3, 0x260
	v_dual_cndmask_b32 v3, v4, v3 :: v_dual_mov_b32 v4, 0
	ds_store_b64 v4, v[3:4] offset:464
.LBB43_99:
	s_or_b32 exec_lo, exec_lo, s3
	v_mov_b32_e32 v3, 0
	s_waitcnt lgkmcnt(0)
	buffer_gl0_inv
	ds_load_b64 v[3:4], v3 offset:464
	s_waitcnt lgkmcnt(0)
	v_cmp_neq_f32_e32 vcc_lo, 0, v3
	v_cmp_neq_f32_e64 s1, 0, v4
	s_delay_alu instid0(VALU_DEP_1) | instskip(SKIP_2) | instid1(SALU_CYCLE_1)
	s_or_b32 vcc_lo, vcc_lo, s1
	v_dual_cndmask_b32 v4, 0, v4 :: v_dual_cndmask_b32 v3, 1.0, v3
	s_or_b32 s0, vcc_lo, s0
	s_xor_b32 s1, s0, -1
	s_delay_alu instid0(SALU_CYCLE_1)
	s_and_saveexec_b32 s0, s1
	s_cbranch_execz .LBB43_103
; %bb.100:
	v_mbcnt_lo_u32_b32 v3, exec_lo, 0
	s_mov_b32 s1, exec_lo
	s_delay_alu instid0(VALU_DEP_1)
	v_cmpx_eq_u32_e32 0, v3
	s_cbranch_execz .LBB43_102
; %bb.101:
	v_dual_mov_b32 v3, 0 :: v_dual_mov_b32 v4, s2
	global_atomic_min_i32 v3, v4, s[10:11]
.LBB43_102:
	s_or_b32 exec_lo, exec_lo, s1
	v_dual_mov_b32 v3, 1.0 :: v_dual_mov_b32 v4, 0
.LBB43_103:
	s_or_b32 exec_lo, exec_lo, s0
	s_delay_alu instid0(SALU_CYCLE_1)
	s_mov_b32 s0, exec_lo
	v_cmpx_lt_u32_e32 3, v7
	s_cbranch_execz .LBB43_105
; %bb.104:
	v_mul_u32_u24_e32 v16, 40, v7
	ds_load_2addr_b64 v[10:13], v16 offset0:43 offset1:63
	s_waitcnt lgkmcnt(0)
	v_dual_sub_f32 v11, v11, v13 :: v_dual_sub_f32 v10, v10, v12
	s_delay_alu instid0(VALU_DEP_1) | instskip(SKIP_1) | instid1(VALU_DEP_3)
	v_mul_f32_e32 v12, v4, v11
	v_mul_f32_e32 v5, v4, v4
	v_mul_f32_e64 v4, v4, -v10
	s_delay_alu instid0(VALU_DEP_3) | instskip(NEXT) | instid1(VALU_DEP_3)
	v_fmac_f32_e32 v12, v10, v3
	v_fmac_f32_e32 v5, v3, v3
	s_delay_alu instid0(VALU_DEP_3) | instskip(NEXT) | instid1(VALU_DEP_2)
	v_fmac_f32_e32 v4, v11, v3
	v_div_scale_f32 v14, null, v5, v5, 1.0
	v_div_scale_f32 v18, vcc_lo, 1.0, v5, 1.0
	s_delay_alu instid0(VALU_DEP_2) | instskip(SKIP_2) | instid1(VALU_DEP_1)
	v_rcp_f32_e32 v15, v14
	s_waitcnt_depctr 0xfff
	v_fma_f32 v17, -v14, v15, 1.0
	v_fmac_f32_e32 v15, v17, v15
	s_delay_alu instid0(VALU_DEP_1) | instskip(NEXT) | instid1(VALU_DEP_1)
	v_mul_f32_e32 v17, v18, v15
	v_fma_f32 v19, -v14, v17, v18
	s_delay_alu instid0(VALU_DEP_1) | instskip(NEXT) | instid1(VALU_DEP_1)
	v_fmac_f32_e32 v17, v19, v15
	v_fma_f32 v13, -v14, v17, v18
	s_delay_alu instid0(VALU_DEP_1) | instskip(NEXT) | instid1(VALU_DEP_1)
	v_div_fmas_f32 v13, v13, v15, v17
	v_div_fixup_f32 v5, v13, v5, 1.0
	s_delay_alu instid0(VALU_DEP_1)
	v_mul_f32_e32 v3, v5, v12
	v_mul_f32_e32 v4, v5, v4
	v_mul_u32_u24_e32 v5, 40, v6
	ds_store_b64 v16, v[3:4] offset:344
	s_waitcnt lgkmcnt(0)
	s_waitcnt_vscnt null, 0x0
	buffer_gl0_inv
	ds_load_b64 v[10:11], v5 offset:344
	ds_load_b64 v[12:13], v9
	s_waitcnt lgkmcnt(0)
	v_fma_f32 v12, v3, v10, v12
	v_fmac_f32_e32 v13, v4, v10
	s_delay_alu instid0(VALU_DEP_2) | instskip(NEXT) | instid1(VALU_DEP_2)
	v_fmac_f32_e32 v12, v4, v11
	v_fma_f32 v13, v3, -v11, v13
	ds_store_b64 v9, v[12:13]
.LBB43_105:
	s_or_b32 exec_lo, exec_lo, s0
	s_waitcnt lgkmcnt(0)
	s_waitcnt_vscnt null, 0x0
	buffer_gl0_inv
	ds_load_b64 v[2:3], v2
	v_cmp_eq_u32_e64 s3, 0, v8
	s_waitcnt lgkmcnt(0)
	global_store_b64 v[0:1], v[2:3], off
	s_branch .LBB43_111
.LBB43_106:
	v_or_b32_e32 v0, v6, v7
	s_mov_b32 s0, exec_lo
	s_delay_alu instid0(VALU_DEP_1)
	v_cmpx_eq_u32_e32 0, v0
	s_cbranch_execz .LBB43_110
; %bb.107:
	v_mbcnt_lo_u32_b32 v0, exec_lo, 0
	s_mov_b32 s1, exec_lo
	s_delay_alu instid0(VALU_DEP_1)
	v_cmpx_eq_u32_e32 0, v0
	s_cbranch_execz .LBB43_109
; %bb.108:
	s_add_i32 s2, s16, s17
	s_delay_alu instid0(SALU_CYCLE_1)
	v_dual_mov_b32 v0, 0 :: v_dual_mov_b32 v1, s2
	global_atomic_min_i32 v0, v1, s[10:11]
.LBB43_109:
	s_or_b32 exec_lo, exec_lo, s1
	s_delay_alu instid0(SALU_CYCLE_1)
	s_or_b32 s3, s3, exec_lo
.LBB43_110:
	s_or_b32 exec_lo, exec_lo, s0
.LBB43_111:
	s_and_saveexec_b32 s0, s3
	s_cbranch_execnz .LBB43_113
; %bb.112:
	s_nop 0
	s_sendmsg sendmsg(MSG_DEALLOC_VGPRS)
	s_endpgm
.LBB43_113:
	v_dual_mov_b32 v0, 0 :: v_dual_mov_b32 v1, 1
	s_add_u32 s0, s6, s8
	s_addc_u32 s1, s7, s9
	s_waitcnt_vscnt null, 0x0
	global_store_b32 v0, v1, s[0:1]
	s_nop 0
	s_sendmsg sendmsg(MSG_DEALLOC_VGPRS)
	s_endpgm
	.section	.rodata,"a",@progbits
	.p2align	6, 0x0
	.amdhsa_kernel _ZN9rocsparseL26bsric0_2_8_unrolled_kernelILi16ELi32ELi4E21rocsparse_complex_numIfEEEv20rocsparse_direction_iiPKiS5_PT2_S5_PiS5_S8_21rocsparse_index_base_
		.amdhsa_group_segment_fixed_size 1024
		.amdhsa_private_segment_fixed_size 0
		.amdhsa_kernarg_size 76
		.amdhsa_user_sgpr_count 15
		.amdhsa_user_sgpr_dispatch_ptr 0
		.amdhsa_user_sgpr_queue_ptr 0
		.amdhsa_user_sgpr_kernarg_segment_ptr 1
		.amdhsa_user_sgpr_dispatch_id 0
		.amdhsa_user_sgpr_private_segment_size 0
		.amdhsa_wavefront_size32 1
		.amdhsa_uses_dynamic_stack 0
		.amdhsa_enable_private_segment 0
		.amdhsa_system_sgpr_workgroup_id_x 1
		.amdhsa_system_sgpr_workgroup_id_y 0
		.amdhsa_system_sgpr_workgroup_id_z 0
		.amdhsa_system_sgpr_workgroup_info 0
		.amdhsa_system_vgpr_workitem_id 1
		.amdhsa_next_free_vgpr 41
		.amdhsa_next_free_sgpr 37
		.amdhsa_reserve_vcc 1
		.amdhsa_float_round_mode_32 0
		.amdhsa_float_round_mode_16_64 0
		.amdhsa_float_denorm_mode_32 3
		.amdhsa_float_denorm_mode_16_64 3
		.amdhsa_dx10_clamp 1
		.amdhsa_ieee_mode 1
		.amdhsa_fp16_overflow 0
		.amdhsa_workgroup_processor_mode 1
		.amdhsa_memory_ordered 1
		.amdhsa_forward_progress 0
		.amdhsa_shared_vgpr_count 0
		.amdhsa_exception_fp_ieee_invalid_op 0
		.amdhsa_exception_fp_denorm_src 0
		.amdhsa_exception_fp_ieee_div_zero 0
		.amdhsa_exception_fp_ieee_overflow 0
		.amdhsa_exception_fp_ieee_underflow 0
		.amdhsa_exception_fp_ieee_inexact 0
		.amdhsa_exception_int_div_zero 0
	.end_amdhsa_kernel
	.section	.text._ZN9rocsparseL26bsric0_2_8_unrolled_kernelILi16ELi32ELi4E21rocsparse_complex_numIfEEEv20rocsparse_direction_iiPKiS5_PT2_S5_PiS5_S8_21rocsparse_index_base_,"axG",@progbits,_ZN9rocsparseL26bsric0_2_8_unrolled_kernelILi16ELi32ELi4E21rocsparse_complex_numIfEEEv20rocsparse_direction_iiPKiS5_PT2_S5_PiS5_S8_21rocsparse_index_base_,comdat
.Lfunc_end43:
	.size	_ZN9rocsparseL26bsric0_2_8_unrolled_kernelILi16ELi32ELi4E21rocsparse_complex_numIfEEEv20rocsparse_direction_iiPKiS5_PT2_S5_PiS5_S8_21rocsparse_index_base_, .Lfunc_end43-_ZN9rocsparseL26bsric0_2_8_unrolled_kernelILi16ELi32ELi4E21rocsparse_complex_numIfEEEv20rocsparse_direction_iiPKiS5_PT2_S5_PiS5_S8_21rocsparse_index_base_
                                        ; -- End function
	.section	.AMDGPU.csdata,"",@progbits
; Kernel info:
; codeLenInByte = 8668
; NumSgprs: 39
; NumVgprs: 41
; ScratchSize: 0
; MemoryBound: 0
; FloatMode: 240
; IeeeMode: 1
; LDSByteSize: 1024 bytes/workgroup (compile time only)
; SGPRBlocks: 4
; VGPRBlocks: 5
; NumSGPRsForWavesPerEU: 39
; NumVGPRsForWavesPerEU: 41
; Occupancy: 16
; WaveLimiterHint : 1
; COMPUTE_PGM_RSRC2:SCRATCH_EN: 0
; COMPUTE_PGM_RSRC2:USER_SGPR: 15
; COMPUTE_PGM_RSRC2:TRAP_HANDLER: 0
; COMPUTE_PGM_RSRC2:TGID_X_EN: 1
; COMPUTE_PGM_RSRC2:TGID_Y_EN: 0
; COMPUTE_PGM_RSRC2:TGID_Z_EN: 0
; COMPUTE_PGM_RSRC2:TIDIG_COMP_CNT: 1
	.section	.text._ZN9rocsparseL26bsric0_2_8_unrolled_kernelILi25ELi32ELi5E21rocsparse_complex_numIfEEEv20rocsparse_direction_iiPKiS5_PT2_S5_PiS5_S8_21rocsparse_index_base_,"axG",@progbits,_ZN9rocsparseL26bsric0_2_8_unrolled_kernelILi25ELi32ELi5E21rocsparse_complex_numIfEEEv20rocsparse_direction_iiPKiS5_PT2_S5_PiS5_S8_21rocsparse_index_base_,comdat
	.globl	_ZN9rocsparseL26bsric0_2_8_unrolled_kernelILi25ELi32ELi5E21rocsparse_complex_numIfEEEv20rocsparse_direction_iiPKiS5_PT2_S5_PiS5_S8_21rocsparse_index_base_ ; -- Begin function _ZN9rocsparseL26bsric0_2_8_unrolled_kernelILi25ELi32ELi5E21rocsparse_complex_numIfEEEv20rocsparse_direction_iiPKiS5_PT2_S5_PiS5_S8_21rocsparse_index_base_
	.p2align	8
	.type	_ZN9rocsparseL26bsric0_2_8_unrolled_kernelILi25ELi32ELi5E21rocsparse_complex_numIfEEEv20rocsparse_direction_iiPKiS5_PT2_S5_PiS5_S8_21rocsparse_index_base_,@function
_ZN9rocsparseL26bsric0_2_8_unrolled_kernelILi25ELi32ELi5E21rocsparse_complex_numIfEEEv20rocsparse_direction_iiPKiS5_PT2_S5_PiS5_S8_21rocsparse_index_base_: ; @_ZN9rocsparseL26bsric0_2_8_unrolled_kernelILi25ELi32ELi5E21rocsparse_complex_numIfEEEv20rocsparse_direction_iiPKiS5_PT2_S5_PiS5_S8_21rocsparse_index_base_
; %bb.0:
	s_load_b256 s[4:11], s[0:1], 0x28
	s_mov_b32 s2, s15
	s_mov_b32 s3, 0
	v_and_b32_e32 v8, 0x3ff, v0
	s_lshl_b64 s[12:13], s[2:3], 2
	v_bfe_u32 v9, v0, 10, 10
	s_waitcnt lgkmcnt(0)
	s_add_u32 s8, s8, s12
	s_addc_u32 s9, s9, s13
	s_load_b32 s16, s[8:9], 0x0
	s_waitcnt lgkmcnt(0)
	s_ashr_i32 s17, s16, 31
	s_delay_alu instid0(SALU_CYCLE_1) | instskip(NEXT) | instid1(SALU_CYCLE_1)
	s_lshl_b64 s[8:9], s[16:17], 2
	s_add_u32 s12, s4, s8
	s_addc_u32 s13, s5, s9
	s_load_b32 s26, s[12:13], 0x0
	s_load_b32 s17, s[0:1], 0x48
	s_waitcnt lgkmcnt(0)
	s_cmp_lg_u32 s26, -1
	s_cbranch_scc0 .LBB44_56
; %bb.1:
	s_clause 0x1
	s_load_b128 s[12:15], s[0:1], 0x10
	s_load_b64 s[18:19], s[0:1], 0x20
	v_mad_u32_u24 v10, v9, 5, v8
	s_waitcnt lgkmcnt(0)
	s_add_u32 s2, s12, s8
	s_addc_u32 s3, s13, s9
	s_load_b32 s2, s[2:3], 0x0
	s_mov_b32 s3, exec_lo
	s_waitcnt lgkmcnt(0)
	s_sub_i32 s27, s2, s17
	s_delay_alu instid0(SALU_CYCLE_1) | instskip(NEXT) | instid1(VALU_DEP_1)
	v_add_nc_u32_e32 v0, s27, v10
	v_cmpx_ge_i32_e64 s26, v0
	s_cbranch_execz .LBB44_4
; %bb.2:
	v_ashrrev_i32_e32 v1, 31, v0
	v_lshl_add_u32 v3, v10, 2, 0x4c0
	s_mov_b32 s20, 0
	s_delay_alu instid0(VALU_DEP_2) | instskip(NEXT) | instid1(VALU_DEP_1)
	v_lshlrev_b64 v[1:2], 2, v[0:1]
	v_add_co_u32 v1, vcc_lo, s14, v1
	s_delay_alu instid0(VALU_DEP_2)
	v_add_co_ci_u32_e32 v2, vcc_lo, s15, v2, vcc_lo
	.p2align	6
.LBB44_3:                               ; =>This Inner Loop Header: Depth=1
	global_load_b32 v4, v[1:2], off
	v_add_nc_u32_e32 v0, 25, v0
	v_add_co_u32 v1, vcc_lo, 0x64, v1
	v_add_co_ci_u32_e32 v2, vcc_lo, 0, v2, vcc_lo
	s_delay_alu instid0(VALU_DEP_3) | instskip(NEXT) | instid1(VALU_DEP_1)
	v_cmp_lt_i32_e64 s2, s26, v0
	s_or_b32 s20, s2, s20
	s_waitcnt vmcnt(0)
	v_subrev_nc_u32_e32 v4, s17, v4
	ds_store_b32 v3, v4
	v_add_nc_u32_e32 v3, 0x64, v3
	s_and_not1_b32 exec_lo, exec_lo, s20
	s_cbranch_execnz .LBB44_3
.LBB44_4:
	s_or_b32 exec_lo, exec_lo, s3
	s_load_b32 s28, s[0:1], 0x0
	v_mov_b32_e32 v0, 0
	v_lshlrev_b32_e32 v2, 3, v8
	v_mul_u32_u24_e32 v14, 5, v9
	v_mad_u32_u24 v11, v8, 5, v9
	s_cmp_ge_i32 s27, s26
	v_mov_b32_e32 v1, v0
	v_mad_u32_u24 v13, v9, 48, v2
	s_delay_alu instid0(VALU_DEP_1)
	v_add_nc_u32_e32 v12, 0x2d0, v13
	ds_store_b64 v13, v[0:1] offset:720
	s_waitcnt lgkmcnt(0)
	buffer_gl0_inv
	s_cbranch_scc1 .LBB44_50
; %bb.5:
	v_mad_u32_u24 v1, v8, 5, v9
	v_mad_u32_u24 v15, v9, 48, 0x1e0
	;; [unrolled: 1-line block ×3, first 2 shown]
	v_or_b32_e32 v3, v8, v9
	s_cmp_eq_u32 s28, 0
	v_mul_u32_u24_e32 v17, 5, v8
	s_cselect_b32 vcc_lo, -1, 0
	v_add_nc_u32_e32 v18, v15, v2
	v_add_nc_u32_e32 v19, v16, v2
	v_cmp_ne_u32_e64 s0, 0, v3
	v_mad_u32_u24 v20, v8, 48, 0x1e0
	v_cndmask_b32_e32 v1, v1, v10, vcc_lo
	s_cmp_lg_u32 s28, 0
	s_mov_b32 s2, s27
	s_cselect_b32 s29, -1, 0
	s_branch .LBB44_9
.LBB44_6:                               ;   in Loop: Header=BB44_9 Depth=1
	s_or_b32 exec_lo, exec_lo, s20
	v_dual_mov_b32 v6, 1.0 :: v_dual_mov_b32 v7, 0
.LBB44_7:                               ;   in Loop: Header=BB44_9 Depth=1
	s_or_b32 exec_lo, exec_lo, s1
	ds_load_b128 v[21:24], v0 offset:192
	ds_load_b64 v[37:38], v16 offset:32
	ds_load_b128 v[25:28], v15
	ds_load_b128 v[29:32], v0 offset:208
	ds_load_b128 v[33:36], v15 offset:16
	v_mul_f32_e32 v39, v7, v7
	s_add_i32 s2, s2, 1
	s_delay_alu instid0(SALU_CYCLE_1) | instskip(NEXT) | instid1(VALU_DEP_1)
	s_cmp_ge_i32 s2, s26
	v_fmac_f32_e32 v39, v6, v6
	s_cselect_b32 s23, -1, 0
	s_delay_alu instid0(VALU_DEP_1) | instskip(SKIP_3) | instid1(VALU_DEP_3)
	v_div_scale_f32 v40, null, v39, v39, 1.0
	s_waitcnt lgkmcnt(2)
	v_fma_f32 v38, v22, v25, v38
	v_fmac_f32_e32 v37, v21, v25
	v_rcp_f32_e32 v25, v40
	s_delay_alu instid0(VALU_DEP_2) | instskip(NEXT) | instid1(VALU_DEP_1)
	v_fma_f32 v21, v21, -v26, v38
	v_fmac_f32_e32 v21, v24, v27
	s_delay_alu instid0(VALU_DEP_1) | instskip(SKIP_1) | instid1(VALU_DEP_1)
	v_fma_f32 v21, v23, -v28, v21
	s_waitcnt lgkmcnt(0)
	v_fmac_f32_e32 v21, v30, v33
	s_delay_alu instid0(VALU_DEP_1) | instskip(NEXT) | instid1(VALU_DEP_1)
	v_fma_f32 v21, v29, -v34, v21
	v_fmac_f32_e32 v21, v32, v35
	s_delay_alu instid0(VALU_DEP_1) | instskip(NEXT) | instid1(VALU_DEP_1)
	v_fma_f32 v21, v31, -v36, v21
	v_sub_f32_e32 v5, v5, v21
	v_fmac_f32_e32 v37, v22, v26
	v_fma_f32 v22, -v40, v25, 1.0
	s_delay_alu instid0(VALU_DEP_2) | instskip(SKIP_1) | instid1(VALU_DEP_3)
	v_fmac_f32_e32 v37, v23, v27
	v_div_scale_f32 v23, vcc_lo, 1.0, v39, 1.0
	v_fmac_f32_e32 v25, v22, v25
	s_delay_alu instid0(VALU_DEP_1) | instskip(NEXT) | instid1(VALU_DEP_1)
	v_dual_fmac_f32 v37, v24, v28 :: v_dual_mul_f32 v22, v23, v25
	v_fmac_f32_e32 v37, v29, v33
	s_delay_alu instid0(VALU_DEP_2) | instskip(NEXT) | instid1(VALU_DEP_1)
	v_fma_f32 v24, -v40, v22, v23
	v_dual_fmac_f32 v37, v30, v34 :: v_dual_fmac_f32 v22, v24, v25
	s_delay_alu instid0(VALU_DEP_1) | instskip(NEXT) | instid1(VALU_DEP_2)
	v_fmac_f32_e32 v37, v31, v35
	v_fma_f32 v23, -v40, v22, v23
	s_delay_alu instid0(VALU_DEP_2) | instskip(NEXT) | instid1(VALU_DEP_2)
	v_fmac_f32_e32 v37, v32, v36
	v_div_fmas_f32 v21, v23, v25, v22
	v_mul_f32_e32 v22, v7, v5
	s_delay_alu instid0(VALU_DEP_3) | instskip(NEXT) | instid1(VALU_DEP_3)
	v_sub_f32_e32 v4, v4, v37
	v_div_fixup_f32 v21, v21, v39, 1.0
	s_delay_alu instid0(VALU_DEP_2) | instskip(NEXT) | instid1(VALU_DEP_1)
	v_mul_f32_e64 v7, v7, -v4
	v_fmac_f32_e32 v7, v5, v6
	s_delay_alu instid0(VALU_DEP_1) | instskip(NEXT) | instid1(VALU_DEP_1)
	v_dual_fmac_f32 v22, v4, v6 :: v_dual_mul_f32 v5, v21, v7
	v_mul_f32_e32 v4, v21, v22
	ds_store_b64 v15, v[4:5] offset:32
	s_waitcnt lgkmcnt(0)
	s_waitcnt_vscnt null, 0x0
	buffer_gl0_inv
	ds_load_b64 v[6:7], v20 offset:32
	ds_load_b64 v[21:22], v12
	s_waitcnt lgkmcnt(0)
	v_fma_f32 v21, v4, v6, v21
	v_fmac_f32_e32 v22, v5, v6
	s_delay_alu instid0(VALU_DEP_2) | instskip(NEXT) | instid1(VALU_DEP_2)
	v_fmac_f32_e32 v21, v5, v7
	v_fma_f32 v22, v4, -v7, v22
	ds_store_b64 v12, v[21:22]
	s_waitcnt lgkmcnt(0)
	buffer_gl0_inv
	ds_load_b64 v[4:5], v18
	s_waitcnt lgkmcnt(0)
	global_store_b64 v[2:3], v[4:5], off
	s_waitcnt_vscnt null, 0x0
	buffer_gl1_inv
	buffer_gl0_inv
.LBB44_8:                               ;   in Loop: Header=BB44_9 Depth=1
	s_and_b32 vcc_lo, exec_lo, s23
	s_cbranch_vccnz .LBB44_50
.LBB44_9:                               ; =>This Loop Header: Depth=1
                                        ;     Child Loop BB44_12 Depth 2
                                        ;     Child Loop BB44_23 Depth 2
	s_ashr_i32 s3, s2, 31
	s_delay_alu instid0(SALU_CYCLE_1) | instskip(NEXT) | instid1(SALU_CYCLE_1)
	s_lshl_b64 s[20:21], s[2:3], 2
	s_add_u32 s20, s14, s20
	s_addc_u32 s21, s15, s21
	s_load_b32 s3, s[20:21], 0x0
	s_waitcnt lgkmcnt(0)
	s_sub_i32 s22, s3, s17
	s_delay_alu instid0(SALU_CYCLE_1) | instskip(NEXT) | instid1(SALU_CYCLE_1)
	s_ashr_i32 s23, s22, 31
	s_lshl_b64 s[20:21], s[22:23], 2
	s_mov_b32 s23, -1
	s_add_u32 s24, s4, s20
	s_addc_u32 s25, s5, s21
	s_load_b32 s1, s[24:25], 0x0
	s_waitcnt lgkmcnt(0)
	s_cmp_eq_u32 s1, -1
	s_cbranch_scc1 .LBB44_8
; %bb.10:                               ;   in Loop: Header=BB44_9 Depth=1
	v_mad_u64_u32 v[2:3], null, s2, 25, v[1:2]
	s_add_u32 s24, s12, s20
	s_addc_u32 s25, s13, s21
	ds_load_b32 v6, v0 offset:1216
	s_load_b32 s23, s[24:25], 0x0
	v_ashrrev_i32_e32 v3, 31, v2
	s_delay_alu instid0(VALU_DEP_1) | instskip(NEXT) | instid1(VALU_DEP_1)
	v_lshlrev_b64 v[2:3], 3, v[2:3]
	v_add_co_u32 v2, vcc_lo, s18, v2
	s_delay_alu instid0(VALU_DEP_2)
	v_add_co_ci_u32_e32 v3, vcc_lo, s19, v3, vcc_lo
	s_waitcnt lgkmcnt(0)
	v_cmp_ge_i32_e32 vcc_lo, s22, v6
	s_sub_i32 s24, s23, s17
	global_load_b64 v[4:5], v[2:3], off
	s_cmp_le_i32 s24, s1
	s_cselect_b32 s23, -1, 0
	s_delay_alu instid0(SALU_CYCLE_1) | instskip(NEXT) | instid1(SALU_CYCLE_1)
	s_and_b32 s23, s23, vcc_lo
	s_and_not1_b32 vcc_lo, exec_lo, s23
	s_mov_b32 s23, 0
	s_waitcnt vmcnt(0)
	ds_store_b64 v18, v[4:5]
	s_cbranch_vccnz .LBB44_22
; %bb.11:                               ;   in Loop: Header=BB44_9 Depth=1
	s_mov_b32 s30, 0
	s_mov_b32 s31, 0
.LBB44_12:                              ;   Parent Loop BB44_9 Depth=1
                                        ; =>  This Inner Loop Header: Depth=2
	s_ashr_i32 s25, s24, 31
                                        ; implicit-def: $sgpr33
	s_delay_alu instid0(SALU_CYCLE_1) | instskip(NEXT) | instid1(SALU_CYCLE_1)
	s_lshl_b64 s[34:35], s[24:25], 2
	s_add_u32 s34, s14, s34
	s_addc_u32 s35, s15, s35
	s_lshl_b32 s23, s31, 2
	s_delay_alu instid0(SALU_CYCLE_1)
	v_mov_b32_e32 v4, s23
	s_load_b32 s23, s[34:35], 0x0
	s_mov_b32 s35, -1
                                        ; implicit-def: $sgpr34
	ds_load_b32 v4, v4 offset:1216
	s_waitcnt lgkmcnt(0)
	s_sub_i32 s36, s23, s17
                                        ; implicit-def: $sgpr23
	s_delay_alu instid0(SALU_CYCLE_1)
	v_cmp_ge_i32_e32 vcc_lo, s36, v4
	v_readfirstlane_b32 s25, v4
	s_cbranch_vccz .LBB44_18
; %bb.13:                               ;   in Loop: Header=BB44_12 Depth=2
	s_delay_alu instid0(VALU_DEP_1)
	s_cmp_le_i32 s36, s25
                                        ; implicit-def: $sgpr23
                                        ; implicit-def: $sgpr34
                                        ; implicit-def: $sgpr33
	s_cbranch_scc0 .LBB44_15
; %bb.14:                               ;   in Loop: Header=BB44_12 Depth=2
	s_add_i32 s23, s31, s27
	s_lshl_b32 s33, s30, 2
	s_mul_i32 s23, s23, 25
	s_mul_i32 s34, s24, 25
	s_delay_alu instid0(SALU_CYCLE_1)
	v_dual_mov_b32 v4, s23 :: v_dual_mov_b32 v5, s34
	v_add_nc_u32_e64 v6, 0x200, s33
	s_add_i32 s33, s31, 1
	s_add_i32 s34, s24, 1
	;; [unrolled: 1-line block ×3, first 2 shown]
	s_mov_b32 s35, 0
	ds_store_2addr_b32 v6, v5, v4 offset0:112 offset1:144
.LBB44_15:                              ;   in Loop: Header=BB44_12 Depth=2
	s_and_not1_b32 vcc_lo, exec_lo, s35
	s_cbranch_vccnz .LBB44_17
; %bb.16:                               ;   in Loop: Header=BB44_12 Depth=2
	s_add_i32 s33, s31, 1
	s_mov_b32 s23, s30
	s_mov_b32 s34, s24
.LBB44_17:                              ;   in Loop: Header=BB44_12 Depth=2
	s_mov_b32 s35, 0
.LBB44_18:                              ;   in Loop: Header=BB44_12 Depth=2
	s_delay_alu instid0(SALU_CYCLE_1)
	s_and_not1_b32 vcc_lo, exec_lo, s35
	s_cbranch_vccnz .LBB44_20
; %bb.19:                               ;   in Loop: Header=BB44_12 Depth=2
	s_add_i32 s34, s24, 1
	s_mov_b32 s33, s31
	s_mov_b32 s23, s30
.LBB44_20:                              ;   in Loop: Header=BB44_12 Depth=2
	s_cmp_le_i32 s34, s1
	s_cselect_b32 s24, -1, 0
	s_cmp_le_i32 s25, s22
	s_cselect_b32 s25, -1, 0
	s_delay_alu instid0(SALU_CYCLE_1) | instskip(NEXT) | instid1(SALU_CYCLE_1)
	s_and_b32 s24, s24, s25
	s_and_b32 vcc_lo, exec_lo, s24
	s_cbranch_vccz .LBB44_22
; %bb.21:                               ;   in Loop: Header=BB44_12 Depth=2
	s_mov_b32 s30, s23
	s_mov_b32 s24, s34
	;; [unrolled: 1-line block ×3, first 2 shown]
	s_branch .LBB44_12
.LBB44_22:                              ;   in Loop: Header=BB44_9 Depth=1
	s_add_u32 s20, s6, s20
	s_addc_u32 s21, s7, s21
	s_waitcnt lgkmcnt(0)
	buffer_gl0_inv
.LBB44_23:                              ;   Parent Loop BB44_9 Depth=1
                                        ; =>  This Inner Loop Header: Depth=2
	global_load_b32 v4, v0, s[20:21] glc
	s_waitcnt vmcnt(0)
	v_cmp_eq_u32_e32 vcc_lo, 0, v4
	s_cbranch_vccnz .LBB44_23
; %bb.24:                               ;   in Loop: Header=BB44_9 Depth=1
	v_mad_u64_u32 v[4:5], null, s1, 25, v[1:2]
	buffer_gl1_inv
	buffer_gl0_inv
	v_dual_mov_b32 v7, 0 :: v_dual_mov_b32 v6, 0
	s_cmp_lt_i32 s23, 2
	v_ashrrev_i32_e32 v5, 31, v4
	s_delay_alu instid0(VALU_DEP_1) | instskip(NEXT) | instid1(VALU_DEP_1)
	v_lshlrev_b64 v[4:5], 3, v[4:5]
	v_add_co_u32 v4, vcc_lo, s18, v4
	s_delay_alu instid0(VALU_DEP_2)
	v_add_co_ci_u32_e32 v5, vcc_lo, s19, v5, vcc_lo
	global_load_b64 v[4:5], v[4:5], off
	s_waitcnt vmcnt(0)
	ds_store_b64 v13, v[4:5]
	s_waitcnt lgkmcnt(0)
	buffer_gl0_inv
	s_cbranch_scc1 .LBB44_31
; %bb.25:                               ;   in Loop: Header=BB44_9 Depth=1
	v_dual_mov_b32 v22, 0 :: v_dual_mov_b32 v21, 0
	s_add_i32 s1, s23, -1
	s_movk_i32 s20, 0x3c0
	s_delay_alu instid0(SALU_CYCLE_1)
	v_mov_b32_e32 v4, s20
	s_and_b32 vcc_lo, exec_lo, s29
	ds_load_2addr_b32 v[4:5], v4 offset1:32
	s_cbranch_vccz .LBB44_27
.LBB44_26:                              ;   in Loop: Header=BB44_9 Depth=1
	s_waitcnt lgkmcnt(0)
	v_add_nc_u32_e32 v6, v4, v8
	v_add_nc_u32_e32 v23, v5, v9
	s_delay_alu instid0(VALU_DEP_2) | instskip(NEXT) | instid1(VALU_DEP_2)
	v_ashrrev_i32_e32 v7, 31, v6
	v_ashrrev_i32_e32 v24, 31, v23
	v_add_nc_u32_e32 v25, 5, v6
	v_add_nc_u32_e32 v29, 5, v23
	;; [unrolled: 1-line block ×3, first 2 shown]
	v_lshlrev_b64 v[27:28], 3, v[6:7]
	v_lshlrev_b64 v[30:31], 3, v[23:24]
	v_ashrrev_i32_e32 v26, 31, v25
	v_add_nc_u32_e32 v40, 15, v23
	v_ashrrev_i32_e32 v39, 31, v38
	v_add_co_u32 v27, vcc_lo, s18, v27
	v_add_co_ci_u32_e32 v28, vcc_lo, s19, v28, vcc_lo
	v_add_co_u32 v32, vcc_lo, s18, v30
	v_ashrrev_i32_e32 v30, 31, v29
	v_add_co_ci_u32_e32 v33, vcc_lo, s19, v31, vcc_lo
	v_lshlrev_b64 v[34:35], 3, v[25:26]
	s_clause 0x1
	global_load_b64 v[26:27], v[27:28], off
	global_load_b64 v[31:32], v[32:33], off
	v_lshlrev_b64 v[28:29], 3, v[29:30]
	v_ashrrev_i32_e32 v41, 31, v40
	v_add_co_u32 v36, vcc_lo, s18, v34
	v_add_co_ci_u32_e32 v37, vcc_lo, s19, v35, vcc_lo
	s_delay_alu instid0(VALU_DEP_4)
	v_add_co_u32 v28, vcc_lo, s18, v28
	v_add_co_ci_u32_e32 v29, vcc_lo, s19, v29, vcc_lo
	s_clause 0x1
	global_load_b64 v[35:36], v[36:37], off
	global_load_b64 v[28:29], v[28:29], off
	v_add_nc_u32_e32 v24, 10, v6
	v_add_nc_u32_e32 v33, 10, v23
	v_lshlrev_b64 v[37:38], 3, v[38:39]
	v_lshlrev_b64 v[39:40], 3, v[40:41]
	s_delay_alu instid0(VALU_DEP_4) | instskip(NEXT) | instid1(VALU_DEP_4)
	v_ashrrev_i32_e32 v25, 31, v24
	v_ashrrev_i32_e32 v34, 31, v33
	s_delay_alu instid0(VALU_DEP_2) | instskip(NEXT) | instid1(VALU_DEP_2)
	v_lshlrev_b64 v[24:25], 3, v[24:25]
	v_lshlrev_b64 v[33:34], 3, v[33:34]
	s_delay_alu instid0(VALU_DEP_2) | instskip(NEXT) | instid1(VALU_DEP_3)
	v_add_co_u32 v24, vcc_lo, s18, v24
	v_add_co_ci_u32_e32 v25, vcc_lo, s19, v25, vcc_lo
	s_delay_alu instid0(VALU_DEP_3) | instskip(NEXT) | instid1(VALU_DEP_4)
	v_add_co_u32 v33, vcc_lo, s18, v33
	v_add_co_ci_u32_e32 v34, vcc_lo, s19, v34, vcc_lo
	v_add_co_u32 v37, vcc_lo, s18, v37
	v_add_co_ci_u32_e32 v38, vcc_lo, s19, v38, vcc_lo
	;; [unrolled: 2-line block ×3, first 2 shown]
	s_clause 0x3
	global_load_b64 v[24:25], v[24:25], off
	global_load_b64 v[33:34], v[33:34], off
	;; [unrolled: 1-line block ×4, first 2 shown]
	v_add_nc_u32_e32 v6, 20, v6
	v_add_nc_u32_e32 v41, 20, v23
	s_delay_alu instid0(VALU_DEP_2) | instskip(NEXT) | instid1(VALU_DEP_2)
	v_ashrrev_i32_e32 v7, 31, v6
	v_ashrrev_i32_e32 v42, 31, v41
	s_delay_alu instid0(VALU_DEP_2) | instskip(NEXT) | instid1(VALU_DEP_2)
	v_lshlrev_b64 v[6:7], 3, v[6:7]
	v_lshlrev_b64 v[41:42], 3, v[41:42]
	s_delay_alu instid0(VALU_DEP_2) | instskip(NEXT) | instid1(VALU_DEP_3)
	v_add_co_u32 v6, vcc_lo, s18, v6
	v_add_co_ci_u32_e32 v7, vcc_lo, s19, v7, vcc_lo
	s_delay_alu instid0(VALU_DEP_3) | instskip(NEXT) | instid1(VALU_DEP_4)
	v_add_co_u32 v41, vcc_lo, s18, v41
	v_add_co_ci_u32_e32 v42, vcc_lo, s19, v42, vcc_lo
	s_clause 0x1
	global_load_b64 v[43:44], v[6:7], off
	global_load_b64 v[41:42], v[41:42], off
	s_waitcnt vmcnt(8)
	v_fma_f32 v6, v26, v31, v21
	v_fma_f32 v7, v27, v31, v22
	s_delay_alu instid0(VALU_DEP_2) | instskip(NEXT) | instid1(VALU_DEP_2)
	v_fmac_f32_e32 v6, v27, v32
	v_fma_f32 v7, v26, -v32, v7
	s_waitcnt vmcnt(6)
	s_delay_alu instid0(VALU_DEP_2) | instskip(NEXT) | instid1(VALU_DEP_2)
	v_fmac_f32_e32 v6, v35, v28
	v_fmac_f32_e32 v7, v36, v28
	s_delay_alu instid0(VALU_DEP_2) | instskip(NEXT) | instid1(VALU_DEP_2)
	v_fmac_f32_e32 v6, v36, v29
	v_fma_f32 v7, v35, -v29, v7
	s_waitcnt vmcnt(4)
	s_delay_alu instid0(VALU_DEP_2) | instskip(NEXT) | instid1(VALU_DEP_2)
	v_fmac_f32_e32 v6, v24, v33
	v_fmac_f32_e32 v7, v25, v33
	;; [unrolled: 7-line block ×4, first 2 shown]
	s_delay_alu instid0(VALU_DEP_2) | instskip(NEXT) | instid1(VALU_DEP_2)
	v_fmac_f32_e32 v6, v44, v42
	v_fma_f32 v7, v43, -v42, v7
	s_cbranch_execz .LBB44_28
	s_branch .LBB44_29
.LBB44_27:                              ;   in Loop: Header=BB44_9 Depth=1
                                        ; implicit-def: $vgpr7
.LBB44_28:                              ;   in Loop: Header=BB44_9 Depth=1
	s_waitcnt lgkmcnt(0)
	v_add_nc_u32_e32 v4, v4, v17
	v_add_nc_u32_e32 v6, v5, v14
	s_delay_alu instid0(VALU_DEP_2) | instskip(NEXT) | instid1(VALU_DEP_2)
	v_ashrrev_i32_e32 v5, 31, v4
	v_ashrrev_i32_e32 v7, 31, v6
	s_delay_alu instid0(VALU_DEP_2) | instskip(NEXT) | instid1(VALU_DEP_2)
	v_lshlrev_b64 v[4:5], 3, v[4:5]
	v_lshlrev_b64 v[6:7], 3, v[6:7]
	s_delay_alu instid0(VALU_DEP_2) | instskip(NEXT) | instid1(VALU_DEP_3)
	v_add_co_u32 v35, vcc_lo, s18, v4
	v_add_co_ci_u32_e32 v36, vcc_lo, s19, v5, vcc_lo
	s_delay_alu instid0(VALU_DEP_3) | instskip(NEXT) | instid1(VALU_DEP_4)
	v_add_co_u32 v37, vcc_lo, s18, v6
	v_add_co_ci_u32_e32 v38, vcc_lo, s19, v7, vcc_lo
	s_clause 0x5
	global_load_b128 v[4:7], v[35:36], off
	global_load_b128 v[23:26], v[37:38], off
	global_load_b128 v[27:30], v[35:36], off offset:16
	global_load_b128 v[31:34], v[37:38], off offset:16
	global_load_b64 v[35:36], v[35:36], off offset:32
	global_load_b64 v[37:38], v[37:38], off offset:32
	s_waitcnt vmcnt(4)
	v_fmac_f32_e32 v21, v4, v23
	s_delay_alu instid0(VALU_DEP_1) | instskip(NEXT) | instid1(VALU_DEP_1)
	v_fmac_f32_e32 v21, v5, v24
	v_dual_fmac_f32 v22, v5, v23 :: v_dual_fmac_f32 v21, v6, v25
	s_delay_alu instid0(VALU_DEP_1) | instskip(NEXT) | instid1(VALU_DEP_2)
	v_fma_f32 v4, v4, -v24, v22
	v_fmac_f32_e32 v21, v7, v26
	s_waitcnt vmcnt(2)
	s_delay_alu instid0(VALU_DEP_1) | instskip(NEXT) | instid1(VALU_DEP_1)
	v_fmac_f32_e32 v21, v27, v31
	v_dual_fmac_f32 v4, v7, v25 :: v_dual_fmac_f32 v21, v28, v32
	s_delay_alu instid0(VALU_DEP_1) | instskip(NEXT) | instid1(VALU_DEP_1)
	v_fma_f32 v4, v6, -v26, v4
	v_dual_fmac_f32 v21, v29, v33 :: v_dual_fmac_f32 v4, v28, v31
	s_delay_alu instid0(VALU_DEP_1) | instskip(NEXT) | instid1(VALU_DEP_1)
	v_fma_f32 v4, v27, -v32, v4
	v_fmac_f32_e32 v4, v30, v33
	s_delay_alu instid0(VALU_DEP_1) | instskip(SKIP_1) | instid1(VALU_DEP_1)
	v_fma_f32 v4, v29, -v34, v4
	s_waitcnt vmcnt(0)
	v_dual_fmac_f32 v21, v30, v34 :: v_dual_fmac_f32 v4, v36, v37
	s_delay_alu instid0(VALU_DEP_1) | instskip(NEXT) | instid1(VALU_DEP_2)
	v_fmac_f32_e32 v21, v35, v37
	v_fma_f32 v7, v35, -v38, v4
	s_delay_alu instid0(VALU_DEP_2) | instskip(NEXT) | instid1(VALU_DEP_1)
	v_fmac_f32_e32 v21, v36, v38
	v_mov_b32_e32 v6, v21
.LBB44_29:                              ;   in Loop: Header=BB44_9 Depth=1
	s_add_i32 s1, s1, -1
	s_add_i32 s20, s20, 4
	s_cmp_eq_u32 s1, 0
	s_cbranch_scc1 .LBB44_31
; %bb.30:                               ;   in Loop: Header=BB44_9 Depth=1
	v_dual_mov_b32 v22, v7 :: v_dual_mov_b32 v21, v6
	s_waitcnt lgkmcnt(0)
	v_mov_b32_e32 v4, s20
	s_and_b32 vcc_lo, exec_lo, s29
	ds_load_2addr_b32 v[4:5], v4 offset1:32
	s_cbranch_vccz .LBB44_27
	s_branch .LBB44_26
.LBB44_31:                              ;   in Loop: Header=BB44_9 Depth=1
	ds_store_b64 v19, v[6:7]
	s_waitcnt lgkmcnt(0)
	buffer_gl0_inv
	ds_load_b64 v[6:7], v0
	ds_load_b64 v[4:5], v15
	s_waitcnt lgkmcnt(1)
	v_cmp_neq_f32_e32 vcc_lo, 0, v6
	v_cmp_neq_f32_e64 s1, 0, v7
	s_delay_alu instid0(VALU_DEP_1) | instskip(SKIP_2) | instid1(SALU_CYCLE_1)
	s_or_b32 vcc_lo, vcc_lo, s1
	v_dual_cndmask_b32 v6, 1.0, v6 :: v_dual_cndmask_b32 v7, 0, v7
	s_or_b32 s1, vcc_lo, s0
	s_xor_b32 s20, s1, -1
	s_delay_alu instid0(SALU_CYCLE_1)
	s_and_saveexec_b32 s1, s20
	s_cbranch_execz .LBB44_35
; %bb.32:                               ;   in Loop: Header=BB44_9 Depth=1
	v_mbcnt_lo_u32_b32 v6, exec_lo, 0
	s_mov_b32 s20, exec_lo
	s_delay_alu instid0(VALU_DEP_1)
	v_cmpx_eq_u32_e32 0, v6
	s_cbranch_execz .LBB44_34
; %bb.33:                               ;   in Loop: Header=BB44_9 Depth=1
	v_mov_b32_e32 v6, s3
	global_atomic_min_i32 v0, v6, s[10:11]
.LBB44_34:                              ;   in Loop: Header=BB44_9 Depth=1
	s_or_b32 exec_lo, exec_lo, s20
	v_dual_mov_b32 v6, 1.0 :: v_dual_mov_b32 v7, 0
.LBB44_35:                              ;   in Loop: Header=BB44_9 Depth=1
	s_or_b32 exec_lo, exec_lo, s1
	s_delay_alu instid0(VALU_DEP_1) | instskip(SKIP_2) | instid1(VALU_DEP_1)
	v_mul_f32_e32 v23, v7, v7
	ds_load_b64 v[21:22], v16
	v_fmac_f32_e32 v23, v6, v6
	v_div_scale_f32 v24, null, v23, v23, 1.0
	v_div_scale_f32 v27, vcc_lo, 1.0, v23, 1.0
	s_delay_alu instid0(VALU_DEP_2)
	v_rcp_f32_e32 v25, v24
	s_waitcnt lgkmcnt(0)
	v_dual_sub_f32 v5, v5, v22 :: v_dual_sub_f32 v4, v4, v21
	s_waitcnt_depctr 0xfff
	v_fma_f32 v26, -v24, v25, 1.0
	v_mul_f32_e32 v21, v7, v5
	v_mul_f32_e64 v7, v7, -v4
	s_delay_alu instid0(VALU_DEP_3) | instskip(NEXT) | instid1(VALU_DEP_1)
	v_fmac_f32_e32 v25, v26, v25
	v_dual_fmac_f32 v21, v4, v6 :: v_dual_mul_f32 v26, v27, v25
	s_delay_alu instid0(VALU_DEP_1) | instskip(NEXT) | instid1(VALU_DEP_1)
	v_fma_f32 v28, -v24, v26, v27
	v_fmac_f32_e32 v26, v28, v25
	s_delay_alu instid0(VALU_DEP_1) | instskip(NEXT) | instid1(VALU_DEP_1)
	v_fma_f32 v22, -v24, v26, v27
	v_div_fmas_f32 v22, v22, v25, v26
	s_delay_alu instid0(VALU_DEP_1) | instskip(NEXT) | instid1(VALU_DEP_1)
	v_div_fixup_f32 v22, v22, v23, 1.0
	v_dual_fmac_f32 v7, v5, v6 :: v_dual_mul_f32 v4, v22, v21
	s_delay_alu instid0(VALU_DEP_1)
	v_mul_f32_e32 v5, v22, v7
	ds_store_b64 v15, v[4:5]
	s_waitcnt lgkmcnt(0)
	s_waitcnt_vscnt null, 0x0
	buffer_gl0_inv
	ds_load_b64 v[6:7], v20
	ds_load_b64 v[21:22], v12
	s_waitcnt lgkmcnt(0)
	v_fma_f32 v21, v4, v6, v21
	v_fmac_f32_e32 v22, v5, v6
	s_delay_alu instid0(VALU_DEP_2) | instskip(NEXT) | instid1(VALU_DEP_2)
	v_fmac_f32_e32 v21, v5, v7
	v_fma_f32 v22, v4, -v7, v22
	ds_store_b64 v12, v[21:22]
	s_waitcnt lgkmcnt(0)
	buffer_gl0_inv
	ds_load_b64 v[6:7], v0 offset:56
	ds_load_b64 v[4:5], v15 offset:8
	s_waitcnt lgkmcnt(1)
	v_cmp_neq_f32_e32 vcc_lo, 0, v6
	v_cmp_neq_f32_e64 s1, 0, v7
	s_delay_alu instid0(VALU_DEP_1) | instskip(SKIP_2) | instid1(SALU_CYCLE_1)
	s_or_b32 vcc_lo, vcc_lo, s1
	v_dual_cndmask_b32 v6, 1.0, v6 :: v_dual_cndmask_b32 v7, 0, v7
	s_or_b32 s1, vcc_lo, s0
	s_xor_b32 s20, s1, -1
	s_delay_alu instid0(SALU_CYCLE_1)
	s_and_saveexec_b32 s1, s20
	s_cbranch_execz .LBB44_39
; %bb.36:                               ;   in Loop: Header=BB44_9 Depth=1
	v_mbcnt_lo_u32_b32 v6, exec_lo, 0
	s_mov_b32 s20, exec_lo
	s_delay_alu instid0(VALU_DEP_1)
	v_cmpx_eq_u32_e32 0, v6
	s_cbranch_execz .LBB44_38
; %bb.37:                               ;   in Loop: Header=BB44_9 Depth=1
	v_mov_b32_e32 v6, s3
	global_atomic_min_i32 v0, v6, s[10:11]
.LBB44_38:                              ;   in Loop: Header=BB44_9 Depth=1
	s_or_b32 exec_lo, exec_lo, s20
	v_dual_mov_b32 v6, 1.0 :: v_dual_mov_b32 v7, 0
.LBB44_39:                              ;   in Loop: Header=BB44_9 Depth=1
	s_or_b32 exec_lo, exec_lo, s1
	ds_load_b64 v[21:22], v15
	ds_load_b64 v[23:24], v0 offset:48
	ds_load_b64 v[25:26], v16 offset:8
	v_mul_f32_e32 v27, v7, v7
	s_delay_alu instid0(VALU_DEP_1) | instskip(NEXT) | instid1(VALU_DEP_1)
	v_fmac_f32_e32 v27, v6, v6
	v_div_scale_f32 v28, null, v27, v27, 1.0
	v_div_scale_f32 v31, vcc_lo, 1.0, v27, 1.0
	s_delay_alu instid0(VALU_DEP_2) | instskip(SKIP_3) | instid1(VALU_DEP_2)
	v_rcp_f32_e32 v29, v28
	s_waitcnt lgkmcnt(0)
	v_fma_f32 v26, v24, v21, v26
	v_fmac_f32_e32 v25, v23, v21
	v_fma_f32 v21, v23, -v22, v26
	s_waitcnt_depctr 0xfff
	v_fma_f32 v30, -v28, v29, 1.0
	v_sub_f32_e32 v5, v5, v21
	s_delay_alu instid0(VALU_DEP_1) | instskip(NEXT) | instid1(VALU_DEP_1)
	v_dual_fmac_f32 v25, v24, v22 :: v_dual_mul_f32 v22, v7, v5
	v_sub_f32_e32 v4, v4, v25
	s_delay_alu instid0(VALU_DEP_1) | instskip(NEXT) | instid1(VALU_DEP_1)
	v_mul_f32_e64 v7, v7, -v4
	v_fmac_f32_e32 v7, v5, v6
	s_delay_alu instid0(VALU_DEP_4) | instskip(NEXT) | instid1(VALU_DEP_1)
	v_dual_fmac_f32 v29, v30, v29 :: v_dual_fmac_f32 v22, v4, v6
	v_mul_f32_e32 v30, v31, v29
	s_delay_alu instid0(VALU_DEP_1) | instskip(NEXT) | instid1(VALU_DEP_1)
	v_fma_f32 v32, -v28, v30, v31
	v_fmac_f32_e32 v30, v32, v29
	s_delay_alu instid0(VALU_DEP_1) | instskip(NEXT) | instid1(VALU_DEP_1)
	v_fma_f32 v21, -v28, v30, v31
	v_div_fmas_f32 v21, v21, v29, v30
	s_delay_alu instid0(VALU_DEP_1) | instskip(NEXT) | instid1(VALU_DEP_1)
	v_div_fixup_f32 v21, v21, v27, 1.0
	v_mul_f32_e32 v4, v21, v22
	v_mul_f32_e32 v5, v21, v7
	ds_store_b64 v15, v[4:5] offset:8
	s_waitcnt lgkmcnt(0)
	s_waitcnt_vscnt null, 0x0
	buffer_gl0_inv
	ds_load_b64 v[6:7], v20 offset:8
	ds_load_b64 v[21:22], v12
	s_waitcnt lgkmcnt(0)
	v_fma_f32 v21, v4, v6, v21
	v_fmac_f32_e32 v22, v5, v6
	s_delay_alu instid0(VALU_DEP_2) | instskip(NEXT) | instid1(VALU_DEP_2)
	v_fmac_f32_e32 v21, v5, v7
	v_fma_f32 v22, v4, -v7, v22
	ds_store_b64 v12, v[21:22]
	s_waitcnt lgkmcnt(0)
	buffer_gl0_inv
	ds_load_b64 v[6:7], v0 offset:112
	ds_load_b64 v[4:5], v15 offset:16
	s_waitcnt lgkmcnt(1)
	v_cmp_neq_f32_e32 vcc_lo, 0, v6
	v_cmp_neq_f32_e64 s1, 0, v7
	s_delay_alu instid0(VALU_DEP_1) | instskip(SKIP_2) | instid1(SALU_CYCLE_1)
	s_or_b32 vcc_lo, vcc_lo, s1
	v_dual_cndmask_b32 v7, 0, v7 :: v_dual_cndmask_b32 v6, 1.0, v6
	s_or_b32 s1, vcc_lo, s0
	s_xor_b32 s20, s1, -1
	s_delay_alu instid0(SALU_CYCLE_1)
	s_and_saveexec_b32 s1, s20
	s_cbranch_execz .LBB44_43
; %bb.40:                               ;   in Loop: Header=BB44_9 Depth=1
	v_mbcnt_lo_u32_b32 v6, exec_lo, 0
	s_mov_b32 s20, exec_lo
	s_delay_alu instid0(VALU_DEP_1)
	v_cmpx_eq_u32_e32 0, v6
	s_cbranch_execz .LBB44_42
; %bb.41:                               ;   in Loop: Header=BB44_9 Depth=1
	v_mov_b32_e32 v6, s3
	global_atomic_min_i32 v0, v6, s[10:11]
.LBB44_42:                              ;   in Loop: Header=BB44_9 Depth=1
	s_or_b32 exec_lo, exec_lo, s20
	v_dual_mov_b32 v6, 1.0 :: v_dual_mov_b32 v7, 0
.LBB44_43:                              ;   in Loop: Header=BB44_9 Depth=1
	s_or_b32 exec_lo, exec_lo, s1
	ds_load_b128 v[21:24], v0 offset:96
	ds_load_b128 v[25:28], v15
	ds_load_b64 v[29:30], v16 offset:16
	s_waitcnt lgkmcnt(0)
	v_fma_f32 v30, v22, v25, v30
	v_fmac_f32_e32 v29, v21, v25
	s_delay_alu instid0(VALU_DEP_2) | instskip(NEXT) | instid1(VALU_DEP_2)
	v_fma_f32 v21, v21, -v26, v30
	v_fmac_f32_e32 v29, v22, v26
	s_delay_alu instid0(VALU_DEP_2) | instskip(NEXT) | instid1(VALU_DEP_2)
	v_fmac_f32_e32 v21, v24, v27
	v_fmac_f32_e32 v29, v23, v27
	s_delay_alu instid0(VALU_DEP_2) | instskip(NEXT) | instid1(VALU_DEP_2)
	v_fma_f32 v21, v23, -v28, v21
	v_fmac_f32_e32 v29, v24, v28
	v_mul_f32_e32 v31, v7, v7
	s_delay_alu instid0(VALU_DEP_3) | instskip(NEXT) | instid1(VALU_DEP_2)
	v_sub_f32_e32 v5, v5, v21
	v_dual_sub_f32 v4, v4, v29 :: v_dual_fmac_f32 v31, v6, v6
	s_delay_alu instid0(VALU_DEP_1) | instskip(SKIP_1) | instid1(VALU_DEP_2)
	v_div_scale_f32 v32, null, v31, v31, 1.0
	v_div_scale_f32 v35, vcc_lo, 1.0, v31, 1.0
	v_rcp_f32_e32 v33, v32
	s_waitcnt_depctr 0xfff
	v_fma_f32 v34, -v32, v33, 1.0
	s_delay_alu instid0(VALU_DEP_1) | instskip(NEXT) | instid1(VALU_DEP_1)
	v_fmac_f32_e32 v33, v34, v33
	v_mul_f32_e32 v25, v35, v33
	s_delay_alu instid0(VALU_DEP_1) | instskip(NEXT) | instid1(VALU_DEP_1)
	v_fma_f32 v22, -v32, v25, v35
	v_fmac_f32_e32 v25, v22, v33
	v_mul_f32_e32 v22, v7, v5
	v_mul_f32_e64 v7, v7, -v4
	s_delay_alu instid0(VALU_DEP_3) | instskip(NEXT) | instid1(VALU_DEP_3)
	v_fma_f32 v21, -v32, v25, v35
	v_fmac_f32_e32 v22, v4, v6
	s_delay_alu instid0(VALU_DEP_3) | instskip(NEXT) | instid1(VALU_DEP_3)
	v_fmac_f32_e32 v7, v5, v6
	v_div_fmas_f32 v21, v21, v33, v25
	s_delay_alu instid0(VALU_DEP_1) | instskip(NEXT) | instid1(VALU_DEP_1)
	v_div_fixup_f32 v21, v21, v31, 1.0
	v_mul_f32_e32 v4, v21, v22
	s_delay_alu instid0(VALU_DEP_4)
	v_mul_f32_e32 v5, v21, v7
	ds_store_b64 v15, v[4:5] offset:16
	s_waitcnt lgkmcnt(0)
	s_waitcnt_vscnt null, 0x0
	buffer_gl0_inv
	ds_load_b64 v[6:7], v20 offset:16
	ds_load_b64 v[21:22], v12
	s_waitcnt lgkmcnt(0)
	v_fma_f32 v21, v4, v6, v21
	v_fmac_f32_e32 v22, v5, v6
	s_delay_alu instid0(VALU_DEP_2) | instskip(NEXT) | instid1(VALU_DEP_2)
	v_fmac_f32_e32 v21, v5, v7
	v_fma_f32 v22, v4, -v7, v22
	ds_store_b64 v12, v[21:22]
	s_waitcnt lgkmcnt(0)
	buffer_gl0_inv
	ds_load_b64 v[6:7], v0 offset:168
	ds_load_b64 v[4:5], v15 offset:24
	s_waitcnt lgkmcnt(1)
	v_cmp_neq_f32_e32 vcc_lo, 0, v6
	v_cmp_neq_f32_e64 s1, 0, v7
	s_delay_alu instid0(VALU_DEP_1) | instskip(SKIP_2) | instid1(SALU_CYCLE_1)
	s_or_b32 vcc_lo, vcc_lo, s1
	v_dual_cndmask_b32 v6, 1.0, v6 :: v_dual_cndmask_b32 v7, 0, v7
	s_or_b32 s1, vcc_lo, s0
	s_xor_b32 s20, s1, -1
	s_delay_alu instid0(SALU_CYCLE_1)
	s_and_saveexec_b32 s1, s20
	s_cbranch_execz .LBB44_47
; %bb.44:                               ;   in Loop: Header=BB44_9 Depth=1
	v_mbcnt_lo_u32_b32 v6, exec_lo, 0
	s_mov_b32 s20, exec_lo
	s_delay_alu instid0(VALU_DEP_1)
	v_cmpx_eq_u32_e32 0, v6
	s_cbranch_execz .LBB44_46
; %bb.45:                               ;   in Loop: Header=BB44_9 Depth=1
	v_mov_b32_e32 v6, s3
	global_atomic_min_i32 v0, v6, s[10:11]
.LBB44_46:                              ;   in Loop: Header=BB44_9 Depth=1
	s_or_b32 exec_lo, exec_lo, s20
	v_dual_mov_b32 v6, 1.0 :: v_dual_mov_b32 v7, 0
.LBB44_47:                              ;   in Loop: Header=BB44_9 Depth=1
	s_or_b32 exec_lo, exec_lo, s1
	ds_load_b128 v[21:24], v0 offset:144
	ds_load_b64 v[29:30], v16 offset:24
	ds_load_b128 v[25:28], v15
	ds_load_b64 v[31:32], v0 offset:160
	ds_load_b64 v[33:34], v15 offset:16
	s_waitcnt lgkmcnt(2)
	v_fma_f32 v30, v22, v25, v30
	v_fmac_f32_e32 v29, v21, v25
	s_delay_alu instid0(VALU_DEP_2) | instskip(NEXT) | instid1(VALU_DEP_2)
	v_fma_f32 v21, v21, -v26, v30
	v_fmac_f32_e32 v29, v22, v26
	s_delay_alu instid0(VALU_DEP_2) | instskip(NEXT) | instid1(VALU_DEP_2)
	v_fmac_f32_e32 v21, v24, v27
	v_fmac_f32_e32 v29, v23, v27
	s_delay_alu instid0(VALU_DEP_2) | instskip(NEXT) | instid1(VALU_DEP_2)
	v_fma_f32 v21, v23, -v28, v21
	v_fmac_f32_e32 v29, v24, v28
	s_waitcnt lgkmcnt(0)
	s_delay_alu instid0(VALU_DEP_2) | instskip(NEXT) | instid1(VALU_DEP_2)
	v_fmac_f32_e32 v21, v32, v33
	v_fmac_f32_e32 v29, v31, v33
	s_delay_alu instid0(VALU_DEP_2) | instskip(NEXT) | instid1(VALU_DEP_2)
	v_fma_f32 v21, v31, -v34, v21
	v_fmac_f32_e32 v29, v32, v34
	v_mul_f32_e32 v35, v7, v7
	s_delay_alu instid0(VALU_DEP_3) | instskip(NEXT) | instid1(VALU_DEP_2)
	v_sub_f32_e32 v5, v5, v21
	v_dual_sub_f32 v4, v4, v29 :: v_dual_fmac_f32 v35, v6, v6
	s_delay_alu instid0(VALU_DEP_1) | instskip(SKIP_1) | instid1(VALU_DEP_2)
	v_div_scale_f32 v36, null, v35, v35, 1.0
	v_div_scale_f32 v22, vcc_lo, 1.0, v35, 1.0
	v_rcp_f32_e32 v37, v36
	s_waitcnt_depctr 0xfff
	v_fma_f32 v25, -v36, v37, 1.0
	s_delay_alu instid0(VALU_DEP_1) | instskip(NEXT) | instid1(VALU_DEP_1)
	v_fmac_f32_e32 v37, v25, v37
	v_mul_f32_e32 v25, v22, v37
	s_delay_alu instid0(VALU_DEP_1) | instskip(NEXT) | instid1(VALU_DEP_1)
	v_fma_f32 v23, -v36, v25, v22
	v_fmac_f32_e32 v25, v23, v37
	s_delay_alu instid0(VALU_DEP_1) | instskip(NEXT) | instid1(VALU_DEP_1)
	v_fma_f32 v22, -v36, v25, v22
	v_div_fmas_f32 v21, v22, v37, v25
	v_mul_f32_e32 v22, v7, v5
	v_mul_f32_e64 v7, v7, -v4
	s_delay_alu instid0(VALU_DEP_3) | instskip(NEXT) | instid1(VALU_DEP_3)
	v_div_fixup_f32 v21, v21, v35, 1.0
	v_fmac_f32_e32 v22, v4, v6
	s_delay_alu instid0(VALU_DEP_3) | instskip(NEXT) | instid1(VALU_DEP_2)
	v_fmac_f32_e32 v7, v5, v6
	v_mul_f32_e32 v4, v21, v22
	s_delay_alu instid0(VALU_DEP_2)
	v_mul_f32_e32 v5, v21, v7
	ds_store_b64 v15, v[4:5] offset:24
	s_waitcnt lgkmcnt(0)
	s_waitcnt_vscnt null, 0x0
	buffer_gl0_inv
	ds_load_b64 v[6:7], v20 offset:24
	ds_load_b64 v[21:22], v12
	s_waitcnt lgkmcnt(0)
	v_fma_f32 v21, v4, v6, v21
	v_fmac_f32_e32 v22, v5, v6
	s_delay_alu instid0(VALU_DEP_2) | instskip(NEXT) | instid1(VALU_DEP_2)
	v_fmac_f32_e32 v21, v5, v7
	v_fma_f32 v22, v4, -v7, v22
	ds_store_b64 v12, v[21:22]
	s_waitcnt lgkmcnt(0)
	buffer_gl0_inv
	ds_load_b64 v[6:7], v0 offset:224
	ds_load_b64 v[4:5], v15 offset:32
	s_waitcnt lgkmcnt(1)
	v_cmp_neq_f32_e32 vcc_lo, 0, v6
	v_cmp_neq_f32_e64 s1, 0, v7
	s_delay_alu instid0(VALU_DEP_1) | instskip(SKIP_2) | instid1(SALU_CYCLE_1)
	s_or_b32 vcc_lo, vcc_lo, s1
	v_dual_cndmask_b32 v6, 1.0, v6 :: v_dual_cndmask_b32 v7, 0, v7
	s_or_b32 s1, vcc_lo, s0
	s_xor_b32 s20, s1, -1
	s_delay_alu instid0(SALU_CYCLE_1)
	s_and_saveexec_b32 s1, s20
	s_cbranch_execz .LBB44_7
; %bb.48:                               ;   in Loop: Header=BB44_9 Depth=1
	v_mbcnt_lo_u32_b32 v6, exec_lo, 0
	s_mov_b32 s20, exec_lo
	s_delay_alu instid0(VALU_DEP_1)
	v_cmpx_eq_u32_e32 0, v6
	s_cbranch_execz .LBB44_6
; %bb.49:                               ;   in Loop: Header=BB44_9 Depth=1
	v_mov_b32_e32 v6, s3
	global_atomic_min_i32 v0, v6, s[10:11]
	s_branch .LBB44_6
.LBB44_50:
	v_mov_b32_e32 v0, v10
	s_cmp_lg_u32 s28, 0
	s_cselect_b32 s4, -1, 0
	s_cmp_eq_u32 s28, 0
	s_cbranch_scc1 .LBB44_52
; %bb.51:
	v_mad_u32_u24 v0, v8, 5, v9
.LBB44_52:
	s_mul_i32 s3, s26, 25
	v_cmp_ne_u32_e64 s1, 0, v9
	s_delay_alu instid0(VALU_DEP_2) | instskip(SKIP_1) | instid1(VALU_DEP_1)
	v_add_nc_u32_e32 v0, s3, v0
	s_mov_b32 s2, exec_lo
	v_ashrrev_i32_e32 v1, 31, v0
	s_delay_alu instid0(VALU_DEP_1) | instskip(NEXT) | instid1(VALU_DEP_1)
	v_lshlrev_b64 v[0:1], 3, v[0:1]
	v_add_co_u32 v0, vcc_lo, s18, v0
	s_delay_alu instid0(VALU_DEP_2)
	v_add_co_ci_u32_e32 v1, vcc_lo, s19, v1, vcc_lo
	global_load_b64 v[0:1], v[0:1], off
	s_waitcnt vmcnt(0)
	ds_store_b64 v13, v[0:1] offset:480
	s_waitcnt lgkmcnt(0)
	buffer_gl0_inv
	v_cmpx_eq_u32_e32 0, v9
	s_cbranch_execz .LBB44_61
; %bb.53:
	v_mov_b32_e32 v2, 0
	ds_load_2addr_b64 v[3:6], v2 offset0:60 offset1:90
	s_waitcnt lgkmcnt(0)
	v_dual_sub_f32 v0, v3, v5 :: v_dual_sub_f32 v3, v4, v6
	s_delay_alu instid0(VALU_DEP_1) | instskip(SKIP_1) | instid1(VALU_DEP_3)
	v_cmp_gt_f32_e32 vcc_lo, 0, v0
	v_cndmask_b32_e64 v0, v0, -v0, vcc_lo
	v_cmp_gt_f32_e32 vcc_lo, 0, v3
	v_cndmask_b32_e64 v1, v3, -v3, vcc_lo
	s_delay_alu instid0(VALU_DEP_1)
	v_cmp_ngt_f32_e32 vcc_lo, v0, v1
	s_cbranch_vccz .LBB44_57
; %bb.54:
	v_cmp_eq_f32_e32 vcc_lo, 0, v3
	s_mov_b32 s5, 0
	s_cbranch_vccnz .LBB44_58
; %bb.55:
	v_div_scale_f32 v2, null, v1, v1, v0
	v_div_scale_f32 v5, vcc_lo, v0, v1, v0
	s_delay_alu instid0(VALU_DEP_2) | instskip(SKIP_2) | instid1(VALU_DEP_1)
	v_rcp_f32_e32 v3, v2
	s_waitcnt_depctr 0xfff
	v_fma_f32 v4, -v2, v3, 1.0
	v_fmac_f32_e32 v3, v4, v3
	s_delay_alu instid0(VALU_DEP_1) | instskip(NEXT) | instid1(VALU_DEP_1)
	v_mul_f32_e32 v4, v5, v3
	v_fma_f32 v6, -v2, v4, v5
	s_delay_alu instid0(VALU_DEP_1) | instskip(NEXT) | instid1(VALU_DEP_1)
	v_fmac_f32_e32 v4, v6, v3
	v_fma_f32 v2, -v2, v4, v5
	s_delay_alu instid0(VALU_DEP_1) | instskip(NEXT) | instid1(VALU_DEP_1)
	v_div_fmas_f32 v2, v2, v3, v4
	v_div_fixup_f32 v2, v2, v1, v0
	s_delay_alu instid0(VALU_DEP_1) | instskip(NEXT) | instid1(VALU_DEP_1)
	v_fma_f32 v2, v2, v2, 1.0
	v_mul_f32_e32 v3, 0x4f800000, v2
	v_cmp_gt_f32_e32 vcc_lo, 0xf800000, v2
	s_delay_alu instid0(VALU_DEP_2) | instskip(NEXT) | instid1(VALU_DEP_1)
	v_cndmask_b32_e32 v2, v2, v3, vcc_lo
	v_sqrt_f32_e32 v3, v2
	s_waitcnt_depctr 0xfff
	v_add_nc_u32_e32 v4, -1, v3
	v_add_nc_u32_e32 v5, 1, v3
	s_delay_alu instid0(VALU_DEP_2) | instskip(NEXT) | instid1(VALU_DEP_2)
	v_fma_f32 v6, -v4, v3, v2
	v_fma_f32 v7, -v5, v3, v2
	s_delay_alu instid0(VALU_DEP_2) | instskip(NEXT) | instid1(VALU_DEP_1)
	v_cmp_ge_f32_e64 s0, 0, v6
	v_cndmask_b32_e64 v3, v3, v4, s0
	s_delay_alu instid0(VALU_DEP_3) | instskip(NEXT) | instid1(VALU_DEP_1)
	v_cmp_lt_f32_e64 s0, 0, v7
	v_cndmask_b32_e64 v3, v3, v5, s0
	s_delay_alu instid0(VALU_DEP_1) | instskip(NEXT) | instid1(VALU_DEP_1)
	v_mul_f32_e32 v4, 0x37800000, v3
	v_cndmask_b32_e32 v3, v3, v4, vcc_lo
	v_cmp_class_f32_e64 vcc_lo, v2, 0x260
	s_delay_alu instid0(VALU_DEP_2) | instskip(NEXT) | instid1(VALU_DEP_1)
	v_cndmask_b32_e32 v2, v3, v2, vcc_lo
	v_mul_f32_e32 v2, v1, v2
	s_branch .LBB44_58
.LBB44_56:
	s_cbranch_execnz .LBB44_126
	s_branch .LBB44_131
.LBB44_57:
	s_mov_b32 s5, -1
                                        ; implicit-def: $vgpr2
.LBB44_58:
	s_delay_alu instid0(SALU_CYCLE_1)
	s_and_not1_b32 vcc_lo, exec_lo, s5
	s_cbranch_vccnz .LBB44_60
; %bb.59:
	v_div_scale_f32 v2, null, v0, v0, v1
	v_div_scale_f32 v5, vcc_lo, v1, v0, v1
	s_delay_alu instid0(VALU_DEP_2) | instskip(SKIP_2) | instid1(VALU_DEP_1)
	v_rcp_f32_e32 v3, v2
	s_waitcnt_depctr 0xfff
	v_fma_f32 v4, -v2, v3, 1.0
	v_fmac_f32_e32 v3, v4, v3
	s_delay_alu instid0(VALU_DEP_1) | instskip(NEXT) | instid1(VALU_DEP_1)
	v_mul_f32_e32 v4, v5, v3
	v_fma_f32 v6, -v2, v4, v5
	s_delay_alu instid0(VALU_DEP_1) | instskip(NEXT) | instid1(VALU_DEP_1)
	v_fmac_f32_e32 v4, v6, v3
	v_fma_f32 v2, -v2, v4, v5
	s_delay_alu instid0(VALU_DEP_1) | instskip(NEXT) | instid1(VALU_DEP_1)
	v_div_fmas_f32 v2, v2, v3, v4
	v_div_fixup_f32 v1, v2, v0, v1
	s_delay_alu instid0(VALU_DEP_1) | instskip(NEXT) | instid1(VALU_DEP_1)
	v_fma_f32 v1, v1, v1, 1.0
	v_mul_f32_e32 v2, 0x4f800000, v1
	v_cmp_gt_f32_e32 vcc_lo, 0xf800000, v1
	s_delay_alu instid0(VALU_DEP_2) | instskip(NEXT) | instid1(VALU_DEP_1)
	v_cndmask_b32_e32 v1, v1, v2, vcc_lo
	v_sqrt_f32_e32 v2, v1
	s_waitcnt_depctr 0xfff
	v_add_nc_u32_e32 v3, -1, v2
	v_add_nc_u32_e32 v4, 1, v2
	s_delay_alu instid0(VALU_DEP_2) | instskip(NEXT) | instid1(VALU_DEP_2)
	v_fma_f32 v5, -v3, v2, v1
	v_fma_f32 v6, -v4, v2, v1
	s_delay_alu instid0(VALU_DEP_2) | instskip(NEXT) | instid1(VALU_DEP_1)
	v_cmp_ge_f32_e64 s0, 0, v5
	v_cndmask_b32_e64 v2, v2, v3, s0
	s_delay_alu instid0(VALU_DEP_3) | instskip(NEXT) | instid1(VALU_DEP_1)
	v_cmp_lt_f32_e64 s0, 0, v6
	v_cndmask_b32_e64 v2, v2, v4, s0
	s_delay_alu instid0(VALU_DEP_1) | instskip(NEXT) | instid1(VALU_DEP_1)
	v_mul_f32_e32 v3, 0x37800000, v2
	v_cndmask_b32_e32 v2, v2, v3, vcc_lo
	v_cmp_class_f32_e64 vcc_lo, v1, 0x260
	s_delay_alu instid0(VALU_DEP_2) | instskip(NEXT) | instid1(VALU_DEP_1)
	v_cndmask_b32_e32 v1, v2, v1, vcc_lo
	v_mul_f32_e32 v2, v0, v1
.LBB44_60:
	s_delay_alu instid0(VALU_DEP_1) | instskip(SKIP_1) | instid1(VALU_DEP_2)
	v_mul_f32_e32 v0, 0x4f800000, v2
	v_cmp_gt_f32_e32 vcc_lo, 0xf800000, v2
	v_cndmask_b32_e32 v0, v2, v0, vcc_lo
	s_delay_alu instid0(VALU_DEP_1) | instskip(SKIP_3) | instid1(VALU_DEP_2)
	v_sqrt_f32_e32 v1, v0
	s_waitcnt_depctr 0xfff
	v_add_nc_u32_e32 v2, -1, v1
	v_add_nc_u32_e32 v3, 1, v1
	v_fma_f32 v4, -v2, v1, v0
	s_delay_alu instid0(VALU_DEP_2) | instskip(NEXT) | instid1(VALU_DEP_2)
	v_fma_f32 v5, -v3, v1, v0
	v_cmp_ge_f32_e64 s0, 0, v4
	s_delay_alu instid0(VALU_DEP_1) | instskip(NEXT) | instid1(VALU_DEP_3)
	v_cndmask_b32_e64 v1, v1, v2, s0
	v_cmp_lt_f32_e64 s0, 0, v5
	s_delay_alu instid0(VALU_DEP_1) | instskip(NEXT) | instid1(VALU_DEP_1)
	v_cndmask_b32_e64 v1, v1, v3, s0
	v_mul_f32_e32 v2, 0x37800000, v1
	s_delay_alu instid0(VALU_DEP_1) | instskip(SKIP_1) | instid1(VALU_DEP_2)
	v_cndmask_b32_e32 v1, v1, v2, vcc_lo
	v_cmp_class_f32_e64 vcc_lo, v0, 0x260
	v_dual_cndmask_b32 v0, v1, v0 :: v_dual_mov_b32 v1, 0
	ds_store_b64 v1, v[0:1] offset:480
.LBB44_61:
	s_or_b32 exec_lo, exec_lo, s2
	v_dual_mov_b32 v1, 0 :: v_dual_add_nc_u32 v0, 0x1e0, v13
	s_waitcnt lgkmcnt(0)
	buffer_gl0_inv
	ds_load_b64 v[2:3], v1 offset:480
	v_or_b32_e32 v1, v8, v9
	s_delay_alu instid0(VALU_DEP_1) | instskip(SKIP_3) | instid1(VALU_DEP_1)
	v_cmp_ne_u32_e64 s0, 0, v1
	s_waitcnt lgkmcnt(0)
	v_cmp_neq_f32_e32 vcc_lo, 0, v2
	v_cmp_neq_f32_e64 s2, 0, v3
	s_or_b32 vcc_lo, vcc_lo, s2
	s_add_i32 s2, s16, s17
	v_dual_cndmask_b32 v2, 1.0, v2 :: v_dual_cndmask_b32 v3, 0, v3
	s_or_b32 s5, vcc_lo, s0
	s_delay_alu instid0(SALU_CYCLE_1) | instskip(NEXT) | instid1(SALU_CYCLE_1)
	s_xor_b32 s12, s5, -1
	s_and_saveexec_b32 s5, s12
	s_cbranch_execz .LBB44_65
; %bb.62:
	v_mbcnt_lo_u32_b32 v2, exec_lo, 0
	s_mov_b32 s12, exec_lo
	s_delay_alu instid0(VALU_DEP_1)
	v_cmpx_eq_u32_e32 0, v2
	s_cbranch_execz .LBB44_64
; %bb.63:
	v_dual_mov_b32 v2, 0 :: v_dual_mov_b32 v3, s2
	global_atomic_min_i32 v2, v3, s[10:11]
.LBB44_64:
	s_or_b32 exec_lo, exec_lo, s12
	v_dual_mov_b32 v2, 1.0 :: v_dual_mov_b32 v3, 0
.LBB44_65:
	s_or_b32 exec_lo, exec_lo, s5
	s_and_saveexec_b32 s5, s1
	s_cbranch_execz .LBB44_67
; %bb.66:
	v_mul_u32_u24_e32 v16, 48, v9
	ds_load_2addr_b64 v[4:7], v16 offset0:60 offset1:90
	s_waitcnt lgkmcnt(0)
	v_dual_mul_f32 v13, v3, v3 :: v_dual_sub_f32 v4, v4, v6
	v_sub_f32_e32 v5, v5, v7
	s_delay_alu instid0(VALU_DEP_1) | instskip(NEXT) | instid1(VALU_DEP_1)
	v_dual_fmac_f32 v13, v2, v2 :: v_dual_mul_f32 v6, v3, v5
	v_div_scale_f32 v14, null, v13, v13, 1.0
	v_div_scale_f32 v18, vcc_lo, 1.0, v13, 1.0
	v_mul_f32_e64 v3, v3, -v4
	s_delay_alu instid0(VALU_DEP_3) | instskip(SKIP_1) | instid1(VALU_DEP_2)
	v_rcp_f32_e32 v15, v14
	v_fmac_f32_e32 v6, v4, v2
	v_fmac_f32_e32 v3, v5, v2
	s_waitcnt_depctr 0xfff
	v_fma_f32 v17, -v14, v15, 1.0
	s_delay_alu instid0(VALU_DEP_1) | instskip(NEXT) | instid1(VALU_DEP_1)
	v_fmac_f32_e32 v15, v17, v15
	v_mul_f32_e32 v17, v18, v15
	s_delay_alu instid0(VALU_DEP_1) | instskip(NEXT) | instid1(VALU_DEP_1)
	v_fma_f32 v19, -v14, v17, v18
	v_fmac_f32_e32 v17, v19, v15
	s_delay_alu instid0(VALU_DEP_1) | instskip(NEXT) | instid1(VALU_DEP_1)
	v_fma_f32 v7, -v14, v17, v18
	v_div_fmas_f32 v7, v7, v15, v17
	s_delay_alu instid0(VALU_DEP_1) | instskip(NEXT) | instid1(VALU_DEP_1)
	v_div_fixup_f32 v4, v7, v13, 1.0
	v_mul_f32_e32 v2, v4, v6
	v_mul_f32_e32 v3, v4, v3
	v_mul_u32_u24_e32 v4, 48, v8
	ds_store_b64 v16, v[2:3] offset:480
	s_waitcnt lgkmcnt(0)
	s_waitcnt_vscnt null, 0x0
	buffer_gl0_inv
	ds_load_b64 v[4:5], v4 offset:480
	ds_load_b64 v[6:7], v12
	s_waitcnt lgkmcnt(0)
	v_fma_f32 v6, v2, v4, v6
	v_fmac_f32_e32 v7, v3, v4
	s_delay_alu instid0(VALU_DEP_2) | instskip(NEXT) | instid1(VALU_DEP_2)
	v_fmac_f32_e32 v6, v3, v5
	v_fma_f32 v7, v2, -v5, v7
	ds_store_b64 v12, v[6:7]
.LBB44_67:
	s_or_b32 exec_lo, exec_lo, s5
	s_delay_alu instid0(SALU_CYCLE_1)
	s_mov_b32 s5, exec_lo
	s_waitcnt lgkmcnt(0)
	s_waitcnt_vscnt null, 0x0
	buffer_gl0_inv
	v_cmpx_eq_u32_e32 1, v9
	s_cbranch_execz .LBB44_75
; %bb.68:
	v_mov_b32_e32 v4, 0
	ds_load_2addr_b64 v[13:16], v4 offset0:67 offset1:97
	s_waitcnt lgkmcnt(0)
	v_dual_sub_f32 v5, v14, v16 :: v_dual_sub_f32 v2, v13, v15
	s_delay_alu instid0(VALU_DEP_1) | instskip(SKIP_1) | instid1(VALU_DEP_3)
	v_cmp_gt_f32_e32 vcc_lo, 0, v2
	v_cndmask_b32_e64 v2, v2, -v2, vcc_lo
	v_cmp_gt_f32_e32 vcc_lo, 0, v5
	v_cndmask_b32_e64 v3, v5, -v5, vcc_lo
	s_delay_alu instid0(VALU_DEP_1)
	v_cmp_gt_f32_e32 vcc_lo, v2, v3
	s_cbranch_vccnz .LBB44_72
; %bb.69:
	v_cmp_eq_f32_e32 vcc_lo, 0, v5
	s_cbranch_vccnz .LBB44_71
; %bb.70:
	v_div_scale_f32 v4, null, v3, v3, v2
	v_div_scale_f32 v7, vcc_lo, v2, v3, v2
	s_delay_alu instid0(VALU_DEP_2) | instskip(SKIP_2) | instid1(VALU_DEP_1)
	v_rcp_f32_e32 v5, v4
	s_waitcnt_depctr 0xfff
	v_fma_f32 v6, -v4, v5, 1.0
	v_fmac_f32_e32 v5, v6, v5
	s_delay_alu instid0(VALU_DEP_1) | instskip(NEXT) | instid1(VALU_DEP_1)
	v_mul_f32_e32 v6, v7, v5
	v_fma_f32 v13, -v4, v6, v7
	s_delay_alu instid0(VALU_DEP_1) | instskip(NEXT) | instid1(VALU_DEP_1)
	v_fmac_f32_e32 v6, v13, v5
	v_fma_f32 v4, -v4, v6, v7
	s_delay_alu instid0(VALU_DEP_1) | instskip(NEXT) | instid1(VALU_DEP_1)
	v_div_fmas_f32 v4, v4, v5, v6
	v_div_fixup_f32 v4, v4, v3, v2
	s_delay_alu instid0(VALU_DEP_1) | instskip(NEXT) | instid1(VALU_DEP_1)
	v_fma_f32 v4, v4, v4, 1.0
	v_mul_f32_e32 v5, 0x4f800000, v4
	v_cmp_gt_f32_e32 vcc_lo, 0xf800000, v4
	s_delay_alu instid0(VALU_DEP_2) | instskip(NEXT) | instid1(VALU_DEP_1)
	v_cndmask_b32_e32 v4, v4, v5, vcc_lo
	v_sqrt_f32_e32 v5, v4
	s_waitcnt_depctr 0xfff
	v_add_nc_u32_e32 v6, -1, v5
	v_add_nc_u32_e32 v7, 1, v5
	s_delay_alu instid0(VALU_DEP_2) | instskip(NEXT) | instid1(VALU_DEP_2)
	v_fma_f32 v13, -v6, v5, v4
	v_fma_f32 v14, -v7, v5, v4
	s_delay_alu instid0(VALU_DEP_2) | instskip(NEXT) | instid1(VALU_DEP_1)
	v_cmp_ge_f32_e64 s1, 0, v13
	v_cndmask_b32_e64 v5, v5, v6, s1
	s_delay_alu instid0(VALU_DEP_3) | instskip(NEXT) | instid1(VALU_DEP_1)
	v_cmp_lt_f32_e64 s1, 0, v14
	v_cndmask_b32_e64 v5, v5, v7, s1
	s_delay_alu instid0(VALU_DEP_1) | instskip(NEXT) | instid1(VALU_DEP_1)
	v_mul_f32_e32 v6, 0x37800000, v5
	v_cndmask_b32_e32 v5, v5, v6, vcc_lo
	v_cmp_class_f32_e64 vcc_lo, v4, 0x260
	s_delay_alu instid0(VALU_DEP_2) | instskip(NEXT) | instid1(VALU_DEP_1)
	v_cndmask_b32_e32 v4, v5, v4, vcc_lo
	v_mul_f32_e32 v4, v3, v4
.LBB44_71:
	s_cbranch_execz .LBB44_73
	s_branch .LBB44_74
.LBB44_72:
                                        ; implicit-def: $vgpr4
.LBB44_73:
	v_div_scale_f32 v4, null, v2, v2, v3
	v_div_scale_f32 v7, vcc_lo, v3, v2, v3
	s_delay_alu instid0(VALU_DEP_2) | instskip(SKIP_2) | instid1(VALU_DEP_1)
	v_rcp_f32_e32 v5, v4
	s_waitcnt_depctr 0xfff
	v_fma_f32 v6, -v4, v5, 1.0
	v_fmac_f32_e32 v5, v6, v5
	s_delay_alu instid0(VALU_DEP_1) | instskip(NEXT) | instid1(VALU_DEP_1)
	v_mul_f32_e32 v6, v7, v5
	v_fma_f32 v13, -v4, v6, v7
	s_delay_alu instid0(VALU_DEP_1) | instskip(NEXT) | instid1(VALU_DEP_1)
	v_fmac_f32_e32 v6, v13, v5
	v_fma_f32 v4, -v4, v6, v7
	s_delay_alu instid0(VALU_DEP_1) | instskip(NEXT) | instid1(VALU_DEP_1)
	v_div_fmas_f32 v4, v4, v5, v6
	v_div_fixup_f32 v3, v4, v2, v3
	s_delay_alu instid0(VALU_DEP_1) | instskip(NEXT) | instid1(VALU_DEP_1)
	v_fma_f32 v3, v3, v3, 1.0
	v_mul_f32_e32 v4, 0x4f800000, v3
	v_cmp_gt_f32_e32 vcc_lo, 0xf800000, v3
	s_delay_alu instid0(VALU_DEP_2) | instskip(NEXT) | instid1(VALU_DEP_1)
	v_cndmask_b32_e32 v3, v3, v4, vcc_lo
	v_sqrt_f32_e32 v4, v3
	s_waitcnt_depctr 0xfff
	v_add_nc_u32_e32 v5, -1, v4
	v_add_nc_u32_e32 v6, 1, v4
	s_delay_alu instid0(VALU_DEP_2) | instskip(NEXT) | instid1(VALU_DEP_2)
	v_fma_f32 v7, -v5, v4, v3
	v_fma_f32 v13, -v6, v4, v3
	s_delay_alu instid0(VALU_DEP_2) | instskip(NEXT) | instid1(VALU_DEP_1)
	v_cmp_ge_f32_e64 s1, 0, v7
	v_cndmask_b32_e64 v4, v4, v5, s1
	s_delay_alu instid0(VALU_DEP_3) | instskip(NEXT) | instid1(VALU_DEP_1)
	v_cmp_lt_f32_e64 s1, 0, v13
	v_cndmask_b32_e64 v4, v4, v6, s1
	s_delay_alu instid0(VALU_DEP_1) | instskip(NEXT) | instid1(VALU_DEP_1)
	v_mul_f32_e32 v5, 0x37800000, v4
	v_cndmask_b32_e32 v4, v4, v5, vcc_lo
	v_cmp_class_f32_e64 vcc_lo, v3, 0x260
	s_delay_alu instid0(VALU_DEP_2) | instskip(NEXT) | instid1(VALU_DEP_1)
	v_cndmask_b32_e32 v3, v4, v3, vcc_lo
	v_mul_f32_e32 v4, v2, v3
.LBB44_74:
	s_delay_alu instid0(VALU_DEP_1) | instskip(SKIP_1) | instid1(VALU_DEP_2)
	v_mul_f32_e32 v2, 0x4f800000, v4
	v_cmp_gt_f32_e32 vcc_lo, 0xf800000, v4
	v_cndmask_b32_e32 v2, v4, v2, vcc_lo
	s_delay_alu instid0(VALU_DEP_1) | instskip(SKIP_3) | instid1(VALU_DEP_2)
	v_sqrt_f32_e32 v3, v2
	s_waitcnt_depctr 0xfff
	v_add_nc_u32_e32 v4, -1, v3
	v_add_nc_u32_e32 v5, 1, v3
	v_fma_f32 v6, -v4, v3, v2
	s_delay_alu instid0(VALU_DEP_2) | instskip(NEXT) | instid1(VALU_DEP_2)
	v_fma_f32 v7, -v5, v3, v2
	v_cmp_ge_f32_e64 s1, 0, v6
	s_delay_alu instid0(VALU_DEP_1) | instskip(NEXT) | instid1(VALU_DEP_3)
	v_cndmask_b32_e64 v3, v3, v4, s1
	v_cmp_lt_f32_e64 s1, 0, v7
	s_delay_alu instid0(VALU_DEP_1) | instskip(NEXT) | instid1(VALU_DEP_1)
	v_cndmask_b32_e64 v3, v3, v5, s1
	v_mul_f32_e32 v4, 0x37800000, v3
	s_delay_alu instid0(VALU_DEP_1) | instskip(SKIP_1) | instid1(VALU_DEP_2)
	v_cndmask_b32_e32 v3, v3, v4, vcc_lo
	v_cmp_class_f32_e64 vcc_lo, v2, 0x260
	v_dual_cndmask_b32 v2, v3, v2 :: v_dual_mov_b32 v3, 0
	ds_store_b64 v3, v[2:3] offset:536
.LBB44_75:
	s_or_b32 exec_lo, exec_lo, s5
	v_mov_b32_e32 v2, 0
	s_waitcnt lgkmcnt(0)
	buffer_gl0_inv
	ds_load_b64 v[2:3], v2 offset:536
	s_waitcnt lgkmcnt(0)
	v_cmp_neq_f32_e32 vcc_lo, 0, v2
	v_cmp_neq_f32_e64 s1, 0, v3
	s_delay_alu instid0(VALU_DEP_1) | instskip(SKIP_2) | instid1(SALU_CYCLE_1)
	s_or_b32 vcc_lo, vcc_lo, s1
	v_dual_cndmask_b32 v3, 0, v3 :: v_dual_cndmask_b32 v2, 1.0, v2
	s_or_b32 s1, vcc_lo, s0
	s_xor_b32 s5, s1, -1
	s_delay_alu instid0(SALU_CYCLE_1)
	s_and_saveexec_b32 s1, s5
	s_cbranch_execz .LBB44_79
; %bb.76:
	v_mbcnt_lo_u32_b32 v2, exec_lo, 0
	s_mov_b32 s5, exec_lo
	s_delay_alu instid0(VALU_DEP_1)
	v_cmpx_eq_u32_e32 0, v2
	s_cbranch_execz .LBB44_78
; %bb.77:
	v_dual_mov_b32 v2, 0 :: v_dual_mov_b32 v3, s2
	global_atomic_min_i32 v2, v3, s[10:11]
.LBB44_78:
	s_or_b32 exec_lo, exec_lo, s5
	v_dual_mov_b32 v2, 1.0 :: v_dual_mov_b32 v3, 0
.LBB44_79:
	s_or_b32 exec_lo, exec_lo, s1
	s_delay_alu instid0(SALU_CYCLE_1)
	s_mov_b32 s1, exec_lo
	v_cmpx_lt_u32_e32 1, v9
	s_cbranch_execz .LBB44_81
; %bb.80:
	v_mul_u32_u24_e32 v16, 48, v9
	ds_load_2addr_b64 v[4:7], v16 offset0:61 offset1:91
	s_waitcnt lgkmcnt(0)
	v_dual_mul_f32 v13, v3, v3 :: v_dual_sub_f32 v4, v4, v6
	v_sub_f32_e32 v5, v5, v7
	s_delay_alu instid0(VALU_DEP_1) | instskip(NEXT) | instid1(VALU_DEP_1)
	v_dual_fmac_f32 v13, v2, v2 :: v_dual_mul_f32 v6, v3, v5
	v_div_scale_f32 v14, null, v13, v13, 1.0
	v_div_scale_f32 v18, vcc_lo, 1.0, v13, 1.0
	v_mul_f32_e64 v3, v3, -v4
	s_delay_alu instid0(VALU_DEP_3) | instskip(SKIP_1) | instid1(VALU_DEP_2)
	v_rcp_f32_e32 v15, v14
	v_fmac_f32_e32 v6, v4, v2
	v_fmac_f32_e32 v3, v5, v2
	s_waitcnt_depctr 0xfff
	v_fma_f32 v17, -v14, v15, 1.0
	s_delay_alu instid0(VALU_DEP_1) | instskip(NEXT) | instid1(VALU_DEP_1)
	v_fmac_f32_e32 v15, v17, v15
	v_mul_f32_e32 v17, v18, v15
	s_delay_alu instid0(VALU_DEP_1) | instskip(NEXT) | instid1(VALU_DEP_1)
	v_fma_f32 v19, -v14, v17, v18
	v_fmac_f32_e32 v17, v19, v15
	s_delay_alu instid0(VALU_DEP_1) | instskip(NEXT) | instid1(VALU_DEP_1)
	v_fma_f32 v7, -v14, v17, v18
	v_div_fmas_f32 v7, v7, v15, v17
	s_delay_alu instid0(VALU_DEP_1) | instskip(NEXT) | instid1(VALU_DEP_1)
	v_div_fixup_f32 v4, v7, v13, 1.0
	v_mul_f32_e32 v2, v4, v6
	v_mul_f32_e32 v3, v4, v3
	v_mul_u32_u24_e32 v4, 48, v8
	ds_store_b64 v16, v[2:3] offset:488
	s_waitcnt lgkmcnt(0)
	s_waitcnt_vscnt null, 0x0
	buffer_gl0_inv
	ds_load_b64 v[4:5], v4 offset:488
	ds_load_b64 v[6:7], v12
	s_waitcnt lgkmcnt(0)
	v_fma_f32 v6, v2, v4, v6
	v_fmac_f32_e32 v7, v3, v4
	s_delay_alu instid0(VALU_DEP_2) | instskip(NEXT) | instid1(VALU_DEP_2)
	v_fmac_f32_e32 v6, v3, v5
	v_fma_f32 v7, v2, -v5, v7
	ds_store_b64 v12, v[6:7]
.LBB44_81:
	s_or_b32 exec_lo, exec_lo, s1
	s_delay_alu instid0(SALU_CYCLE_1)
	s_mov_b32 s5, exec_lo
	s_waitcnt lgkmcnt(0)
	s_waitcnt_vscnt null, 0x0
	buffer_gl0_inv
	v_cmpx_eq_u32_e32 2, v9
	s_cbranch_execz .LBB44_89
; %bb.82:
	v_mov_b32_e32 v4, 0
	ds_load_2addr_b64 v[13:16], v4 offset0:74 offset1:104
	s_waitcnt lgkmcnt(0)
	v_dual_sub_f32 v5, v14, v16 :: v_dual_sub_f32 v2, v13, v15
	s_delay_alu instid0(VALU_DEP_1) | instskip(SKIP_1) | instid1(VALU_DEP_3)
	v_cmp_gt_f32_e32 vcc_lo, 0, v2
	v_cndmask_b32_e64 v2, v2, -v2, vcc_lo
	v_cmp_gt_f32_e32 vcc_lo, 0, v5
	v_cndmask_b32_e64 v3, v5, -v5, vcc_lo
	s_delay_alu instid0(VALU_DEP_1)
	v_cmp_gt_f32_e32 vcc_lo, v2, v3
	s_cbranch_vccnz .LBB44_86
; %bb.83:
	v_cmp_eq_f32_e32 vcc_lo, 0, v5
	s_cbranch_vccnz .LBB44_85
; %bb.84:
	v_div_scale_f32 v4, null, v3, v3, v2
	v_div_scale_f32 v7, vcc_lo, v2, v3, v2
	s_delay_alu instid0(VALU_DEP_2) | instskip(SKIP_2) | instid1(VALU_DEP_1)
	v_rcp_f32_e32 v5, v4
	s_waitcnt_depctr 0xfff
	v_fma_f32 v6, -v4, v5, 1.0
	v_fmac_f32_e32 v5, v6, v5
	s_delay_alu instid0(VALU_DEP_1) | instskip(NEXT) | instid1(VALU_DEP_1)
	v_mul_f32_e32 v6, v7, v5
	v_fma_f32 v13, -v4, v6, v7
	s_delay_alu instid0(VALU_DEP_1) | instskip(NEXT) | instid1(VALU_DEP_1)
	v_fmac_f32_e32 v6, v13, v5
	v_fma_f32 v4, -v4, v6, v7
	s_delay_alu instid0(VALU_DEP_1) | instskip(NEXT) | instid1(VALU_DEP_1)
	v_div_fmas_f32 v4, v4, v5, v6
	v_div_fixup_f32 v4, v4, v3, v2
	s_delay_alu instid0(VALU_DEP_1) | instskip(NEXT) | instid1(VALU_DEP_1)
	v_fma_f32 v4, v4, v4, 1.0
	v_mul_f32_e32 v5, 0x4f800000, v4
	v_cmp_gt_f32_e32 vcc_lo, 0xf800000, v4
	s_delay_alu instid0(VALU_DEP_2) | instskip(NEXT) | instid1(VALU_DEP_1)
	v_cndmask_b32_e32 v4, v4, v5, vcc_lo
	v_sqrt_f32_e32 v5, v4
	s_waitcnt_depctr 0xfff
	v_add_nc_u32_e32 v6, -1, v5
	v_add_nc_u32_e32 v7, 1, v5
	s_delay_alu instid0(VALU_DEP_2) | instskip(NEXT) | instid1(VALU_DEP_2)
	v_fma_f32 v13, -v6, v5, v4
	v_fma_f32 v14, -v7, v5, v4
	s_delay_alu instid0(VALU_DEP_2) | instskip(NEXT) | instid1(VALU_DEP_1)
	v_cmp_ge_f32_e64 s1, 0, v13
	v_cndmask_b32_e64 v5, v5, v6, s1
	s_delay_alu instid0(VALU_DEP_3) | instskip(NEXT) | instid1(VALU_DEP_1)
	v_cmp_lt_f32_e64 s1, 0, v14
	v_cndmask_b32_e64 v5, v5, v7, s1
	s_delay_alu instid0(VALU_DEP_1) | instskip(NEXT) | instid1(VALU_DEP_1)
	v_mul_f32_e32 v6, 0x37800000, v5
	v_cndmask_b32_e32 v5, v5, v6, vcc_lo
	v_cmp_class_f32_e64 vcc_lo, v4, 0x260
	s_delay_alu instid0(VALU_DEP_2) | instskip(NEXT) | instid1(VALU_DEP_1)
	v_cndmask_b32_e32 v4, v5, v4, vcc_lo
	v_mul_f32_e32 v4, v3, v4
.LBB44_85:
	s_cbranch_execz .LBB44_87
	s_branch .LBB44_88
.LBB44_86:
                                        ; implicit-def: $vgpr4
.LBB44_87:
	v_div_scale_f32 v4, null, v2, v2, v3
	v_div_scale_f32 v7, vcc_lo, v3, v2, v3
	s_delay_alu instid0(VALU_DEP_2) | instskip(SKIP_2) | instid1(VALU_DEP_1)
	v_rcp_f32_e32 v5, v4
	s_waitcnt_depctr 0xfff
	v_fma_f32 v6, -v4, v5, 1.0
	v_fmac_f32_e32 v5, v6, v5
	s_delay_alu instid0(VALU_DEP_1) | instskip(NEXT) | instid1(VALU_DEP_1)
	v_mul_f32_e32 v6, v7, v5
	v_fma_f32 v13, -v4, v6, v7
	s_delay_alu instid0(VALU_DEP_1) | instskip(NEXT) | instid1(VALU_DEP_1)
	v_fmac_f32_e32 v6, v13, v5
	v_fma_f32 v4, -v4, v6, v7
	s_delay_alu instid0(VALU_DEP_1) | instskip(NEXT) | instid1(VALU_DEP_1)
	v_div_fmas_f32 v4, v4, v5, v6
	v_div_fixup_f32 v3, v4, v2, v3
	s_delay_alu instid0(VALU_DEP_1) | instskip(NEXT) | instid1(VALU_DEP_1)
	v_fma_f32 v3, v3, v3, 1.0
	v_mul_f32_e32 v4, 0x4f800000, v3
	v_cmp_gt_f32_e32 vcc_lo, 0xf800000, v3
	s_delay_alu instid0(VALU_DEP_2) | instskip(NEXT) | instid1(VALU_DEP_1)
	v_cndmask_b32_e32 v3, v3, v4, vcc_lo
	v_sqrt_f32_e32 v4, v3
	s_waitcnt_depctr 0xfff
	v_add_nc_u32_e32 v5, -1, v4
	v_add_nc_u32_e32 v6, 1, v4
	s_delay_alu instid0(VALU_DEP_2) | instskip(NEXT) | instid1(VALU_DEP_2)
	v_fma_f32 v7, -v5, v4, v3
	v_fma_f32 v13, -v6, v4, v3
	s_delay_alu instid0(VALU_DEP_2) | instskip(NEXT) | instid1(VALU_DEP_1)
	v_cmp_ge_f32_e64 s1, 0, v7
	v_cndmask_b32_e64 v4, v4, v5, s1
	s_delay_alu instid0(VALU_DEP_3) | instskip(NEXT) | instid1(VALU_DEP_1)
	v_cmp_lt_f32_e64 s1, 0, v13
	v_cndmask_b32_e64 v4, v4, v6, s1
	s_delay_alu instid0(VALU_DEP_1) | instskip(NEXT) | instid1(VALU_DEP_1)
	v_mul_f32_e32 v5, 0x37800000, v4
	v_cndmask_b32_e32 v4, v4, v5, vcc_lo
	v_cmp_class_f32_e64 vcc_lo, v3, 0x260
	s_delay_alu instid0(VALU_DEP_2) | instskip(NEXT) | instid1(VALU_DEP_1)
	v_cndmask_b32_e32 v3, v4, v3, vcc_lo
	v_mul_f32_e32 v4, v2, v3
.LBB44_88:
	s_delay_alu instid0(VALU_DEP_1) | instskip(SKIP_1) | instid1(VALU_DEP_2)
	v_mul_f32_e32 v2, 0x4f800000, v4
	v_cmp_gt_f32_e32 vcc_lo, 0xf800000, v4
	v_cndmask_b32_e32 v2, v4, v2, vcc_lo
	s_delay_alu instid0(VALU_DEP_1) | instskip(SKIP_3) | instid1(VALU_DEP_2)
	v_sqrt_f32_e32 v3, v2
	s_waitcnt_depctr 0xfff
	v_add_nc_u32_e32 v4, -1, v3
	v_add_nc_u32_e32 v5, 1, v3
	v_fma_f32 v6, -v4, v3, v2
	s_delay_alu instid0(VALU_DEP_2) | instskip(NEXT) | instid1(VALU_DEP_2)
	v_fma_f32 v7, -v5, v3, v2
	v_cmp_ge_f32_e64 s1, 0, v6
	s_delay_alu instid0(VALU_DEP_1) | instskip(NEXT) | instid1(VALU_DEP_3)
	v_cndmask_b32_e64 v3, v3, v4, s1
	v_cmp_lt_f32_e64 s1, 0, v7
	s_delay_alu instid0(VALU_DEP_1) | instskip(NEXT) | instid1(VALU_DEP_1)
	v_cndmask_b32_e64 v3, v3, v5, s1
	v_mul_f32_e32 v4, 0x37800000, v3
	s_delay_alu instid0(VALU_DEP_1) | instskip(SKIP_1) | instid1(VALU_DEP_2)
	v_cndmask_b32_e32 v3, v3, v4, vcc_lo
	v_cmp_class_f32_e64 vcc_lo, v2, 0x260
	v_dual_cndmask_b32 v2, v3, v2 :: v_dual_mov_b32 v3, 0
	ds_store_b64 v3, v[2:3] offset:592
.LBB44_89:
	s_or_b32 exec_lo, exec_lo, s5
	v_mov_b32_e32 v2, 0
	s_waitcnt lgkmcnt(0)
	buffer_gl0_inv
	ds_load_b64 v[2:3], v2 offset:592
	s_waitcnt lgkmcnt(0)
	v_cmp_neq_f32_e32 vcc_lo, 0, v2
	v_cmp_neq_f32_e64 s1, 0, v3
	s_delay_alu instid0(VALU_DEP_1) | instskip(SKIP_2) | instid1(SALU_CYCLE_1)
	s_or_b32 vcc_lo, vcc_lo, s1
	v_dual_cndmask_b32 v3, 0, v3 :: v_dual_cndmask_b32 v2, 1.0, v2
	s_or_b32 s1, vcc_lo, s0
	s_xor_b32 s5, s1, -1
	s_delay_alu instid0(SALU_CYCLE_1)
	s_and_saveexec_b32 s1, s5
	s_cbranch_execz .LBB44_93
; %bb.90:
	v_mbcnt_lo_u32_b32 v2, exec_lo, 0
	s_mov_b32 s5, exec_lo
	s_delay_alu instid0(VALU_DEP_1)
	v_cmpx_eq_u32_e32 0, v2
	s_cbranch_execz .LBB44_92
; %bb.91:
	v_dual_mov_b32 v2, 0 :: v_dual_mov_b32 v3, s2
	global_atomic_min_i32 v2, v3, s[10:11]
.LBB44_92:
	s_or_b32 exec_lo, exec_lo, s5
	v_dual_mov_b32 v2, 1.0 :: v_dual_mov_b32 v3, 0
.LBB44_93:
	s_or_b32 exec_lo, exec_lo, s1
	s_delay_alu instid0(SALU_CYCLE_1)
	s_mov_b32 s1, exec_lo
	v_cmpx_lt_u32_e32 2, v9
	s_cbranch_execz .LBB44_95
; %bb.94:
	v_mul_u32_u24_e32 v16, 48, v9
	ds_load_2addr_b64 v[4:7], v16 offset0:62 offset1:92
	s_waitcnt lgkmcnt(0)
	v_dual_mul_f32 v13, v3, v3 :: v_dual_sub_f32 v4, v4, v6
	v_sub_f32_e32 v5, v5, v7
	s_delay_alu instid0(VALU_DEP_1) | instskip(NEXT) | instid1(VALU_DEP_1)
	v_dual_fmac_f32 v13, v2, v2 :: v_dual_mul_f32 v6, v3, v5
	v_div_scale_f32 v14, null, v13, v13, 1.0
	v_div_scale_f32 v18, vcc_lo, 1.0, v13, 1.0
	v_mul_f32_e64 v3, v3, -v4
	s_delay_alu instid0(VALU_DEP_3) | instskip(SKIP_1) | instid1(VALU_DEP_2)
	v_rcp_f32_e32 v15, v14
	v_fmac_f32_e32 v6, v4, v2
	v_fmac_f32_e32 v3, v5, v2
	s_waitcnt_depctr 0xfff
	v_fma_f32 v17, -v14, v15, 1.0
	s_delay_alu instid0(VALU_DEP_1) | instskip(NEXT) | instid1(VALU_DEP_1)
	v_fmac_f32_e32 v15, v17, v15
	v_mul_f32_e32 v17, v18, v15
	s_delay_alu instid0(VALU_DEP_1) | instskip(NEXT) | instid1(VALU_DEP_1)
	v_fma_f32 v19, -v14, v17, v18
	v_fmac_f32_e32 v17, v19, v15
	s_delay_alu instid0(VALU_DEP_1) | instskip(NEXT) | instid1(VALU_DEP_1)
	v_fma_f32 v7, -v14, v17, v18
	v_div_fmas_f32 v7, v7, v15, v17
	s_delay_alu instid0(VALU_DEP_1) | instskip(NEXT) | instid1(VALU_DEP_1)
	v_div_fixup_f32 v4, v7, v13, 1.0
	v_mul_f32_e32 v2, v4, v6
	v_mul_f32_e32 v3, v4, v3
	v_mul_u32_u24_e32 v4, 48, v8
	ds_store_b64 v16, v[2:3] offset:496
	s_waitcnt lgkmcnt(0)
	s_waitcnt_vscnt null, 0x0
	buffer_gl0_inv
	ds_load_b64 v[4:5], v4 offset:496
	ds_load_b64 v[6:7], v12
	s_waitcnt lgkmcnt(0)
	v_fma_f32 v6, v2, v4, v6
	v_fmac_f32_e32 v7, v3, v4
	s_delay_alu instid0(VALU_DEP_2) | instskip(NEXT) | instid1(VALU_DEP_2)
	v_fmac_f32_e32 v6, v3, v5
	v_fma_f32 v7, v2, -v5, v7
	ds_store_b64 v12, v[6:7]
.LBB44_95:
	s_or_b32 exec_lo, exec_lo, s1
	s_delay_alu instid0(SALU_CYCLE_1)
	s_mov_b32 s5, exec_lo
	s_waitcnt lgkmcnt(0)
	s_waitcnt_vscnt null, 0x0
	buffer_gl0_inv
	v_cmpx_eq_u32_e32 3, v9
	s_cbranch_execz .LBB44_103
; %bb.96:
	v_mov_b32_e32 v4, 0
	ds_load_2addr_b64 v[13:16], v4 offset0:81 offset1:111
	s_waitcnt lgkmcnt(0)
	v_dual_sub_f32 v5, v14, v16 :: v_dual_sub_f32 v2, v13, v15
	s_delay_alu instid0(VALU_DEP_1) | instskip(SKIP_1) | instid1(VALU_DEP_3)
	v_cmp_gt_f32_e32 vcc_lo, 0, v2
	v_cndmask_b32_e64 v2, v2, -v2, vcc_lo
	v_cmp_gt_f32_e32 vcc_lo, 0, v5
	v_cndmask_b32_e64 v3, v5, -v5, vcc_lo
	s_delay_alu instid0(VALU_DEP_1)
	v_cmp_gt_f32_e32 vcc_lo, v2, v3
	s_cbranch_vccnz .LBB44_100
; %bb.97:
	v_cmp_eq_f32_e32 vcc_lo, 0, v5
	s_cbranch_vccnz .LBB44_99
; %bb.98:
	v_div_scale_f32 v4, null, v3, v3, v2
	v_div_scale_f32 v7, vcc_lo, v2, v3, v2
	s_delay_alu instid0(VALU_DEP_2) | instskip(SKIP_2) | instid1(VALU_DEP_1)
	v_rcp_f32_e32 v5, v4
	s_waitcnt_depctr 0xfff
	v_fma_f32 v6, -v4, v5, 1.0
	v_fmac_f32_e32 v5, v6, v5
	s_delay_alu instid0(VALU_DEP_1) | instskip(NEXT) | instid1(VALU_DEP_1)
	v_mul_f32_e32 v6, v7, v5
	v_fma_f32 v13, -v4, v6, v7
	s_delay_alu instid0(VALU_DEP_1) | instskip(NEXT) | instid1(VALU_DEP_1)
	v_fmac_f32_e32 v6, v13, v5
	v_fma_f32 v4, -v4, v6, v7
	s_delay_alu instid0(VALU_DEP_1) | instskip(NEXT) | instid1(VALU_DEP_1)
	v_div_fmas_f32 v4, v4, v5, v6
	v_div_fixup_f32 v4, v4, v3, v2
	s_delay_alu instid0(VALU_DEP_1) | instskip(NEXT) | instid1(VALU_DEP_1)
	v_fma_f32 v4, v4, v4, 1.0
	v_mul_f32_e32 v5, 0x4f800000, v4
	v_cmp_gt_f32_e32 vcc_lo, 0xf800000, v4
	s_delay_alu instid0(VALU_DEP_2) | instskip(NEXT) | instid1(VALU_DEP_1)
	v_cndmask_b32_e32 v4, v4, v5, vcc_lo
	v_sqrt_f32_e32 v5, v4
	s_waitcnt_depctr 0xfff
	v_add_nc_u32_e32 v6, -1, v5
	v_add_nc_u32_e32 v7, 1, v5
	s_delay_alu instid0(VALU_DEP_2) | instskip(NEXT) | instid1(VALU_DEP_2)
	v_fma_f32 v13, -v6, v5, v4
	v_fma_f32 v14, -v7, v5, v4
	s_delay_alu instid0(VALU_DEP_2) | instskip(NEXT) | instid1(VALU_DEP_1)
	v_cmp_ge_f32_e64 s1, 0, v13
	v_cndmask_b32_e64 v5, v5, v6, s1
	s_delay_alu instid0(VALU_DEP_3) | instskip(NEXT) | instid1(VALU_DEP_1)
	v_cmp_lt_f32_e64 s1, 0, v14
	v_cndmask_b32_e64 v5, v5, v7, s1
	s_delay_alu instid0(VALU_DEP_1) | instskip(NEXT) | instid1(VALU_DEP_1)
	v_mul_f32_e32 v6, 0x37800000, v5
	v_cndmask_b32_e32 v5, v5, v6, vcc_lo
	v_cmp_class_f32_e64 vcc_lo, v4, 0x260
	s_delay_alu instid0(VALU_DEP_2) | instskip(NEXT) | instid1(VALU_DEP_1)
	v_cndmask_b32_e32 v4, v5, v4, vcc_lo
	v_mul_f32_e32 v4, v3, v4
.LBB44_99:
	s_cbranch_execz .LBB44_101
	s_branch .LBB44_102
.LBB44_100:
                                        ; implicit-def: $vgpr4
.LBB44_101:
	v_div_scale_f32 v4, null, v2, v2, v3
	v_div_scale_f32 v7, vcc_lo, v3, v2, v3
	s_delay_alu instid0(VALU_DEP_2) | instskip(SKIP_2) | instid1(VALU_DEP_1)
	v_rcp_f32_e32 v5, v4
	s_waitcnt_depctr 0xfff
	v_fma_f32 v6, -v4, v5, 1.0
	v_fmac_f32_e32 v5, v6, v5
	s_delay_alu instid0(VALU_DEP_1) | instskip(NEXT) | instid1(VALU_DEP_1)
	v_mul_f32_e32 v6, v7, v5
	v_fma_f32 v13, -v4, v6, v7
	s_delay_alu instid0(VALU_DEP_1) | instskip(NEXT) | instid1(VALU_DEP_1)
	v_fmac_f32_e32 v6, v13, v5
	v_fma_f32 v4, -v4, v6, v7
	s_delay_alu instid0(VALU_DEP_1) | instskip(NEXT) | instid1(VALU_DEP_1)
	v_div_fmas_f32 v4, v4, v5, v6
	v_div_fixup_f32 v3, v4, v2, v3
	s_delay_alu instid0(VALU_DEP_1) | instskip(NEXT) | instid1(VALU_DEP_1)
	v_fma_f32 v3, v3, v3, 1.0
	v_mul_f32_e32 v4, 0x4f800000, v3
	v_cmp_gt_f32_e32 vcc_lo, 0xf800000, v3
	s_delay_alu instid0(VALU_DEP_2) | instskip(NEXT) | instid1(VALU_DEP_1)
	v_cndmask_b32_e32 v3, v3, v4, vcc_lo
	v_sqrt_f32_e32 v4, v3
	s_waitcnt_depctr 0xfff
	v_add_nc_u32_e32 v5, -1, v4
	v_add_nc_u32_e32 v6, 1, v4
	s_delay_alu instid0(VALU_DEP_2) | instskip(NEXT) | instid1(VALU_DEP_2)
	v_fma_f32 v7, -v5, v4, v3
	v_fma_f32 v13, -v6, v4, v3
	s_delay_alu instid0(VALU_DEP_2) | instskip(NEXT) | instid1(VALU_DEP_1)
	v_cmp_ge_f32_e64 s1, 0, v7
	v_cndmask_b32_e64 v4, v4, v5, s1
	s_delay_alu instid0(VALU_DEP_3) | instskip(NEXT) | instid1(VALU_DEP_1)
	v_cmp_lt_f32_e64 s1, 0, v13
	v_cndmask_b32_e64 v4, v4, v6, s1
	s_delay_alu instid0(VALU_DEP_1) | instskip(NEXT) | instid1(VALU_DEP_1)
	v_mul_f32_e32 v5, 0x37800000, v4
	v_cndmask_b32_e32 v4, v4, v5, vcc_lo
	v_cmp_class_f32_e64 vcc_lo, v3, 0x260
	s_delay_alu instid0(VALU_DEP_2) | instskip(NEXT) | instid1(VALU_DEP_1)
	v_cndmask_b32_e32 v3, v4, v3, vcc_lo
	v_mul_f32_e32 v4, v2, v3
.LBB44_102:
	s_delay_alu instid0(VALU_DEP_1) | instskip(SKIP_1) | instid1(VALU_DEP_2)
	v_mul_f32_e32 v2, 0x4f800000, v4
	v_cmp_gt_f32_e32 vcc_lo, 0xf800000, v4
	v_cndmask_b32_e32 v2, v4, v2, vcc_lo
	s_delay_alu instid0(VALU_DEP_1) | instskip(SKIP_3) | instid1(VALU_DEP_2)
	v_sqrt_f32_e32 v3, v2
	s_waitcnt_depctr 0xfff
	v_add_nc_u32_e32 v4, -1, v3
	v_add_nc_u32_e32 v5, 1, v3
	v_fma_f32 v6, -v4, v3, v2
	s_delay_alu instid0(VALU_DEP_2) | instskip(NEXT) | instid1(VALU_DEP_2)
	v_fma_f32 v7, -v5, v3, v2
	v_cmp_ge_f32_e64 s1, 0, v6
	s_delay_alu instid0(VALU_DEP_1) | instskip(NEXT) | instid1(VALU_DEP_3)
	v_cndmask_b32_e64 v3, v3, v4, s1
	v_cmp_lt_f32_e64 s1, 0, v7
	s_delay_alu instid0(VALU_DEP_1) | instskip(NEXT) | instid1(VALU_DEP_1)
	v_cndmask_b32_e64 v3, v3, v5, s1
	v_mul_f32_e32 v4, 0x37800000, v3
	s_delay_alu instid0(VALU_DEP_1) | instskip(SKIP_1) | instid1(VALU_DEP_2)
	v_cndmask_b32_e32 v3, v3, v4, vcc_lo
	v_cmp_class_f32_e64 vcc_lo, v2, 0x260
	v_dual_cndmask_b32 v2, v3, v2 :: v_dual_mov_b32 v3, 0
	ds_store_b64 v3, v[2:3] offset:648
.LBB44_103:
	s_or_b32 exec_lo, exec_lo, s5
	v_mov_b32_e32 v2, 0
	s_waitcnt lgkmcnt(0)
	buffer_gl0_inv
	ds_load_b64 v[2:3], v2 offset:648
	s_waitcnt lgkmcnt(0)
	v_cmp_neq_f32_e32 vcc_lo, 0, v2
	v_cmp_neq_f32_e64 s1, 0, v3
	s_delay_alu instid0(VALU_DEP_1) | instskip(SKIP_2) | instid1(SALU_CYCLE_1)
	s_or_b32 vcc_lo, vcc_lo, s1
	v_dual_cndmask_b32 v3, 0, v3 :: v_dual_cndmask_b32 v2, 1.0, v2
	s_or_b32 s1, vcc_lo, s0
	s_xor_b32 s5, s1, -1
	s_delay_alu instid0(SALU_CYCLE_1)
	s_and_saveexec_b32 s1, s5
	s_cbranch_execz .LBB44_107
; %bb.104:
	v_mbcnt_lo_u32_b32 v2, exec_lo, 0
	s_mov_b32 s5, exec_lo
	s_delay_alu instid0(VALU_DEP_1)
	v_cmpx_eq_u32_e32 0, v2
	s_cbranch_execz .LBB44_106
; %bb.105:
	v_dual_mov_b32 v2, 0 :: v_dual_mov_b32 v3, s2
	global_atomic_min_i32 v2, v3, s[10:11]
.LBB44_106:
	s_or_b32 exec_lo, exec_lo, s5
	v_dual_mov_b32 v2, 1.0 :: v_dual_mov_b32 v3, 0
.LBB44_107:
	s_or_b32 exec_lo, exec_lo, s1
	s_delay_alu instid0(SALU_CYCLE_1)
	s_mov_b32 s1, exec_lo
	v_cmpx_lt_u32_e32 3, v9
	s_cbranch_execz .LBB44_109
; %bb.108:
	v_mul_u32_u24_e32 v16, 48, v9
	ds_load_2addr_b64 v[4:7], v16 offset0:63 offset1:93
	s_waitcnt lgkmcnt(0)
	v_dual_mul_f32 v13, v3, v3 :: v_dual_sub_f32 v4, v4, v6
	v_sub_f32_e32 v5, v5, v7
	s_delay_alu instid0(VALU_DEP_1) | instskip(NEXT) | instid1(VALU_DEP_1)
	v_dual_fmac_f32 v13, v2, v2 :: v_dual_mul_f32 v6, v3, v5
	v_div_scale_f32 v14, null, v13, v13, 1.0
	v_div_scale_f32 v18, vcc_lo, 1.0, v13, 1.0
	v_mul_f32_e64 v3, v3, -v4
	s_delay_alu instid0(VALU_DEP_3) | instskip(SKIP_1) | instid1(VALU_DEP_2)
	v_rcp_f32_e32 v15, v14
	v_fmac_f32_e32 v6, v4, v2
	v_fmac_f32_e32 v3, v5, v2
	s_waitcnt_depctr 0xfff
	v_fma_f32 v17, -v14, v15, 1.0
	s_delay_alu instid0(VALU_DEP_1) | instskip(NEXT) | instid1(VALU_DEP_1)
	v_fmac_f32_e32 v15, v17, v15
	v_mul_f32_e32 v17, v18, v15
	s_delay_alu instid0(VALU_DEP_1) | instskip(NEXT) | instid1(VALU_DEP_1)
	v_fma_f32 v19, -v14, v17, v18
	v_fmac_f32_e32 v17, v19, v15
	s_delay_alu instid0(VALU_DEP_1) | instskip(NEXT) | instid1(VALU_DEP_1)
	v_fma_f32 v7, -v14, v17, v18
	v_div_fmas_f32 v7, v7, v15, v17
	s_delay_alu instid0(VALU_DEP_1) | instskip(NEXT) | instid1(VALU_DEP_1)
	v_div_fixup_f32 v4, v7, v13, 1.0
	v_mul_f32_e32 v2, v4, v6
	v_mul_f32_e32 v3, v4, v3
	v_mul_u32_u24_e32 v4, 48, v8
	ds_store_b64 v16, v[2:3] offset:504
	s_waitcnt lgkmcnt(0)
	s_waitcnt_vscnt null, 0x0
	buffer_gl0_inv
	ds_load_b64 v[4:5], v4 offset:504
	ds_load_b64 v[6:7], v12
	s_waitcnt lgkmcnt(0)
	v_fma_f32 v6, v2, v4, v6
	v_fmac_f32_e32 v7, v3, v4
	s_delay_alu instid0(VALU_DEP_2) | instskip(NEXT) | instid1(VALU_DEP_2)
	v_fmac_f32_e32 v6, v3, v5
	v_fma_f32 v7, v2, -v5, v7
	ds_store_b64 v12, v[6:7]
.LBB44_109:
	s_or_b32 exec_lo, exec_lo, s1
	s_delay_alu instid0(SALU_CYCLE_1)
	s_mov_b32 s5, exec_lo
	s_waitcnt lgkmcnt(0)
	s_waitcnt_vscnt null, 0x0
	buffer_gl0_inv
	v_cmpx_eq_u32_e32 4, v9
	s_cbranch_execz .LBB44_117
; %bb.110:
	v_mov_b32_e32 v4, 0
	ds_load_2addr_b64 v[13:16], v4 offset0:88 offset1:118
	s_waitcnt lgkmcnt(0)
	v_dual_sub_f32 v5, v14, v16 :: v_dual_sub_f32 v2, v13, v15
	s_delay_alu instid0(VALU_DEP_1) | instskip(SKIP_1) | instid1(VALU_DEP_3)
	v_cmp_gt_f32_e32 vcc_lo, 0, v2
	v_cndmask_b32_e64 v2, v2, -v2, vcc_lo
	v_cmp_gt_f32_e32 vcc_lo, 0, v5
	v_cndmask_b32_e64 v3, v5, -v5, vcc_lo
	s_delay_alu instid0(VALU_DEP_1)
	v_cmp_gt_f32_e32 vcc_lo, v2, v3
	s_cbranch_vccnz .LBB44_114
; %bb.111:
	v_cmp_eq_f32_e32 vcc_lo, 0, v5
	s_cbranch_vccnz .LBB44_113
; %bb.112:
	v_div_scale_f32 v4, null, v3, v3, v2
	v_div_scale_f32 v7, vcc_lo, v2, v3, v2
	s_delay_alu instid0(VALU_DEP_2) | instskip(SKIP_2) | instid1(VALU_DEP_1)
	v_rcp_f32_e32 v5, v4
	s_waitcnt_depctr 0xfff
	v_fma_f32 v6, -v4, v5, 1.0
	v_fmac_f32_e32 v5, v6, v5
	s_delay_alu instid0(VALU_DEP_1) | instskip(NEXT) | instid1(VALU_DEP_1)
	v_mul_f32_e32 v6, v7, v5
	v_fma_f32 v13, -v4, v6, v7
	s_delay_alu instid0(VALU_DEP_1) | instskip(NEXT) | instid1(VALU_DEP_1)
	v_fmac_f32_e32 v6, v13, v5
	v_fma_f32 v4, -v4, v6, v7
	s_delay_alu instid0(VALU_DEP_1) | instskip(NEXT) | instid1(VALU_DEP_1)
	v_div_fmas_f32 v4, v4, v5, v6
	v_div_fixup_f32 v4, v4, v3, v2
	s_delay_alu instid0(VALU_DEP_1) | instskip(NEXT) | instid1(VALU_DEP_1)
	v_fma_f32 v4, v4, v4, 1.0
	v_mul_f32_e32 v5, 0x4f800000, v4
	v_cmp_gt_f32_e32 vcc_lo, 0xf800000, v4
	s_delay_alu instid0(VALU_DEP_2) | instskip(NEXT) | instid1(VALU_DEP_1)
	v_cndmask_b32_e32 v4, v4, v5, vcc_lo
	v_sqrt_f32_e32 v5, v4
	s_waitcnt_depctr 0xfff
	v_add_nc_u32_e32 v6, -1, v5
	v_add_nc_u32_e32 v7, 1, v5
	s_delay_alu instid0(VALU_DEP_2) | instskip(NEXT) | instid1(VALU_DEP_2)
	v_fma_f32 v13, -v6, v5, v4
	v_fma_f32 v14, -v7, v5, v4
	s_delay_alu instid0(VALU_DEP_2) | instskip(NEXT) | instid1(VALU_DEP_1)
	v_cmp_ge_f32_e64 s1, 0, v13
	v_cndmask_b32_e64 v5, v5, v6, s1
	s_delay_alu instid0(VALU_DEP_3) | instskip(NEXT) | instid1(VALU_DEP_1)
	v_cmp_lt_f32_e64 s1, 0, v14
	v_cndmask_b32_e64 v5, v5, v7, s1
	s_delay_alu instid0(VALU_DEP_1) | instskip(NEXT) | instid1(VALU_DEP_1)
	v_mul_f32_e32 v6, 0x37800000, v5
	v_cndmask_b32_e32 v5, v5, v6, vcc_lo
	v_cmp_class_f32_e64 vcc_lo, v4, 0x260
	s_delay_alu instid0(VALU_DEP_2) | instskip(NEXT) | instid1(VALU_DEP_1)
	v_cndmask_b32_e32 v4, v5, v4, vcc_lo
	v_mul_f32_e32 v4, v3, v4
.LBB44_113:
	s_cbranch_execz .LBB44_115
	s_branch .LBB44_116
.LBB44_114:
                                        ; implicit-def: $vgpr4
.LBB44_115:
	v_div_scale_f32 v4, null, v2, v2, v3
	v_div_scale_f32 v7, vcc_lo, v3, v2, v3
	s_delay_alu instid0(VALU_DEP_2) | instskip(SKIP_2) | instid1(VALU_DEP_1)
	v_rcp_f32_e32 v5, v4
	s_waitcnt_depctr 0xfff
	v_fma_f32 v6, -v4, v5, 1.0
	v_fmac_f32_e32 v5, v6, v5
	s_delay_alu instid0(VALU_DEP_1) | instskip(NEXT) | instid1(VALU_DEP_1)
	v_mul_f32_e32 v6, v7, v5
	v_fma_f32 v13, -v4, v6, v7
	s_delay_alu instid0(VALU_DEP_1) | instskip(NEXT) | instid1(VALU_DEP_1)
	v_fmac_f32_e32 v6, v13, v5
	v_fma_f32 v4, -v4, v6, v7
	s_delay_alu instid0(VALU_DEP_1) | instskip(NEXT) | instid1(VALU_DEP_1)
	v_div_fmas_f32 v4, v4, v5, v6
	v_div_fixup_f32 v3, v4, v2, v3
	s_delay_alu instid0(VALU_DEP_1) | instskip(NEXT) | instid1(VALU_DEP_1)
	v_fma_f32 v3, v3, v3, 1.0
	v_mul_f32_e32 v4, 0x4f800000, v3
	v_cmp_gt_f32_e32 vcc_lo, 0xf800000, v3
	s_delay_alu instid0(VALU_DEP_2) | instskip(NEXT) | instid1(VALU_DEP_1)
	v_cndmask_b32_e32 v3, v3, v4, vcc_lo
	v_sqrt_f32_e32 v4, v3
	s_waitcnt_depctr 0xfff
	v_add_nc_u32_e32 v5, -1, v4
	v_add_nc_u32_e32 v6, 1, v4
	s_delay_alu instid0(VALU_DEP_2) | instskip(NEXT) | instid1(VALU_DEP_2)
	v_fma_f32 v7, -v5, v4, v3
	v_fma_f32 v13, -v6, v4, v3
	s_delay_alu instid0(VALU_DEP_2) | instskip(NEXT) | instid1(VALU_DEP_1)
	v_cmp_ge_f32_e64 s1, 0, v7
	v_cndmask_b32_e64 v4, v4, v5, s1
	s_delay_alu instid0(VALU_DEP_3) | instskip(NEXT) | instid1(VALU_DEP_1)
	v_cmp_lt_f32_e64 s1, 0, v13
	v_cndmask_b32_e64 v4, v4, v6, s1
	s_delay_alu instid0(VALU_DEP_1) | instskip(NEXT) | instid1(VALU_DEP_1)
	v_mul_f32_e32 v5, 0x37800000, v4
	v_cndmask_b32_e32 v4, v4, v5, vcc_lo
	v_cmp_class_f32_e64 vcc_lo, v3, 0x260
	s_delay_alu instid0(VALU_DEP_2) | instskip(NEXT) | instid1(VALU_DEP_1)
	v_cndmask_b32_e32 v3, v4, v3, vcc_lo
	v_mul_f32_e32 v4, v2, v3
.LBB44_116:
	s_delay_alu instid0(VALU_DEP_1) | instskip(SKIP_1) | instid1(VALU_DEP_2)
	v_mul_f32_e32 v2, 0x4f800000, v4
	v_cmp_gt_f32_e32 vcc_lo, 0xf800000, v4
	v_cndmask_b32_e32 v2, v4, v2, vcc_lo
	s_delay_alu instid0(VALU_DEP_1) | instskip(SKIP_3) | instid1(VALU_DEP_2)
	v_sqrt_f32_e32 v3, v2
	s_waitcnt_depctr 0xfff
	v_add_nc_u32_e32 v4, -1, v3
	v_add_nc_u32_e32 v5, 1, v3
	v_fma_f32 v6, -v4, v3, v2
	s_delay_alu instid0(VALU_DEP_2) | instskip(NEXT) | instid1(VALU_DEP_2)
	v_fma_f32 v7, -v5, v3, v2
	v_cmp_ge_f32_e64 s1, 0, v6
	s_delay_alu instid0(VALU_DEP_1) | instskip(NEXT) | instid1(VALU_DEP_3)
	v_cndmask_b32_e64 v3, v3, v4, s1
	v_cmp_lt_f32_e64 s1, 0, v7
	s_delay_alu instid0(VALU_DEP_1) | instskip(NEXT) | instid1(VALU_DEP_1)
	v_cndmask_b32_e64 v3, v3, v5, s1
	v_mul_f32_e32 v4, 0x37800000, v3
	s_delay_alu instid0(VALU_DEP_1) | instskip(SKIP_1) | instid1(VALU_DEP_2)
	v_cndmask_b32_e32 v3, v3, v4, vcc_lo
	v_cmp_class_f32_e64 vcc_lo, v2, 0x260
	v_dual_cndmask_b32 v2, v3, v2 :: v_dual_mov_b32 v3, 0
	ds_store_b64 v3, v[2:3] offset:704
.LBB44_117:
	s_or_b32 exec_lo, exec_lo, s5
	v_mov_b32_e32 v2, 0
	s_waitcnt lgkmcnt(0)
	buffer_gl0_inv
	ds_load_b64 v[2:3], v2 offset:704
	s_waitcnt lgkmcnt(0)
	v_cmp_neq_f32_e32 vcc_lo, 0, v2
	v_cmp_neq_f32_e64 s1, 0, v3
	s_delay_alu instid0(VALU_DEP_1) | instskip(SKIP_2) | instid1(SALU_CYCLE_1)
	s_or_b32 vcc_lo, vcc_lo, s1
	v_dual_cndmask_b32 v3, 0, v3 :: v_dual_cndmask_b32 v2, 1.0, v2
	s_or_b32 s0, vcc_lo, s0
	s_xor_b32 s1, s0, -1
	s_delay_alu instid0(SALU_CYCLE_1)
	s_and_saveexec_b32 s0, s1
	s_cbranch_execz .LBB44_121
; %bb.118:
	v_mbcnt_lo_u32_b32 v2, exec_lo, 0
	s_mov_b32 s1, exec_lo
	s_delay_alu instid0(VALU_DEP_1)
	v_cmpx_eq_u32_e32 0, v2
	s_cbranch_execz .LBB44_120
; %bb.119:
	v_dual_mov_b32 v2, 0 :: v_dual_mov_b32 v3, s2
	global_atomic_min_i32 v2, v3, s[10:11]
.LBB44_120:
	s_or_b32 exec_lo, exec_lo, s1
	v_dual_mov_b32 v2, 1.0 :: v_dual_mov_b32 v3, 0
.LBB44_121:
	s_or_b32 exec_lo, exec_lo, s0
	s_delay_alu instid0(SALU_CYCLE_1)
	s_mov_b32 s0, exec_lo
	v_cmpx_lt_u32_e32 4, v9
	s_cbranch_execz .LBB44_123
; %bb.122:
	v_mul_u32_u24_e32 v16, 48, v9
	ds_load_2addr_b64 v[4:7], v16 offset0:64 offset1:94
	s_waitcnt lgkmcnt(0)
	v_dual_mul_f32 v13, v3, v3 :: v_dual_sub_f32 v4, v4, v6
	v_sub_f32_e32 v5, v5, v7
	s_delay_alu instid0(VALU_DEP_1) | instskip(NEXT) | instid1(VALU_DEP_1)
	v_dual_fmac_f32 v13, v2, v2 :: v_dual_mul_f32 v6, v3, v5
	v_div_scale_f32 v14, null, v13, v13, 1.0
	v_div_scale_f32 v18, vcc_lo, 1.0, v13, 1.0
	v_mul_f32_e64 v3, v3, -v4
	s_delay_alu instid0(VALU_DEP_3) | instskip(SKIP_1) | instid1(VALU_DEP_2)
	v_rcp_f32_e32 v15, v14
	v_fmac_f32_e32 v6, v4, v2
	v_fmac_f32_e32 v3, v5, v2
	s_waitcnt_depctr 0xfff
	v_fma_f32 v17, -v14, v15, 1.0
	s_delay_alu instid0(VALU_DEP_1) | instskip(NEXT) | instid1(VALU_DEP_1)
	v_fmac_f32_e32 v15, v17, v15
	v_mul_f32_e32 v17, v18, v15
	s_delay_alu instid0(VALU_DEP_1) | instskip(NEXT) | instid1(VALU_DEP_1)
	v_fma_f32 v19, -v14, v17, v18
	v_fmac_f32_e32 v17, v19, v15
	s_delay_alu instid0(VALU_DEP_1) | instskip(NEXT) | instid1(VALU_DEP_1)
	v_fma_f32 v7, -v14, v17, v18
	v_div_fmas_f32 v7, v7, v15, v17
	s_delay_alu instid0(VALU_DEP_1) | instskip(NEXT) | instid1(VALU_DEP_1)
	v_div_fixup_f32 v4, v7, v13, 1.0
	v_mul_f32_e32 v2, v4, v6
	v_mul_f32_e32 v3, v4, v3
	v_mul_u32_u24_e32 v4, 48, v8
	ds_store_b64 v16, v[2:3] offset:512
	s_waitcnt lgkmcnt(0)
	s_waitcnt_vscnt null, 0x0
	buffer_gl0_inv
	ds_load_b64 v[4:5], v4 offset:512
	ds_load_b64 v[6:7], v12
	s_waitcnt lgkmcnt(0)
	v_fma_f32 v6, v2, v4, v6
	v_fmac_f32_e32 v7, v3, v4
	s_delay_alu instid0(VALU_DEP_2) | instskip(NEXT) | instid1(VALU_DEP_2)
	v_fmac_f32_e32 v6, v3, v5
	v_fma_f32 v7, v2, -v5, v7
	ds_store_b64 v12, v[6:7]
.LBB44_123:
	s_or_b32 exec_lo, exec_lo, s0
	s_delay_alu instid0(SALU_CYCLE_1)
	s_and_not1_b32 vcc_lo, exec_lo, s4
	s_waitcnt lgkmcnt(0)
	s_waitcnt_vscnt null, 0x0
	buffer_gl0_inv
	s_cbranch_vccnz .LBB44_125
; %bb.124:
	v_mov_b32_e32 v10, v11
.LBB44_125:
	s_delay_alu instid0(VALU_DEP_1) | instskip(SKIP_3) | instid1(VALU_DEP_1)
	v_add_nc_u32_e32 v2, s3, v10
	ds_load_b64 v[4:5], v0
	v_cmp_eq_u32_e64 s3, 0, v1
	v_ashrrev_i32_e32 v3, 31, v2
	v_lshlrev_b64 v[2:3], 3, v[2:3]
	s_delay_alu instid0(VALU_DEP_1) | instskip(NEXT) | instid1(VALU_DEP_2)
	v_add_co_u32 v2, vcc_lo, s18, v2
	v_add_co_ci_u32_e32 v3, vcc_lo, s19, v3, vcc_lo
	s_waitcnt lgkmcnt(0)
	global_store_b64 v[2:3], v[4:5], off
	s_branch .LBB44_131
.LBB44_126:
	v_or_b32_e32 v0, v8, v9
	s_mov_b32 s0, exec_lo
	s_delay_alu instid0(VALU_DEP_1)
	v_cmpx_eq_u32_e32 0, v0
	s_cbranch_execz .LBB44_130
; %bb.127:
	v_mbcnt_lo_u32_b32 v0, exec_lo, 0
	s_mov_b32 s1, exec_lo
	s_delay_alu instid0(VALU_DEP_1)
	v_cmpx_eq_u32_e32 0, v0
	s_cbranch_execz .LBB44_129
; %bb.128:
	s_add_i32 s2, s16, s17
	s_delay_alu instid0(SALU_CYCLE_1)
	v_dual_mov_b32 v0, 0 :: v_dual_mov_b32 v1, s2
	global_atomic_min_i32 v0, v1, s[10:11]
.LBB44_129:
	s_or_b32 exec_lo, exec_lo, s1
	s_delay_alu instid0(SALU_CYCLE_1)
	s_or_b32 s3, s3, exec_lo
.LBB44_130:
	s_or_b32 exec_lo, exec_lo, s0
.LBB44_131:
	s_and_saveexec_b32 s0, s3
	s_cbranch_execnz .LBB44_133
; %bb.132:
	s_nop 0
	s_sendmsg sendmsg(MSG_DEALLOC_VGPRS)
	s_endpgm
.LBB44_133:
	v_dual_mov_b32 v0, 0 :: v_dual_mov_b32 v1, 1
	s_add_u32 s0, s6, s8
	s_addc_u32 s1, s7, s9
	s_waitcnt_vscnt null, 0x0
	global_store_b32 v0, v1, s[0:1]
	s_nop 0
	s_sendmsg sendmsg(MSG_DEALLOC_VGPRS)
	s_endpgm
	.section	.rodata,"a",@progbits
	.p2align	6, 0x0
	.amdhsa_kernel _ZN9rocsparseL26bsric0_2_8_unrolled_kernelILi25ELi32ELi5E21rocsparse_complex_numIfEEEv20rocsparse_direction_iiPKiS5_PT2_S5_PiS5_S8_21rocsparse_index_base_
		.amdhsa_group_segment_fixed_size 1344
		.amdhsa_private_segment_fixed_size 0
		.amdhsa_kernarg_size 76
		.amdhsa_user_sgpr_count 15
		.amdhsa_user_sgpr_dispatch_ptr 0
		.amdhsa_user_sgpr_queue_ptr 0
		.amdhsa_user_sgpr_kernarg_segment_ptr 1
		.amdhsa_user_sgpr_dispatch_id 0
		.amdhsa_user_sgpr_private_segment_size 0
		.amdhsa_wavefront_size32 1
		.amdhsa_uses_dynamic_stack 0
		.amdhsa_enable_private_segment 0
		.amdhsa_system_sgpr_workgroup_id_x 1
		.amdhsa_system_sgpr_workgroup_id_y 0
		.amdhsa_system_sgpr_workgroup_id_z 0
		.amdhsa_system_sgpr_workgroup_info 0
		.amdhsa_system_vgpr_workitem_id 1
		.amdhsa_next_free_vgpr 45
		.amdhsa_next_free_sgpr 37
		.amdhsa_reserve_vcc 1
		.amdhsa_float_round_mode_32 0
		.amdhsa_float_round_mode_16_64 0
		.amdhsa_float_denorm_mode_32 3
		.amdhsa_float_denorm_mode_16_64 3
		.amdhsa_dx10_clamp 1
		.amdhsa_ieee_mode 1
		.amdhsa_fp16_overflow 0
		.amdhsa_workgroup_processor_mode 1
		.amdhsa_memory_ordered 1
		.amdhsa_forward_progress 0
		.amdhsa_shared_vgpr_count 0
		.amdhsa_exception_fp_ieee_invalid_op 0
		.amdhsa_exception_fp_denorm_src 0
		.amdhsa_exception_fp_ieee_div_zero 0
		.amdhsa_exception_fp_ieee_overflow 0
		.amdhsa_exception_fp_ieee_underflow 0
		.amdhsa_exception_fp_ieee_inexact 0
		.amdhsa_exception_int_div_zero 0
	.end_amdhsa_kernel
	.section	.text._ZN9rocsparseL26bsric0_2_8_unrolled_kernelILi25ELi32ELi5E21rocsparse_complex_numIfEEEv20rocsparse_direction_iiPKiS5_PT2_S5_PiS5_S8_21rocsparse_index_base_,"axG",@progbits,_ZN9rocsparseL26bsric0_2_8_unrolled_kernelILi25ELi32ELi5E21rocsparse_complex_numIfEEEv20rocsparse_direction_iiPKiS5_PT2_S5_PiS5_S8_21rocsparse_index_base_,comdat
.Lfunc_end44:
	.size	_ZN9rocsparseL26bsric0_2_8_unrolled_kernelILi25ELi32ELi5E21rocsparse_complex_numIfEEEv20rocsparse_direction_iiPKiS5_PT2_S5_PiS5_S8_21rocsparse_index_base_, .Lfunc_end44-_ZN9rocsparseL26bsric0_2_8_unrolled_kernelILi25ELi32ELi5E21rocsparse_complex_numIfEEEv20rocsparse_direction_iiPKiS5_PT2_S5_PiS5_S8_21rocsparse_index_base_
                                        ; -- End function
	.section	.AMDGPU.csdata,"",@progbits
; Kernel info:
; codeLenInByte = 10504
; NumSgprs: 39
; NumVgprs: 45
; ScratchSize: 0
; MemoryBound: 0
; FloatMode: 240
; IeeeMode: 1
; LDSByteSize: 1344 bytes/workgroup (compile time only)
; SGPRBlocks: 4
; VGPRBlocks: 5
; NumSGPRsForWavesPerEU: 39
; NumVGPRsForWavesPerEU: 45
; Occupancy: 16
; WaveLimiterHint : 1
; COMPUTE_PGM_RSRC2:SCRATCH_EN: 0
; COMPUTE_PGM_RSRC2:USER_SGPR: 15
; COMPUTE_PGM_RSRC2:TRAP_HANDLER: 0
; COMPUTE_PGM_RSRC2:TGID_X_EN: 1
; COMPUTE_PGM_RSRC2:TGID_Y_EN: 0
; COMPUTE_PGM_RSRC2:TGID_Z_EN: 0
; COMPUTE_PGM_RSRC2:TIDIG_COMP_CNT: 1
	.section	.text._ZN9rocsparseL26bsric0_2_8_unrolled_kernelILi36ELi32ELi6E21rocsparse_complex_numIfEEEv20rocsparse_direction_iiPKiS5_PT2_S5_PiS5_S8_21rocsparse_index_base_,"axG",@progbits,_ZN9rocsparseL26bsric0_2_8_unrolled_kernelILi36ELi32ELi6E21rocsparse_complex_numIfEEEv20rocsparse_direction_iiPKiS5_PT2_S5_PiS5_S8_21rocsparse_index_base_,comdat
	.globl	_ZN9rocsparseL26bsric0_2_8_unrolled_kernelILi36ELi32ELi6E21rocsparse_complex_numIfEEEv20rocsparse_direction_iiPKiS5_PT2_S5_PiS5_S8_21rocsparse_index_base_ ; -- Begin function _ZN9rocsparseL26bsric0_2_8_unrolled_kernelILi36ELi32ELi6E21rocsparse_complex_numIfEEEv20rocsparse_direction_iiPKiS5_PT2_S5_PiS5_S8_21rocsparse_index_base_
	.p2align	8
	.type	_ZN9rocsparseL26bsric0_2_8_unrolled_kernelILi36ELi32ELi6E21rocsparse_complex_numIfEEEv20rocsparse_direction_iiPKiS5_PT2_S5_PiS5_S8_21rocsparse_index_base_,@function
_ZN9rocsparseL26bsric0_2_8_unrolled_kernelILi36ELi32ELi6E21rocsparse_complex_numIfEEEv20rocsparse_direction_iiPKiS5_PT2_S5_PiS5_S8_21rocsparse_index_base_: ; @_ZN9rocsparseL26bsric0_2_8_unrolled_kernelILi36ELi32ELi6E21rocsparse_complex_numIfEEEv20rocsparse_direction_iiPKiS5_PT2_S5_PiS5_S8_21rocsparse_index_base_
; %bb.0:
	s_load_b256 s[4:11], s[0:1], 0x28
	s_mov_b32 s2, s15
	s_mov_b32 s3, 0
	v_and_b32_e32 v8, 0x3ff, v0
	s_lshl_b64 s[12:13], s[2:3], 2
	v_bfe_u32 v9, v0, 10, 10
	s_waitcnt lgkmcnt(0)
	s_add_u32 s8, s8, s12
	s_addc_u32 s9, s9, s13
	s_load_b32 s16, s[8:9], 0x0
	s_waitcnt lgkmcnt(0)
	s_ashr_i32 s17, s16, 31
	s_delay_alu instid0(SALU_CYCLE_1) | instskip(NEXT) | instid1(SALU_CYCLE_1)
	s_lshl_b64 s[8:9], s[16:17], 2
	s_add_u32 s12, s4, s8
	s_addc_u32 s13, s5, s9
	s_load_b32 s26, s[12:13], 0x0
	s_load_b32 s17, s[0:1], 0x48
	s_waitcnt lgkmcnt(0)
	s_cmp_lg_u32 s26, -1
	s_cbranch_scc0 .LBB45_60
; %bb.1:
	s_clause 0x1
	s_load_b128 s[12:15], s[0:1], 0x10
	s_load_b64 s[18:19], s[0:1], 0x20
	v_mad_u32_u24 v10, v9, 6, v8
	s_waitcnt lgkmcnt(0)
	s_add_u32 s2, s12, s8
	s_addc_u32 s3, s13, s9
	s_load_b32 s2, s[2:3], 0x0
	s_mov_b32 s3, exec_lo
	s_waitcnt lgkmcnt(0)
	s_sub_i32 s27, s2, s17
	s_delay_alu instid0(SALU_CYCLE_1) | instskip(NEXT) | instid1(VALU_DEP_1)
	v_add_nc_u32_e32 v0, s27, v10
	v_cmpx_ge_i32_e64 s26, v0
	s_cbranch_execz .LBB45_4
; %bb.2:
	v_ashrrev_i32_e32 v1, 31, v0
	v_lshl_add_u32 v3, v10, 2, 0x640
	s_mov_b32 s20, 0
	s_delay_alu instid0(VALU_DEP_2) | instskip(NEXT) | instid1(VALU_DEP_1)
	v_lshlrev_b64 v[1:2], 2, v[0:1]
	v_add_co_u32 v1, vcc_lo, s14, v1
	s_delay_alu instid0(VALU_DEP_2)
	v_add_co_ci_u32_e32 v2, vcc_lo, s15, v2, vcc_lo
	.p2align	6
.LBB45_3:                               ; =>This Inner Loop Header: Depth=1
	global_load_b32 v4, v[1:2], off
	v_add_nc_u32_e32 v0, 36, v0
	v_add_co_u32 v1, vcc_lo, 0x90, v1
	v_add_co_ci_u32_e32 v2, vcc_lo, 0, v2, vcc_lo
	s_delay_alu instid0(VALU_DEP_3) | instskip(NEXT) | instid1(VALU_DEP_1)
	v_cmp_lt_i32_e64 s2, s26, v0
	s_or_b32 s20, s2, s20
	s_waitcnt vmcnt(0)
	v_subrev_nc_u32_e32 v4, s17, v4
	ds_store_b32 v3, v4
	v_add_nc_u32_e32 v3, 0x90, v3
	s_and_not1_b32 exec_lo, exec_lo, s20
	s_cbranch_execnz .LBB45_3
.LBB45_4:
	s_or_b32 exec_lo, exec_lo, s3
	s_load_b32 s28, s[0:1], 0x0
	v_mov_b32_e32 v0, 0
	v_lshlrev_b32_e32 v2, 3, v8
	v_mul_u32_u24_e32 v14, 6, v9
	v_mad_u32_u24 v11, v8, 6, v9
	s_cmp_ge_i32 s27, s26
	v_mov_b32_e32 v1, v0
	v_mad_u32_u24 v13, v9, 56, v2
	s_delay_alu instid0(VALU_DEP_1)
	v_add_nc_u32_e32 v12, 0x3f0, v13
	ds_store_b64 v13, v[0:1] offset:1008
	s_waitcnt lgkmcnt(0)
	buffer_gl0_inv
	s_cbranch_scc1 .LBB45_54
; %bb.5:
	v_mad_u32_u24 v1, v8, 6, v9
	v_mad_u32_u24 v15, v9, 56, 0x2a0
	;; [unrolled: 1-line block ×3, first 2 shown]
	v_or_b32_e32 v3, v8, v9
	s_cmp_eq_u32 s28, 0
	v_mul_u32_u24_e32 v17, 6, v8
	s_cselect_b32 vcc_lo, -1, 0
	v_add_nc_u32_e32 v18, v15, v2
	v_add_nc_u32_e32 v19, v16, v2
	v_cmp_ne_u32_e64 s0, 0, v3
	v_mad_u32_u24 v20, v8, 56, 0x2a0
	v_cndmask_b32_e32 v1, v1, v10, vcc_lo
	s_cmp_lg_u32 s28, 0
	s_mov_b32 s2, s27
	s_cselect_b32 s29, -1, 0
	s_branch .LBB45_9
.LBB45_6:                               ;   in Loop: Header=BB45_9 Depth=1
	s_or_b32 exec_lo, exec_lo, s20
	v_dual_mov_b32 v6, 1.0 :: v_dual_mov_b32 v7, 0
.LBB45_7:                               ;   in Loop: Header=BB45_9 Depth=1
	s_or_b32 exec_lo, exec_lo, s1
	ds_load_2addr_b64 v[21:24], v0 offset0:35 offset1:36
	ds_load_2addr_b64 v[25:28], v15 offset1:1
	ds_load_b64 v[37:38], v16 offset:40
	ds_load_2addr_b64 v[29:32], v0 offset0:37 offset1:38
	ds_load_2addr_b64 v[33:36], v15 offset0:2 offset1:3
	v_mul_f32_e32 v39, v7, v7
	s_add_i32 s2, s2, 1
	s_delay_alu instid0(SALU_CYCLE_1) | instskip(SKIP_4) | instid1(VALU_DEP_2)
	s_cmp_ge_i32 s2, s26
	s_cselect_b32 s23, -1, 0
	s_waitcnt lgkmcnt(2)
	v_fmac_f32_e32 v37, v21, v25
	v_fma_f32 v38, v22, v25, v38
	v_fmac_f32_e32 v37, v22, v26
	s_delay_alu instid0(VALU_DEP_2) | instskip(NEXT) | instid1(VALU_DEP_2)
	v_fma_f32 v21, v21, -v26, v38
	v_fmac_f32_e32 v37, v23, v27
	s_delay_alu instid0(VALU_DEP_2) | instskip(NEXT) | instid1(VALU_DEP_2)
	v_fmac_f32_e32 v21, v24, v27
	v_fmac_f32_e32 v37, v24, v28
	s_delay_alu instid0(VALU_DEP_2)
	v_fma_f32 v27, v23, -v28, v21
	ds_load_b64 v[21:22], v15 offset:32
	ds_load_b64 v[23:24], v0 offset:312
	s_waitcnt lgkmcnt(2)
	v_fmac_f32_e32 v37, v29, v33
	v_fmac_f32_e32 v27, v30, v33
	s_delay_alu instid0(VALU_DEP_2) | instskip(NEXT) | instid1(VALU_DEP_2)
	v_fmac_f32_e32 v37, v30, v34
	v_fma_f32 v27, v29, -v34, v27
	s_delay_alu instid0(VALU_DEP_2) | instskip(NEXT) | instid1(VALU_DEP_2)
	v_fmac_f32_e32 v37, v31, v35
	v_fmac_f32_e32 v27, v32, v35
	s_delay_alu instid0(VALU_DEP_2) | instskip(NEXT) | instid1(VALU_DEP_2)
	v_fmac_f32_e32 v37, v32, v36
	v_fma_f32 v27, v31, -v36, v27
	s_waitcnt lgkmcnt(0)
	s_delay_alu instid0(VALU_DEP_2) | instskip(NEXT) | instid1(VALU_DEP_2)
	v_fmac_f32_e32 v37, v23, v21
	v_fmac_f32_e32 v27, v24, v21
	s_delay_alu instid0(VALU_DEP_2) | instskip(SKIP_1) | instid1(VALU_DEP_3)
	v_fmac_f32_e32 v37, v24, v22
	v_fmac_f32_e32 v39, v6, v6
	v_fma_f32 v21, v23, -v22, v27
	s_delay_alu instid0(VALU_DEP_3) | instskip(NEXT) | instid1(VALU_DEP_3)
	v_sub_f32_e32 v4, v4, v37
	v_div_scale_f32 v25, null, v39, v39, 1.0
	v_div_scale_f32 v29, vcc_lo, 1.0, v39, 1.0
	s_delay_alu instid0(VALU_DEP_4) | instskip(NEXT) | instid1(VALU_DEP_3)
	v_sub_f32_e32 v5, v5, v21
	v_rcp_f32_e32 v26, v25
	s_waitcnt_depctr 0xfff
	v_fma_f32 v28, -v25, v26, 1.0
	s_delay_alu instid0(VALU_DEP_1) | instskip(NEXT) | instid1(VALU_DEP_1)
	v_fmac_f32_e32 v26, v28, v26
	v_mul_f32_e32 v28, v29, v26
	s_delay_alu instid0(VALU_DEP_1) | instskip(NEXT) | instid1(VALU_DEP_1)
	v_fma_f32 v30, -v25, v28, v29
	v_fmac_f32_e32 v28, v30, v26
	s_delay_alu instid0(VALU_DEP_1) | instskip(NEXT) | instid1(VALU_DEP_1)
	v_fma_f32 v22, -v25, v28, v29
	v_div_fmas_f32 v21, v22, v26, v28
	v_mul_f32_e32 v22, v7, v5
	v_mul_f32_e64 v7, v7, -v4
	s_delay_alu instid0(VALU_DEP_3) | instskip(NEXT) | instid1(VALU_DEP_3)
	v_div_fixup_f32 v21, v21, v39, 1.0
	v_fmac_f32_e32 v22, v4, v6
	s_delay_alu instid0(VALU_DEP_3) | instskip(NEXT) | instid1(VALU_DEP_2)
	v_fmac_f32_e32 v7, v5, v6
	v_mul_f32_e32 v4, v21, v22
	s_delay_alu instid0(VALU_DEP_2)
	v_mul_f32_e32 v5, v21, v7
	ds_store_b64 v15, v[4:5] offset:40
	s_waitcnt lgkmcnt(0)
	s_waitcnt_vscnt null, 0x0
	buffer_gl0_inv
	ds_load_b64 v[6:7], v20 offset:40
	ds_load_b64 v[21:22], v12
	s_waitcnt lgkmcnt(0)
	v_fma_f32 v21, v4, v6, v21
	v_fmac_f32_e32 v22, v5, v6
	s_delay_alu instid0(VALU_DEP_2) | instskip(NEXT) | instid1(VALU_DEP_2)
	v_fmac_f32_e32 v21, v5, v7
	v_fma_f32 v22, v4, -v7, v22
	ds_store_b64 v12, v[21:22]
	s_waitcnt lgkmcnt(0)
	buffer_gl0_inv
	ds_load_b64 v[4:5], v18
	s_waitcnt lgkmcnt(0)
	global_store_b64 v[2:3], v[4:5], off
	s_waitcnt_vscnt null, 0x0
	buffer_gl1_inv
	buffer_gl0_inv
.LBB45_8:                               ;   in Loop: Header=BB45_9 Depth=1
	s_and_b32 vcc_lo, exec_lo, s23
	s_cbranch_vccnz .LBB45_54
.LBB45_9:                               ; =>This Loop Header: Depth=1
                                        ;     Child Loop BB45_12 Depth 2
                                        ;     Child Loop BB45_23 Depth 2
	s_ashr_i32 s3, s2, 31
	s_delay_alu instid0(SALU_CYCLE_1) | instskip(NEXT) | instid1(SALU_CYCLE_1)
	s_lshl_b64 s[20:21], s[2:3], 2
	s_add_u32 s20, s14, s20
	s_addc_u32 s21, s15, s21
	s_load_b32 s3, s[20:21], 0x0
	s_waitcnt lgkmcnt(0)
	s_sub_i32 s22, s3, s17
	s_delay_alu instid0(SALU_CYCLE_1) | instskip(NEXT) | instid1(SALU_CYCLE_1)
	s_ashr_i32 s23, s22, 31
	s_lshl_b64 s[20:21], s[22:23], 2
	s_mov_b32 s23, -1
	s_add_u32 s24, s4, s20
	s_addc_u32 s25, s5, s21
	s_load_b32 s1, s[24:25], 0x0
	s_waitcnt lgkmcnt(0)
	s_cmp_eq_u32 s1, -1
	s_cbranch_scc1 .LBB45_8
; %bb.10:                               ;   in Loop: Header=BB45_9 Depth=1
	v_mad_u64_u32 v[2:3], null, s2, 36, v[1:2]
	s_add_u32 s24, s12, s20
	s_addc_u32 s25, s13, s21
	ds_load_b32 v6, v0 offset:1600
	s_load_b32 s23, s[24:25], 0x0
	v_ashrrev_i32_e32 v3, 31, v2
	s_delay_alu instid0(VALU_DEP_1) | instskip(NEXT) | instid1(VALU_DEP_1)
	v_lshlrev_b64 v[2:3], 3, v[2:3]
	v_add_co_u32 v2, vcc_lo, s18, v2
	s_delay_alu instid0(VALU_DEP_2)
	v_add_co_ci_u32_e32 v3, vcc_lo, s19, v3, vcc_lo
	s_waitcnt lgkmcnt(0)
	v_cmp_ge_i32_e32 vcc_lo, s22, v6
	s_sub_i32 s24, s23, s17
	global_load_b64 v[4:5], v[2:3], off
	s_cmp_le_i32 s24, s1
	s_cselect_b32 s23, -1, 0
	s_delay_alu instid0(SALU_CYCLE_1) | instskip(NEXT) | instid1(SALU_CYCLE_1)
	s_and_b32 s23, s23, vcc_lo
	s_and_not1_b32 vcc_lo, exec_lo, s23
	s_mov_b32 s23, 0
	s_waitcnt vmcnt(0)
	ds_store_b64 v18, v[4:5]
	s_cbranch_vccnz .LBB45_22
; %bb.11:                               ;   in Loop: Header=BB45_9 Depth=1
	s_mov_b32 s30, 0
	s_mov_b32 s31, 0
.LBB45_12:                              ;   Parent Loop BB45_9 Depth=1
                                        ; =>  This Inner Loop Header: Depth=2
	s_ashr_i32 s25, s24, 31
                                        ; implicit-def: $sgpr33
	s_delay_alu instid0(SALU_CYCLE_1) | instskip(NEXT) | instid1(SALU_CYCLE_1)
	s_lshl_b64 s[34:35], s[24:25], 2
	s_add_u32 s34, s14, s34
	s_addc_u32 s35, s15, s35
	s_lshl_b32 s23, s31, 2
	s_delay_alu instid0(SALU_CYCLE_1)
	v_mov_b32_e32 v4, s23
	s_load_b32 s23, s[34:35], 0x0
	s_mov_b32 s35, -1
                                        ; implicit-def: $sgpr34
	ds_load_b32 v4, v4 offset:1600
	s_waitcnt lgkmcnt(0)
	s_sub_i32 s36, s23, s17
                                        ; implicit-def: $sgpr23
	s_delay_alu instid0(SALU_CYCLE_1)
	v_cmp_ge_i32_e32 vcc_lo, s36, v4
	v_readfirstlane_b32 s25, v4
	s_cbranch_vccz .LBB45_18
; %bb.13:                               ;   in Loop: Header=BB45_12 Depth=2
	s_delay_alu instid0(VALU_DEP_1)
	s_cmp_le_i32 s36, s25
                                        ; implicit-def: $sgpr23
                                        ; implicit-def: $sgpr34
                                        ; implicit-def: $sgpr33
	s_cbranch_scc0 .LBB45_15
; %bb.14:                               ;   in Loop: Header=BB45_12 Depth=2
	s_add_i32 s23, s31, s27
	s_lshl_b32 s33, s30, 2
	s_mul_i32 s23, s23, 36
	s_mul_i32 s34, s24, 36
	s_delay_alu instid0(SALU_CYCLE_1)
	v_dual_mov_b32 v4, s23 :: v_dual_mov_b32 v5, s34
	v_add_nc_u32_e64 v6, 0x400, s33
	s_add_i32 s33, s31, 1
	s_add_i32 s34, s24, 1
	;; [unrolled: 1-line block ×3, first 2 shown]
	s_mov_b32 s35, 0
	ds_store_2addr_b32 v6, v5, v4 offset0:80 offset1:112
.LBB45_15:                              ;   in Loop: Header=BB45_12 Depth=2
	s_and_not1_b32 vcc_lo, exec_lo, s35
	s_cbranch_vccnz .LBB45_17
; %bb.16:                               ;   in Loop: Header=BB45_12 Depth=2
	s_add_i32 s33, s31, 1
	s_mov_b32 s23, s30
	s_mov_b32 s34, s24
.LBB45_17:                              ;   in Loop: Header=BB45_12 Depth=2
	s_mov_b32 s35, 0
.LBB45_18:                              ;   in Loop: Header=BB45_12 Depth=2
	s_delay_alu instid0(SALU_CYCLE_1)
	s_and_not1_b32 vcc_lo, exec_lo, s35
	s_cbranch_vccnz .LBB45_20
; %bb.19:                               ;   in Loop: Header=BB45_12 Depth=2
	s_add_i32 s34, s24, 1
	s_mov_b32 s33, s31
	s_mov_b32 s23, s30
.LBB45_20:                              ;   in Loop: Header=BB45_12 Depth=2
	s_cmp_le_i32 s34, s1
	s_cselect_b32 s24, -1, 0
	s_cmp_le_i32 s25, s22
	s_cselect_b32 s25, -1, 0
	s_delay_alu instid0(SALU_CYCLE_1) | instskip(NEXT) | instid1(SALU_CYCLE_1)
	s_and_b32 s24, s24, s25
	s_and_b32 vcc_lo, exec_lo, s24
	s_cbranch_vccz .LBB45_22
; %bb.21:                               ;   in Loop: Header=BB45_12 Depth=2
	s_mov_b32 s30, s23
	s_mov_b32 s24, s34
	s_mov_b32 s31, s33
	s_branch .LBB45_12
.LBB45_22:                              ;   in Loop: Header=BB45_9 Depth=1
	s_add_u32 s20, s6, s20
	s_addc_u32 s21, s7, s21
	s_waitcnt lgkmcnt(0)
	buffer_gl0_inv
.LBB45_23:                              ;   Parent Loop BB45_9 Depth=1
                                        ; =>  This Inner Loop Header: Depth=2
	global_load_b32 v4, v0, s[20:21] glc
	s_waitcnt vmcnt(0)
	v_cmp_eq_u32_e32 vcc_lo, 0, v4
	s_cbranch_vccnz .LBB45_23
; %bb.24:                               ;   in Loop: Header=BB45_9 Depth=1
	v_mad_u64_u32 v[4:5], null, s1, 36, v[1:2]
	buffer_gl1_inv
	buffer_gl0_inv
	v_dual_mov_b32 v7, 0 :: v_dual_mov_b32 v6, 0
	s_cmp_lt_i32 s23, 2
	v_ashrrev_i32_e32 v5, 31, v4
	s_delay_alu instid0(VALU_DEP_1) | instskip(NEXT) | instid1(VALU_DEP_1)
	v_lshlrev_b64 v[4:5], 3, v[4:5]
	v_add_co_u32 v4, vcc_lo, s18, v4
	s_delay_alu instid0(VALU_DEP_2)
	v_add_co_ci_u32_e32 v5, vcc_lo, s19, v5, vcc_lo
	global_load_b64 v[4:5], v[4:5], off
	s_waitcnt vmcnt(0)
	ds_store_b64 v13, v[4:5]
	s_waitcnt lgkmcnt(0)
	buffer_gl0_inv
	s_cbranch_scc1 .LBB45_31
; %bb.25:                               ;   in Loop: Header=BB45_9 Depth=1
	v_dual_mov_b32 v22, 0 :: v_dual_mov_b32 v21, 0
	s_add_i32 s1, s23, -1
	s_movk_i32 s20, 0x540
	s_delay_alu instid0(SALU_CYCLE_1)
	v_mov_b32_e32 v4, s20
	s_and_b32 vcc_lo, exec_lo, s29
	ds_load_2addr_b32 v[4:5], v4 offset1:32
	s_cbranch_vccz .LBB45_27
.LBB45_26:                              ;   in Loop: Header=BB45_9 Depth=1
	s_waitcnt lgkmcnt(0)
	v_add_nc_u32_e32 v6, v4, v8
	v_add_nc_u32_e32 v23, v5, v9
	s_delay_alu instid0(VALU_DEP_2) | instskip(SKIP_1) | instid1(VALU_DEP_3)
	v_ashrrev_i32_e32 v7, 31, v6
	v_add_nc_u32_e32 v25, 6, v6
	v_ashrrev_i32_e32 v24, 31, v23
	v_add_nc_u32_e32 v27, 6, v23
	v_add_nc_u32_e32 v35, 12, v23
	v_lshlrev_b64 v[29:30], 3, v[6:7]
	v_ashrrev_i32_e32 v26, 31, v25
	v_lshlrev_b64 v[31:32], 3, v[23:24]
	v_ashrrev_i32_e32 v28, 31, v27
	v_ashrrev_i32_e32 v36, 31, v35
	s_delay_alu instid0(VALU_DEP_4)
	v_lshlrev_b64 v[24:25], 3, v[25:26]
	v_add_co_u32 v29, vcc_lo, s18, v29
	v_add_co_ci_u32_e32 v30, vcc_lo, s19, v30, vcc_lo
	v_add_co_u32 v31, vcc_lo, s18, v31
	v_lshlrev_b64 v[26:27], 3, v[27:28]
	v_add_co_ci_u32_e32 v32, vcc_lo, s19, v32, vcc_lo
	v_add_co_u32 v24, vcc_lo, s18, v24
	v_add_co_ci_u32_e32 v25, vcc_lo, s19, v25, vcc_lo
	s_delay_alu instid0(VALU_DEP_4)
	v_add_co_u32 v26, vcc_lo, s18, v26
	v_add_co_ci_u32_e32 v27, vcc_lo, s19, v27, vcc_lo
	s_clause 0x3
	global_load_b64 v[37:38], v[29:30], off
	global_load_b64 v[30:31], v[31:32], off
	global_load_b64 v[24:25], v[24:25], off
	global_load_b64 v[26:27], v[26:27], off
	v_add_nc_u32_e32 v33, 12, v6
	v_add_nc_u32_e32 v28, 18, v6
	;; [unrolled: 1-line block ×3, first 2 shown]
	v_lshlrev_b64 v[35:36], 3, v[35:36]
	s_delay_alu instid0(VALU_DEP_4) | instskip(NEXT) | instid1(VALU_DEP_4)
	v_ashrrev_i32_e32 v34, 31, v33
	v_ashrrev_i32_e32 v29, 31, v28
	s_delay_alu instid0(VALU_DEP_2) | instskip(NEXT) | instid1(VALU_DEP_2)
	v_lshlrev_b64 v[33:34], 3, v[33:34]
	v_lshlrev_b64 v[28:29], 3, v[28:29]
	s_delay_alu instid0(VALU_DEP_2) | instskip(SKIP_1) | instid1(VALU_DEP_4)
	v_add_co_u32 v39, vcc_lo, s18, v33
	v_ashrrev_i32_e32 v33, 31, v32
	v_add_co_ci_u32_e32 v40, vcc_lo, s19, v34, vcc_lo
	v_add_co_u32 v34, vcc_lo, s18, v35
	s_delay_alu instid0(VALU_DEP_3) | instskip(SKIP_3) | instid1(VALU_DEP_4)
	v_lshlrev_b64 v[32:33], 3, v[32:33]
	v_add_co_ci_u32_e32 v35, vcc_lo, s19, v36, vcc_lo
	v_add_co_u32 v28, vcc_lo, s18, v28
	v_add_co_ci_u32_e32 v29, vcc_lo, s19, v29, vcc_lo
	v_add_co_u32 v32, vcc_lo, s18, v32
	v_add_co_ci_u32_e32 v33, vcc_lo, s19, v33, vcc_lo
	s_clause 0x3
	global_load_b64 v[39:40], v[39:40], off
	global_load_b64 v[34:35], v[34:35], off
	;; [unrolled: 1-line block ×4, first 2 shown]
	v_add_nc_u32_e32 v41, 24, v6
	v_add_nc_u32_e32 v43, 24, v23
	s_delay_alu instid0(VALU_DEP_2) | instskip(NEXT) | instid1(VALU_DEP_2)
	v_ashrrev_i32_e32 v42, 31, v41
	v_ashrrev_i32_e32 v44, 31, v43
	s_delay_alu instid0(VALU_DEP_2) | instskip(NEXT) | instid1(VALU_DEP_2)
	v_lshlrev_b64 v[41:42], 3, v[41:42]
	v_lshlrev_b64 v[43:44], 3, v[43:44]
	s_delay_alu instid0(VALU_DEP_2) | instskip(NEXT) | instid1(VALU_DEP_3)
	v_add_co_u32 v41, vcc_lo, s18, v41
	v_add_co_ci_u32_e32 v42, vcc_lo, s19, v42, vcc_lo
	s_delay_alu instid0(VALU_DEP_3) | instskip(NEXT) | instid1(VALU_DEP_4)
	v_add_co_u32 v43, vcc_lo, s18, v43
	v_add_co_ci_u32_e32 v44, vcc_lo, s19, v44, vcc_lo
	s_clause 0x1
	global_load_b64 v[41:42], v[41:42], off
	global_load_b64 v[43:44], v[43:44], off
	v_add_nc_u32_e32 v6, 30, v6
	v_add_nc_u32_e32 v45, 30, v23
	s_delay_alu instid0(VALU_DEP_2) | instskip(NEXT) | instid1(VALU_DEP_2)
	v_ashrrev_i32_e32 v7, 31, v6
	v_ashrrev_i32_e32 v46, 31, v45
	s_delay_alu instid0(VALU_DEP_2) | instskip(NEXT) | instid1(VALU_DEP_2)
	v_lshlrev_b64 v[6:7], 3, v[6:7]
	v_lshlrev_b64 v[45:46], 3, v[45:46]
	s_delay_alu instid0(VALU_DEP_2) | instskip(NEXT) | instid1(VALU_DEP_3)
	v_add_co_u32 v6, vcc_lo, s18, v6
	v_add_co_ci_u32_e32 v7, vcc_lo, s19, v7, vcc_lo
	s_delay_alu instid0(VALU_DEP_3) | instskip(NEXT) | instid1(VALU_DEP_4)
	v_add_co_u32 v45, vcc_lo, s18, v45
	v_add_co_ci_u32_e32 v46, vcc_lo, s19, v46, vcc_lo
	s_clause 0x1
	global_load_b64 v[47:48], v[6:7], off
	global_load_b64 v[45:46], v[45:46], off
	s_waitcnt vmcnt(10)
	v_fma_f32 v7, v38, v30, v22
	v_fma_f32 v6, v37, v30, v21
	s_delay_alu instid0(VALU_DEP_2) | instskip(SKIP_1) | instid1(VALU_DEP_1)
	v_fma_f32 v7, v37, -v31, v7
	s_waitcnt vmcnt(8)
	v_dual_fmac_f32 v6, v38, v31 :: v_dual_fmac_f32 v7, v25, v26
	s_delay_alu instid0(VALU_DEP_1) | instskip(NEXT) | instid1(VALU_DEP_2)
	v_fmac_f32_e32 v6, v24, v26
	v_fma_f32 v7, v24, -v27, v7
	s_waitcnt vmcnt(6)
	s_delay_alu instid0(VALU_DEP_1) | instskip(NEXT) | instid1(VALU_DEP_1)
	v_dual_fmac_f32 v6, v25, v27 :: v_dual_fmac_f32 v7, v40, v34
	v_fmac_f32_e32 v6, v39, v34
	s_delay_alu instid0(VALU_DEP_2) | instskip(SKIP_1) | instid1(VALU_DEP_1)
	v_fma_f32 v7, v39, -v35, v7
	s_waitcnt vmcnt(4)
	v_dual_fmac_f32 v6, v40, v35 :: v_dual_fmac_f32 v7, v29, v32
	s_delay_alu instid0(VALU_DEP_1) | instskip(NEXT) | instid1(VALU_DEP_2)
	v_fmac_f32_e32 v6, v28, v32
	v_fma_f32 v7, v28, -v33, v7
	s_waitcnt vmcnt(2)
	s_delay_alu instid0(VALU_DEP_1) | instskip(NEXT) | instid1(VALU_DEP_1)
	v_dual_fmac_f32 v6, v29, v33 :: v_dual_fmac_f32 v7, v42, v43
	v_fma_f32 v7, v41, -v44, v7
	s_waitcnt vmcnt(0)
	s_delay_alu instid0(VALU_DEP_1) | instskip(NEXT) | instid1(VALU_DEP_1)
	v_dual_fmac_f32 v6, v41, v43 :: v_dual_fmac_f32 v7, v48, v45
	v_fmac_f32_e32 v6, v42, v44
	s_delay_alu instid0(VALU_DEP_2) | instskip(NEXT) | instid1(VALU_DEP_2)
	v_fma_f32 v7, v47, -v46, v7
	v_fmac_f32_e32 v6, v47, v45
	s_delay_alu instid0(VALU_DEP_1)
	v_fmac_f32_e32 v6, v48, v46
	s_cbranch_execz .LBB45_28
	s_branch .LBB45_29
.LBB45_27:                              ;   in Loop: Header=BB45_9 Depth=1
                                        ; implicit-def: $vgpr7
.LBB45_28:                              ;   in Loop: Header=BB45_9 Depth=1
	s_waitcnt lgkmcnt(0)
	v_add_nc_u32_e32 v4, v4, v17
	v_add_nc_u32_e32 v6, v5, v14
	s_delay_alu instid0(VALU_DEP_2) | instskip(NEXT) | instid1(VALU_DEP_2)
	v_ashrrev_i32_e32 v5, 31, v4
	v_ashrrev_i32_e32 v7, 31, v6
	s_delay_alu instid0(VALU_DEP_2) | instskip(NEXT) | instid1(VALU_DEP_2)
	v_lshlrev_b64 v[4:5], 3, v[4:5]
	v_lshlrev_b64 v[6:7], 3, v[6:7]
	s_delay_alu instid0(VALU_DEP_2) | instskip(NEXT) | instid1(VALU_DEP_3)
	v_add_co_u32 v35, vcc_lo, s18, v4
	v_add_co_ci_u32_e32 v36, vcc_lo, s19, v5, vcc_lo
	s_delay_alu instid0(VALU_DEP_3) | instskip(NEXT) | instid1(VALU_DEP_4)
	v_add_co_u32 v39, vcc_lo, s18, v6
	v_add_co_ci_u32_e32 v40, vcc_lo, s19, v7, vcc_lo
	s_clause 0x5
	global_load_b128 v[4:7], v[35:36], off
	global_load_b128 v[23:26], v[39:40], off
	global_load_b128 v[27:30], v[35:36], off offset:16
	global_load_b128 v[31:34], v[39:40], off offset:16
	;; [unrolled: 1-line block ×4, first 2 shown]
	s_waitcnt vmcnt(4)
	v_fmac_f32_e32 v21, v4, v23
	s_delay_alu instid0(VALU_DEP_1) | instskip(NEXT) | instid1(VALU_DEP_1)
	v_fmac_f32_e32 v21, v5, v24
	v_dual_fmac_f32 v22, v5, v23 :: v_dual_fmac_f32 v21, v6, v25
	s_delay_alu instid0(VALU_DEP_1) | instskip(NEXT) | instid1(VALU_DEP_2)
	v_fma_f32 v4, v4, -v24, v22
	v_fmac_f32_e32 v21, v7, v26
	s_waitcnt vmcnt(2)
	s_delay_alu instid0(VALU_DEP_1) | instskip(NEXT) | instid1(VALU_DEP_1)
	v_fmac_f32_e32 v21, v27, v31
	v_dual_fmac_f32 v4, v7, v25 :: v_dual_fmac_f32 v21, v28, v32
	s_delay_alu instid0(VALU_DEP_1) | instskip(NEXT) | instid1(VALU_DEP_1)
	v_fma_f32 v4, v6, -v26, v4
	v_fmac_f32_e32 v4, v28, v31
	s_delay_alu instid0(VALU_DEP_1) | instskip(NEXT) | instid1(VALU_DEP_1)
	v_fma_f32 v4, v27, -v32, v4
	v_fmac_f32_e32 v4, v30, v33
	s_delay_alu instid0(VALU_DEP_1) | instskip(SKIP_1) | instid1(VALU_DEP_1)
	v_fma_f32 v4, v29, -v34, v4
	s_waitcnt vmcnt(0)
	v_dual_fmac_f32 v21, v29, v33 :: v_dual_fmac_f32 v4, v36, v39
	s_delay_alu instid0(VALU_DEP_1) | instskip(NEXT) | instid1(VALU_DEP_2)
	v_fmac_f32_e32 v21, v30, v34
	v_fma_f32 v4, v35, -v40, v4
	s_delay_alu instid0(VALU_DEP_1) | instskip(NEXT) | instid1(VALU_DEP_1)
	v_dual_fmac_f32 v21, v35, v39 :: v_dual_fmac_f32 v4, v38, v41
	v_fmac_f32_e32 v21, v36, v40
	s_delay_alu instid0(VALU_DEP_2) | instskip(NEXT) | instid1(VALU_DEP_2)
	v_fma_f32 v7, v37, -v42, v4
	v_fmac_f32_e32 v21, v37, v41
	s_delay_alu instid0(VALU_DEP_1) | instskip(NEXT) | instid1(VALU_DEP_1)
	v_fmac_f32_e32 v21, v38, v42
	v_mov_b32_e32 v6, v21
.LBB45_29:                              ;   in Loop: Header=BB45_9 Depth=1
	s_add_i32 s1, s1, -1
	s_add_i32 s20, s20, 4
	s_cmp_eq_u32 s1, 0
	s_cbranch_scc1 .LBB45_31
; %bb.30:                               ;   in Loop: Header=BB45_9 Depth=1
	v_dual_mov_b32 v22, v7 :: v_dual_mov_b32 v21, v6
	s_waitcnt lgkmcnt(0)
	v_mov_b32_e32 v4, s20
	s_and_b32 vcc_lo, exec_lo, s29
	ds_load_2addr_b32 v[4:5], v4 offset1:32
	s_cbranch_vccz .LBB45_27
	s_branch .LBB45_26
.LBB45_31:                              ;   in Loop: Header=BB45_9 Depth=1
	ds_store_b64 v19, v[6:7]
	s_waitcnt lgkmcnt(0)
	buffer_gl0_inv
	ds_load_b64 v[6:7], v0
	ds_load_b64 v[4:5], v15
	s_waitcnt lgkmcnt(1)
	v_cmp_neq_f32_e32 vcc_lo, 0, v6
	v_cmp_neq_f32_e64 s1, 0, v7
	s_delay_alu instid0(VALU_DEP_1) | instskip(SKIP_2) | instid1(SALU_CYCLE_1)
	s_or_b32 vcc_lo, vcc_lo, s1
	v_dual_cndmask_b32 v6, 1.0, v6 :: v_dual_cndmask_b32 v7, 0, v7
	s_or_b32 s1, vcc_lo, s0
	s_xor_b32 s20, s1, -1
	s_delay_alu instid0(SALU_CYCLE_1)
	s_and_saveexec_b32 s1, s20
	s_cbranch_execz .LBB45_35
; %bb.32:                               ;   in Loop: Header=BB45_9 Depth=1
	v_mbcnt_lo_u32_b32 v6, exec_lo, 0
	s_mov_b32 s20, exec_lo
	s_delay_alu instid0(VALU_DEP_1)
	v_cmpx_eq_u32_e32 0, v6
	s_cbranch_execz .LBB45_34
; %bb.33:                               ;   in Loop: Header=BB45_9 Depth=1
	v_mov_b32_e32 v6, s3
	global_atomic_min_i32 v0, v6, s[10:11]
.LBB45_34:                              ;   in Loop: Header=BB45_9 Depth=1
	s_or_b32 exec_lo, exec_lo, s20
	v_dual_mov_b32 v6, 1.0 :: v_dual_mov_b32 v7, 0
.LBB45_35:                              ;   in Loop: Header=BB45_9 Depth=1
	s_or_b32 exec_lo, exec_lo, s1
	s_delay_alu instid0(VALU_DEP_1) | instskip(SKIP_2) | instid1(VALU_DEP_1)
	v_mul_f32_e32 v23, v7, v7
	ds_load_b64 v[21:22], v16
	v_fmac_f32_e32 v23, v6, v6
	v_div_scale_f32 v24, null, v23, v23, 1.0
	v_div_scale_f32 v27, vcc_lo, 1.0, v23, 1.0
	s_delay_alu instid0(VALU_DEP_2)
	v_rcp_f32_e32 v25, v24
	s_waitcnt lgkmcnt(0)
	v_dual_sub_f32 v5, v5, v22 :: v_dual_sub_f32 v4, v4, v21
	s_waitcnt_depctr 0xfff
	v_fma_f32 v26, -v24, v25, 1.0
	v_mul_f32_e32 v21, v7, v5
	v_mul_f32_e64 v7, v7, -v4
	s_delay_alu instid0(VALU_DEP_3) | instskip(NEXT) | instid1(VALU_DEP_1)
	v_fmac_f32_e32 v25, v26, v25
	v_dual_fmac_f32 v21, v4, v6 :: v_dual_mul_f32 v26, v27, v25
	s_delay_alu instid0(VALU_DEP_1) | instskip(NEXT) | instid1(VALU_DEP_1)
	v_fma_f32 v28, -v24, v26, v27
	v_fmac_f32_e32 v26, v28, v25
	s_delay_alu instid0(VALU_DEP_1) | instskip(NEXT) | instid1(VALU_DEP_1)
	v_fma_f32 v22, -v24, v26, v27
	v_div_fmas_f32 v22, v22, v25, v26
	s_delay_alu instid0(VALU_DEP_1) | instskip(NEXT) | instid1(VALU_DEP_1)
	v_div_fixup_f32 v22, v22, v23, 1.0
	v_dual_fmac_f32 v7, v5, v6 :: v_dual_mul_f32 v4, v22, v21
	s_delay_alu instid0(VALU_DEP_1)
	v_mul_f32_e32 v5, v22, v7
	ds_store_b64 v15, v[4:5]
	s_waitcnt lgkmcnt(0)
	s_waitcnt_vscnt null, 0x0
	buffer_gl0_inv
	ds_load_b64 v[6:7], v20
	ds_load_b64 v[21:22], v12
	s_waitcnt lgkmcnt(0)
	v_fma_f32 v21, v4, v6, v21
	v_fmac_f32_e32 v22, v5, v6
	s_delay_alu instid0(VALU_DEP_2) | instskip(NEXT) | instid1(VALU_DEP_2)
	v_fmac_f32_e32 v21, v5, v7
	v_fma_f32 v22, v4, -v7, v22
	ds_store_b64 v12, v[21:22]
	s_waitcnt lgkmcnt(0)
	buffer_gl0_inv
	ds_load_b64 v[6:7], v0 offset:64
	ds_load_b64 v[4:5], v15 offset:8
	s_waitcnt lgkmcnt(1)
	v_cmp_neq_f32_e32 vcc_lo, 0, v6
	v_cmp_neq_f32_e64 s1, 0, v7
	s_delay_alu instid0(VALU_DEP_1) | instskip(SKIP_2) | instid1(SALU_CYCLE_1)
	s_or_b32 vcc_lo, vcc_lo, s1
	v_dual_cndmask_b32 v6, 1.0, v6 :: v_dual_cndmask_b32 v7, 0, v7
	s_or_b32 s1, vcc_lo, s0
	s_xor_b32 s20, s1, -1
	s_delay_alu instid0(SALU_CYCLE_1)
	s_and_saveexec_b32 s1, s20
	s_cbranch_execz .LBB45_39
; %bb.36:                               ;   in Loop: Header=BB45_9 Depth=1
	v_mbcnt_lo_u32_b32 v6, exec_lo, 0
	s_mov_b32 s20, exec_lo
	s_delay_alu instid0(VALU_DEP_1)
	v_cmpx_eq_u32_e32 0, v6
	s_cbranch_execz .LBB45_38
; %bb.37:                               ;   in Loop: Header=BB45_9 Depth=1
	v_mov_b32_e32 v6, s3
	global_atomic_min_i32 v0, v6, s[10:11]
.LBB45_38:                              ;   in Loop: Header=BB45_9 Depth=1
	s_or_b32 exec_lo, exec_lo, s20
	v_dual_mov_b32 v6, 1.0 :: v_dual_mov_b32 v7, 0
.LBB45_39:                              ;   in Loop: Header=BB45_9 Depth=1
	s_or_b32 exec_lo, exec_lo, s1
	ds_load_b64 v[21:22], v15
	ds_load_b64 v[23:24], v0 offset:56
	ds_load_b64 v[25:26], v16 offset:8
	v_mul_f32_e32 v27, v7, v7
	s_delay_alu instid0(VALU_DEP_1) | instskip(NEXT) | instid1(VALU_DEP_1)
	v_fmac_f32_e32 v27, v6, v6
	v_div_scale_f32 v28, null, v27, v27, 1.0
	v_div_scale_f32 v31, vcc_lo, 1.0, v27, 1.0
	s_delay_alu instid0(VALU_DEP_2) | instskip(SKIP_3) | instid1(VALU_DEP_2)
	v_rcp_f32_e32 v29, v28
	s_waitcnt lgkmcnt(0)
	v_fma_f32 v26, v24, v21, v26
	v_fmac_f32_e32 v25, v23, v21
	v_fma_f32 v21, v23, -v22, v26
	s_waitcnt_depctr 0xfff
	v_fma_f32 v30, -v28, v29, 1.0
	v_sub_f32_e32 v5, v5, v21
	s_delay_alu instid0(VALU_DEP_1) | instskip(NEXT) | instid1(VALU_DEP_1)
	v_dual_fmac_f32 v25, v24, v22 :: v_dual_mul_f32 v22, v7, v5
	v_sub_f32_e32 v4, v4, v25
	s_delay_alu instid0(VALU_DEP_1) | instskip(NEXT) | instid1(VALU_DEP_1)
	v_mul_f32_e64 v7, v7, -v4
	v_fmac_f32_e32 v7, v5, v6
	s_delay_alu instid0(VALU_DEP_4) | instskip(NEXT) | instid1(VALU_DEP_1)
	v_dual_fmac_f32 v29, v30, v29 :: v_dual_fmac_f32 v22, v4, v6
	v_mul_f32_e32 v30, v31, v29
	s_delay_alu instid0(VALU_DEP_1) | instskip(NEXT) | instid1(VALU_DEP_1)
	v_fma_f32 v32, -v28, v30, v31
	v_fmac_f32_e32 v30, v32, v29
	s_delay_alu instid0(VALU_DEP_1) | instskip(NEXT) | instid1(VALU_DEP_1)
	v_fma_f32 v21, -v28, v30, v31
	v_div_fmas_f32 v21, v21, v29, v30
	s_delay_alu instid0(VALU_DEP_1) | instskip(NEXT) | instid1(VALU_DEP_1)
	v_div_fixup_f32 v21, v21, v27, 1.0
	v_mul_f32_e32 v4, v21, v22
	v_mul_f32_e32 v5, v21, v7
	ds_store_b64 v15, v[4:5] offset:8
	s_waitcnt lgkmcnt(0)
	s_waitcnt_vscnt null, 0x0
	buffer_gl0_inv
	ds_load_b64 v[6:7], v20 offset:8
	ds_load_b64 v[21:22], v12
	s_waitcnt lgkmcnt(0)
	v_fma_f32 v21, v4, v6, v21
	v_fmac_f32_e32 v22, v5, v6
	s_delay_alu instid0(VALU_DEP_2) | instskip(NEXT) | instid1(VALU_DEP_2)
	v_fmac_f32_e32 v21, v5, v7
	v_fma_f32 v22, v4, -v7, v22
	ds_store_b64 v12, v[21:22]
	s_waitcnt lgkmcnt(0)
	buffer_gl0_inv
	ds_load_b64 v[6:7], v0 offset:128
	ds_load_b64 v[4:5], v15 offset:16
	s_waitcnt lgkmcnt(1)
	v_cmp_neq_f32_e32 vcc_lo, 0, v6
	v_cmp_neq_f32_e64 s1, 0, v7
	s_delay_alu instid0(VALU_DEP_1) | instskip(SKIP_2) | instid1(SALU_CYCLE_1)
	s_or_b32 vcc_lo, vcc_lo, s1
	v_dual_cndmask_b32 v7, 0, v7 :: v_dual_cndmask_b32 v6, 1.0, v6
	s_or_b32 s1, vcc_lo, s0
	s_xor_b32 s20, s1, -1
	s_delay_alu instid0(SALU_CYCLE_1)
	s_and_saveexec_b32 s1, s20
	s_cbranch_execz .LBB45_43
; %bb.40:                               ;   in Loop: Header=BB45_9 Depth=1
	v_mbcnt_lo_u32_b32 v6, exec_lo, 0
	s_mov_b32 s20, exec_lo
	s_delay_alu instid0(VALU_DEP_1)
	v_cmpx_eq_u32_e32 0, v6
	s_cbranch_execz .LBB45_42
; %bb.41:                               ;   in Loop: Header=BB45_9 Depth=1
	v_mov_b32_e32 v6, s3
	global_atomic_min_i32 v0, v6, s[10:11]
.LBB45_42:                              ;   in Loop: Header=BB45_9 Depth=1
	s_or_b32 exec_lo, exec_lo, s20
	v_dual_mov_b32 v6, 1.0 :: v_dual_mov_b32 v7, 0
.LBB45_43:                              ;   in Loop: Header=BB45_9 Depth=1
	s_or_b32 exec_lo, exec_lo, s1
	ds_load_b128 v[21:24], v0 offset:112
	ds_load_2addr_b64 v[25:28], v15 offset1:1
	ds_load_b64 v[29:30], v16 offset:16
	s_waitcnt lgkmcnt(0)
	v_fma_f32 v30, v22, v25, v30
	v_fmac_f32_e32 v29, v21, v25
	s_delay_alu instid0(VALU_DEP_2) | instskip(NEXT) | instid1(VALU_DEP_2)
	v_fma_f32 v21, v21, -v26, v30
	v_fmac_f32_e32 v29, v22, v26
	s_delay_alu instid0(VALU_DEP_2) | instskip(NEXT) | instid1(VALU_DEP_2)
	v_fmac_f32_e32 v21, v24, v27
	v_fmac_f32_e32 v29, v23, v27
	s_delay_alu instid0(VALU_DEP_2) | instskip(NEXT) | instid1(VALU_DEP_2)
	v_fma_f32 v21, v23, -v28, v21
	v_fmac_f32_e32 v29, v24, v28
	v_mul_f32_e32 v31, v7, v7
	s_delay_alu instid0(VALU_DEP_3) | instskip(NEXT) | instid1(VALU_DEP_2)
	v_sub_f32_e32 v5, v5, v21
	v_dual_sub_f32 v4, v4, v29 :: v_dual_fmac_f32 v31, v6, v6
	s_delay_alu instid0(VALU_DEP_1) | instskip(SKIP_1) | instid1(VALU_DEP_2)
	v_div_scale_f32 v32, null, v31, v31, 1.0
	v_div_scale_f32 v35, vcc_lo, 1.0, v31, 1.0
	v_rcp_f32_e32 v33, v32
	s_waitcnt_depctr 0xfff
	v_fma_f32 v34, -v32, v33, 1.0
	s_delay_alu instid0(VALU_DEP_1) | instskip(NEXT) | instid1(VALU_DEP_1)
	v_fmac_f32_e32 v33, v34, v33
	v_mul_f32_e32 v25, v35, v33
	s_delay_alu instid0(VALU_DEP_1) | instskip(NEXT) | instid1(VALU_DEP_1)
	v_fma_f32 v22, -v32, v25, v35
	v_fmac_f32_e32 v25, v22, v33
	v_mul_f32_e32 v22, v7, v5
	v_mul_f32_e64 v7, v7, -v4
	s_delay_alu instid0(VALU_DEP_3) | instskip(NEXT) | instid1(VALU_DEP_3)
	v_fma_f32 v21, -v32, v25, v35
	v_fmac_f32_e32 v22, v4, v6
	s_delay_alu instid0(VALU_DEP_3) | instskip(NEXT) | instid1(VALU_DEP_3)
	v_fmac_f32_e32 v7, v5, v6
	v_div_fmas_f32 v21, v21, v33, v25
	s_delay_alu instid0(VALU_DEP_1) | instskip(NEXT) | instid1(VALU_DEP_1)
	v_div_fixup_f32 v21, v21, v31, 1.0
	v_mul_f32_e32 v4, v21, v22
	s_delay_alu instid0(VALU_DEP_4)
	v_mul_f32_e32 v5, v21, v7
	ds_store_b64 v15, v[4:5] offset:16
	s_waitcnt lgkmcnt(0)
	s_waitcnt_vscnt null, 0x0
	buffer_gl0_inv
	ds_load_b64 v[6:7], v20 offset:16
	ds_load_b64 v[21:22], v12
	s_waitcnt lgkmcnt(0)
	v_fma_f32 v21, v4, v6, v21
	v_fmac_f32_e32 v22, v5, v6
	s_delay_alu instid0(VALU_DEP_2) | instskip(NEXT) | instid1(VALU_DEP_2)
	v_fmac_f32_e32 v21, v5, v7
	v_fma_f32 v22, v4, -v7, v22
	ds_store_b64 v12, v[21:22]
	s_waitcnt lgkmcnt(0)
	buffer_gl0_inv
	ds_load_b64 v[6:7], v0 offset:192
	ds_load_b64 v[4:5], v15 offset:24
	s_waitcnt lgkmcnt(1)
	v_cmp_neq_f32_e32 vcc_lo, 0, v6
	v_cmp_neq_f32_e64 s1, 0, v7
	s_delay_alu instid0(VALU_DEP_1) | instskip(SKIP_2) | instid1(SALU_CYCLE_1)
	s_or_b32 vcc_lo, vcc_lo, s1
	v_dual_cndmask_b32 v6, 1.0, v6 :: v_dual_cndmask_b32 v7, 0, v7
	s_or_b32 s1, vcc_lo, s0
	s_xor_b32 s20, s1, -1
	s_delay_alu instid0(SALU_CYCLE_1)
	s_and_saveexec_b32 s1, s20
	s_cbranch_execz .LBB45_47
; %bb.44:                               ;   in Loop: Header=BB45_9 Depth=1
	v_mbcnt_lo_u32_b32 v6, exec_lo, 0
	s_mov_b32 s20, exec_lo
	s_delay_alu instid0(VALU_DEP_1)
	v_cmpx_eq_u32_e32 0, v6
	s_cbranch_execz .LBB45_46
; %bb.45:                               ;   in Loop: Header=BB45_9 Depth=1
	v_mov_b32_e32 v6, s3
	global_atomic_min_i32 v0, v6, s[10:11]
.LBB45_46:                              ;   in Loop: Header=BB45_9 Depth=1
	s_or_b32 exec_lo, exec_lo, s20
	v_dual_mov_b32 v6, 1.0 :: v_dual_mov_b32 v7, 0
.LBB45_47:                              ;   in Loop: Header=BB45_9 Depth=1
	s_or_b32 exec_lo, exec_lo, s1
	ds_load_2addr_b64 v[21:24], v15 offset1:1
	ds_load_2addr_b64 v[25:28], v0 offset0:21 offset1:22
	ds_load_b64 v[29:30], v16 offset:24
	ds_load_b64 v[31:32], v15 offset:16
	;; [unrolled: 1-line block ×3, first 2 shown]
	s_waitcnt lgkmcnt(2)
	v_fma_f32 v30, v26, v21, v30
	v_fmac_f32_e32 v29, v25, v21
	s_delay_alu instid0(VALU_DEP_2) | instskip(NEXT) | instid1(VALU_DEP_2)
	v_fma_f32 v25, v25, -v22, v30
	v_fmac_f32_e32 v29, v26, v22
	s_delay_alu instid0(VALU_DEP_2) | instskip(NEXT) | instid1(VALU_DEP_2)
	v_fmac_f32_e32 v25, v28, v23
	v_fmac_f32_e32 v29, v27, v23
	s_delay_alu instid0(VALU_DEP_2) | instskip(NEXT) | instid1(VALU_DEP_2)
	v_fma_f32 v23, v27, -v24, v25
	v_fmac_f32_e32 v29, v28, v24
	s_waitcnt lgkmcnt(0)
	s_delay_alu instid0(VALU_DEP_2) | instskip(NEXT) | instid1(VALU_DEP_2)
	v_fmac_f32_e32 v23, v34, v31
	v_fmac_f32_e32 v29, v33, v31
	s_delay_alu instid0(VALU_DEP_2) | instskip(NEXT) | instid1(VALU_DEP_2)
	v_fma_f32 v23, v33, -v32, v23
	v_fmac_f32_e32 v29, v34, v32
	v_mul_f32_e32 v35, v7, v7
	s_delay_alu instid0(VALU_DEP_2) | instskip(NEXT) | instid1(VALU_DEP_2)
	v_dual_sub_f32 v5, v5, v23 :: v_dual_sub_f32 v4, v4, v29
	v_fmac_f32_e32 v35, v6, v6
	s_delay_alu instid0(VALU_DEP_1) | instskip(SKIP_1) | instid1(VALU_DEP_2)
	v_div_scale_f32 v36, null, v35, v35, 1.0
	v_div_scale_f32 v22, vcc_lo, 1.0, v35, 1.0
	v_rcp_f32_e32 v37, v36
	s_waitcnt_depctr 0xfff
	v_fma_f32 v21, -v36, v37, 1.0
	s_delay_alu instid0(VALU_DEP_1) | instskip(NEXT) | instid1(VALU_DEP_1)
	v_fmac_f32_e32 v37, v21, v37
	v_mul_f32_e32 v21, v22, v37
	s_delay_alu instid0(VALU_DEP_1) | instskip(NEXT) | instid1(VALU_DEP_1)
	v_fma_f32 v24, -v36, v21, v22
	v_fmac_f32_e32 v21, v24, v37
	s_delay_alu instid0(VALU_DEP_1) | instskip(NEXT) | instid1(VALU_DEP_1)
	v_fma_f32 v22, -v36, v21, v22
	v_div_fmas_f32 v21, v22, v37, v21
	v_mul_f32_e32 v22, v7, v5
	v_mul_f32_e64 v7, v7, -v4
	s_delay_alu instid0(VALU_DEP_3) | instskip(NEXT) | instid1(VALU_DEP_3)
	v_div_fixup_f32 v21, v21, v35, 1.0
	v_fmac_f32_e32 v22, v4, v6
	s_delay_alu instid0(VALU_DEP_3) | instskip(NEXT) | instid1(VALU_DEP_2)
	v_fmac_f32_e32 v7, v5, v6
	v_mul_f32_e32 v4, v21, v22
	s_delay_alu instid0(VALU_DEP_2)
	v_mul_f32_e32 v5, v21, v7
	ds_store_b64 v15, v[4:5] offset:24
	s_waitcnt lgkmcnt(0)
	s_waitcnt_vscnt null, 0x0
	buffer_gl0_inv
	ds_load_b64 v[6:7], v20 offset:24
	ds_load_b64 v[21:22], v12
	s_waitcnt lgkmcnt(0)
	v_fma_f32 v21, v4, v6, v21
	v_fmac_f32_e32 v22, v5, v6
	s_delay_alu instid0(VALU_DEP_2) | instskip(NEXT) | instid1(VALU_DEP_2)
	v_fmac_f32_e32 v21, v5, v7
	v_fma_f32 v22, v4, -v7, v22
	ds_store_b64 v12, v[21:22]
	s_waitcnt lgkmcnt(0)
	buffer_gl0_inv
	ds_load_b64 v[6:7], v0 offset:256
	ds_load_b64 v[4:5], v15 offset:32
	s_waitcnt lgkmcnt(1)
	v_cmp_neq_f32_e32 vcc_lo, 0, v6
	v_cmp_neq_f32_e64 s1, 0, v7
	s_delay_alu instid0(VALU_DEP_1) | instskip(SKIP_2) | instid1(SALU_CYCLE_1)
	s_or_b32 vcc_lo, vcc_lo, s1
	v_dual_cndmask_b32 v6, 1.0, v6 :: v_dual_cndmask_b32 v7, 0, v7
	s_or_b32 s1, vcc_lo, s0
	s_xor_b32 s20, s1, -1
	s_delay_alu instid0(SALU_CYCLE_1)
	s_and_saveexec_b32 s1, s20
	s_cbranch_execz .LBB45_51
; %bb.48:                               ;   in Loop: Header=BB45_9 Depth=1
	v_mbcnt_lo_u32_b32 v6, exec_lo, 0
	s_mov_b32 s20, exec_lo
	s_delay_alu instid0(VALU_DEP_1)
	v_cmpx_eq_u32_e32 0, v6
	s_cbranch_execz .LBB45_50
; %bb.49:                               ;   in Loop: Header=BB45_9 Depth=1
	v_mov_b32_e32 v6, s3
	global_atomic_min_i32 v0, v6, s[10:11]
.LBB45_50:                              ;   in Loop: Header=BB45_9 Depth=1
	s_or_b32 exec_lo, exec_lo, s20
	v_dual_mov_b32 v6, 1.0 :: v_dual_mov_b32 v7, 0
.LBB45_51:                              ;   in Loop: Header=BB45_9 Depth=1
	s_or_b32 exec_lo, exec_lo, s1
	ds_load_2addr_b64 v[21:24], v15 offset1:1
	ds_load_b128 v[25:28], v0 offset:224
	ds_load_b64 v[37:38], v16 offset:32
	v_mul_f32_e32 v39, v7, v7
	ds_load_2addr_b64 v[29:32], v15 offset0:2 offset1:3
	ds_load_b128 v[33:36], v0 offset:240
	v_fmac_f32_e32 v39, v6, v6
	s_delay_alu instid0(VALU_DEP_1) | instskip(SKIP_3) | instid1(VALU_DEP_3)
	v_div_scale_f32 v40, null, v39, v39, 1.0
	s_waitcnt lgkmcnt(2)
	v_fma_f32 v38, v26, v21, v38
	v_fmac_f32_e32 v37, v25, v21
	v_rcp_f32_e32 v21, v40
	s_delay_alu instid0(VALU_DEP_2) | instskip(NEXT) | instid1(VALU_DEP_2)
	v_fma_f32 v25, v25, -v22, v38
	v_fmac_f32_e32 v37, v26, v22
	s_delay_alu instid0(VALU_DEP_2) | instskip(NEXT) | instid1(VALU_DEP_2)
	v_fmac_f32_e32 v25, v28, v23
	v_fmac_f32_e32 v37, v27, v23
	s_waitcnt_depctr 0xfff
	v_fma_f32 v22, -v40, v21, 1.0
	v_fma_f32 v23, v27, -v24, v25
	v_fmac_f32_e32 v37, v28, v24
	v_div_scale_f32 v24, vcc_lo, 1.0, v39, 1.0
	s_delay_alu instid0(VALU_DEP_4) | instskip(SKIP_3) | instid1(VALU_DEP_3)
	v_fmac_f32_e32 v21, v22, v21
	s_waitcnt lgkmcnt(0)
	v_fmac_f32_e32 v23, v34, v29
	v_fmac_f32_e32 v37, v33, v29
	v_mul_f32_e32 v22, v24, v21
	s_delay_alu instid0(VALU_DEP_3) | instskip(NEXT) | instid1(VALU_DEP_3)
	v_fma_f32 v23, v33, -v30, v23
	v_fmac_f32_e32 v37, v34, v30
	s_delay_alu instid0(VALU_DEP_3) | instskip(NEXT) | instid1(VALU_DEP_3)
	v_fma_f32 v25, -v40, v22, v24
	v_fmac_f32_e32 v23, v36, v31
	s_delay_alu instid0(VALU_DEP_2) | instskip(NEXT) | instid1(VALU_DEP_2)
	v_dual_fmac_f32 v37, v35, v31 :: v_dual_fmac_f32 v22, v25, v21
	v_fma_f32 v23, v35, -v32, v23
	s_delay_alu instid0(VALU_DEP_2) | instskip(NEXT) | instid1(VALU_DEP_3)
	v_fmac_f32_e32 v37, v36, v32
	v_fma_f32 v24, -v40, v22, v24
	s_delay_alu instid0(VALU_DEP_2) | instskip(NEXT) | instid1(VALU_DEP_2)
	v_dual_sub_f32 v5, v5, v23 :: v_dual_sub_f32 v4, v4, v37
	v_div_fmas_f32 v21, v24, v21, v22
	s_delay_alu instid0(VALU_DEP_2) | instskip(NEXT) | instid1(VALU_DEP_3)
	v_mul_f32_e32 v22, v7, v5
	v_mul_f32_e64 v7, v7, -v4
	s_delay_alu instid0(VALU_DEP_3) | instskip(NEXT) | instid1(VALU_DEP_3)
	v_div_fixup_f32 v21, v21, v39, 1.0
	v_fmac_f32_e32 v22, v4, v6
	s_delay_alu instid0(VALU_DEP_3) | instskip(NEXT) | instid1(VALU_DEP_2)
	v_fmac_f32_e32 v7, v5, v6
	v_mul_f32_e32 v4, v21, v22
	s_delay_alu instid0(VALU_DEP_2)
	v_mul_f32_e32 v5, v21, v7
	ds_store_b64 v15, v[4:5] offset:32
	s_waitcnt lgkmcnt(0)
	s_waitcnt_vscnt null, 0x0
	buffer_gl0_inv
	ds_load_b64 v[6:7], v20 offset:32
	ds_load_b64 v[21:22], v12
	s_waitcnt lgkmcnt(0)
	v_fma_f32 v21, v4, v6, v21
	v_fmac_f32_e32 v22, v5, v6
	s_delay_alu instid0(VALU_DEP_2) | instskip(NEXT) | instid1(VALU_DEP_2)
	v_fmac_f32_e32 v21, v5, v7
	v_fma_f32 v22, v4, -v7, v22
	ds_store_b64 v12, v[21:22]
	s_waitcnt lgkmcnt(0)
	buffer_gl0_inv
	ds_load_b64 v[6:7], v0 offset:320
	ds_load_b64 v[4:5], v15 offset:40
	s_waitcnt lgkmcnt(1)
	v_cmp_neq_f32_e32 vcc_lo, 0, v6
	v_cmp_neq_f32_e64 s1, 0, v7
	s_delay_alu instid0(VALU_DEP_1) | instskip(SKIP_2) | instid1(SALU_CYCLE_1)
	s_or_b32 vcc_lo, vcc_lo, s1
	v_dual_cndmask_b32 v6, 1.0, v6 :: v_dual_cndmask_b32 v7, 0, v7
	s_or_b32 s1, vcc_lo, s0
	s_xor_b32 s20, s1, -1
	s_delay_alu instid0(SALU_CYCLE_1)
	s_and_saveexec_b32 s1, s20
	s_cbranch_execz .LBB45_7
; %bb.52:                               ;   in Loop: Header=BB45_9 Depth=1
	v_mbcnt_lo_u32_b32 v6, exec_lo, 0
	s_mov_b32 s20, exec_lo
	s_delay_alu instid0(VALU_DEP_1)
	v_cmpx_eq_u32_e32 0, v6
	s_cbranch_execz .LBB45_6
; %bb.53:                               ;   in Loop: Header=BB45_9 Depth=1
	v_mov_b32_e32 v6, s3
	global_atomic_min_i32 v0, v6, s[10:11]
	s_branch .LBB45_6
.LBB45_54:
	v_mov_b32_e32 v0, v10
	s_cmp_lg_u32 s28, 0
	s_cselect_b32 s4, -1, 0
	s_cmp_eq_u32 s28, 0
	s_cbranch_scc1 .LBB45_56
; %bb.55:
	v_mad_u32_u24 v0, v8, 6, v9
.LBB45_56:
	s_mul_i32 s3, s26, 36
	v_cmp_ne_u32_e64 s1, 0, v9
	s_delay_alu instid0(VALU_DEP_2) | instskip(SKIP_1) | instid1(VALU_DEP_1)
	v_add_nc_u32_e32 v0, s3, v0
	s_mov_b32 s2, exec_lo
	v_ashrrev_i32_e32 v1, 31, v0
	s_delay_alu instid0(VALU_DEP_1) | instskip(NEXT) | instid1(VALU_DEP_1)
	v_lshlrev_b64 v[0:1], 3, v[0:1]
	v_add_co_u32 v0, vcc_lo, s18, v0
	s_delay_alu instid0(VALU_DEP_2)
	v_add_co_ci_u32_e32 v1, vcc_lo, s19, v1, vcc_lo
	global_load_b64 v[0:1], v[0:1], off
	s_waitcnt vmcnt(0)
	ds_store_b64 v13, v[0:1] offset:672
	s_waitcnt lgkmcnt(0)
	buffer_gl0_inv
	v_cmpx_eq_u32_e32 0, v9
	s_cbranch_execz .LBB45_65
; %bb.57:
	v_mov_b32_e32 v2, 0
	ds_load_2addr_b64 v[3:6], v2 offset0:84 offset1:126
	s_waitcnt lgkmcnt(0)
	v_dual_sub_f32 v0, v3, v5 :: v_dual_sub_f32 v3, v4, v6
	s_delay_alu instid0(VALU_DEP_1) | instskip(SKIP_1) | instid1(VALU_DEP_3)
	v_cmp_gt_f32_e32 vcc_lo, 0, v0
	v_cndmask_b32_e64 v0, v0, -v0, vcc_lo
	v_cmp_gt_f32_e32 vcc_lo, 0, v3
	v_cndmask_b32_e64 v1, v3, -v3, vcc_lo
	s_delay_alu instid0(VALU_DEP_1)
	v_cmp_ngt_f32_e32 vcc_lo, v0, v1
	s_cbranch_vccz .LBB45_61
; %bb.58:
	v_cmp_eq_f32_e32 vcc_lo, 0, v3
	s_mov_b32 s5, 0
	s_cbranch_vccnz .LBB45_62
; %bb.59:
	v_div_scale_f32 v2, null, v1, v1, v0
	v_div_scale_f32 v5, vcc_lo, v0, v1, v0
	s_delay_alu instid0(VALU_DEP_2) | instskip(SKIP_2) | instid1(VALU_DEP_1)
	v_rcp_f32_e32 v3, v2
	s_waitcnt_depctr 0xfff
	v_fma_f32 v4, -v2, v3, 1.0
	v_fmac_f32_e32 v3, v4, v3
	s_delay_alu instid0(VALU_DEP_1) | instskip(NEXT) | instid1(VALU_DEP_1)
	v_mul_f32_e32 v4, v5, v3
	v_fma_f32 v6, -v2, v4, v5
	s_delay_alu instid0(VALU_DEP_1) | instskip(NEXT) | instid1(VALU_DEP_1)
	v_fmac_f32_e32 v4, v6, v3
	v_fma_f32 v2, -v2, v4, v5
	s_delay_alu instid0(VALU_DEP_1) | instskip(NEXT) | instid1(VALU_DEP_1)
	v_div_fmas_f32 v2, v2, v3, v4
	v_div_fixup_f32 v2, v2, v1, v0
	s_delay_alu instid0(VALU_DEP_1) | instskip(NEXT) | instid1(VALU_DEP_1)
	v_fma_f32 v2, v2, v2, 1.0
	v_mul_f32_e32 v3, 0x4f800000, v2
	v_cmp_gt_f32_e32 vcc_lo, 0xf800000, v2
	s_delay_alu instid0(VALU_DEP_2) | instskip(NEXT) | instid1(VALU_DEP_1)
	v_cndmask_b32_e32 v2, v2, v3, vcc_lo
	v_sqrt_f32_e32 v3, v2
	s_waitcnt_depctr 0xfff
	v_add_nc_u32_e32 v4, -1, v3
	v_add_nc_u32_e32 v5, 1, v3
	s_delay_alu instid0(VALU_DEP_2) | instskip(NEXT) | instid1(VALU_DEP_2)
	v_fma_f32 v6, -v4, v3, v2
	v_fma_f32 v7, -v5, v3, v2
	s_delay_alu instid0(VALU_DEP_2) | instskip(NEXT) | instid1(VALU_DEP_1)
	v_cmp_ge_f32_e64 s0, 0, v6
	v_cndmask_b32_e64 v3, v3, v4, s0
	s_delay_alu instid0(VALU_DEP_3) | instskip(NEXT) | instid1(VALU_DEP_1)
	v_cmp_lt_f32_e64 s0, 0, v7
	v_cndmask_b32_e64 v3, v3, v5, s0
	s_delay_alu instid0(VALU_DEP_1) | instskip(NEXT) | instid1(VALU_DEP_1)
	v_mul_f32_e32 v4, 0x37800000, v3
	v_cndmask_b32_e32 v3, v3, v4, vcc_lo
	v_cmp_class_f32_e64 vcc_lo, v2, 0x260
	s_delay_alu instid0(VALU_DEP_2) | instskip(NEXT) | instid1(VALU_DEP_1)
	v_cndmask_b32_e32 v2, v3, v2, vcc_lo
	v_mul_f32_e32 v2, v1, v2
	s_branch .LBB45_62
.LBB45_60:
	s_cbranch_execnz .LBB45_144
	s_branch .LBB45_149
.LBB45_61:
	s_mov_b32 s5, -1
                                        ; implicit-def: $vgpr2
.LBB45_62:
	s_delay_alu instid0(SALU_CYCLE_1)
	s_and_not1_b32 vcc_lo, exec_lo, s5
	s_cbranch_vccnz .LBB45_64
; %bb.63:
	v_div_scale_f32 v2, null, v0, v0, v1
	v_div_scale_f32 v5, vcc_lo, v1, v0, v1
	s_delay_alu instid0(VALU_DEP_2) | instskip(SKIP_2) | instid1(VALU_DEP_1)
	v_rcp_f32_e32 v3, v2
	s_waitcnt_depctr 0xfff
	v_fma_f32 v4, -v2, v3, 1.0
	v_fmac_f32_e32 v3, v4, v3
	s_delay_alu instid0(VALU_DEP_1) | instskip(NEXT) | instid1(VALU_DEP_1)
	v_mul_f32_e32 v4, v5, v3
	v_fma_f32 v6, -v2, v4, v5
	s_delay_alu instid0(VALU_DEP_1) | instskip(NEXT) | instid1(VALU_DEP_1)
	v_fmac_f32_e32 v4, v6, v3
	v_fma_f32 v2, -v2, v4, v5
	s_delay_alu instid0(VALU_DEP_1) | instskip(NEXT) | instid1(VALU_DEP_1)
	v_div_fmas_f32 v2, v2, v3, v4
	v_div_fixup_f32 v1, v2, v0, v1
	s_delay_alu instid0(VALU_DEP_1) | instskip(NEXT) | instid1(VALU_DEP_1)
	v_fma_f32 v1, v1, v1, 1.0
	v_mul_f32_e32 v2, 0x4f800000, v1
	v_cmp_gt_f32_e32 vcc_lo, 0xf800000, v1
	s_delay_alu instid0(VALU_DEP_2) | instskip(NEXT) | instid1(VALU_DEP_1)
	v_cndmask_b32_e32 v1, v1, v2, vcc_lo
	v_sqrt_f32_e32 v2, v1
	s_waitcnt_depctr 0xfff
	v_add_nc_u32_e32 v3, -1, v2
	v_add_nc_u32_e32 v4, 1, v2
	s_delay_alu instid0(VALU_DEP_2) | instskip(NEXT) | instid1(VALU_DEP_2)
	v_fma_f32 v5, -v3, v2, v1
	v_fma_f32 v6, -v4, v2, v1
	s_delay_alu instid0(VALU_DEP_2) | instskip(NEXT) | instid1(VALU_DEP_1)
	v_cmp_ge_f32_e64 s0, 0, v5
	v_cndmask_b32_e64 v2, v2, v3, s0
	s_delay_alu instid0(VALU_DEP_3) | instskip(NEXT) | instid1(VALU_DEP_1)
	v_cmp_lt_f32_e64 s0, 0, v6
	v_cndmask_b32_e64 v2, v2, v4, s0
	s_delay_alu instid0(VALU_DEP_1) | instskip(NEXT) | instid1(VALU_DEP_1)
	v_mul_f32_e32 v3, 0x37800000, v2
	v_cndmask_b32_e32 v2, v2, v3, vcc_lo
	v_cmp_class_f32_e64 vcc_lo, v1, 0x260
	s_delay_alu instid0(VALU_DEP_2) | instskip(NEXT) | instid1(VALU_DEP_1)
	v_cndmask_b32_e32 v1, v2, v1, vcc_lo
	v_mul_f32_e32 v2, v0, v1
.LBB45_64:
	s_delay_alu instid0(VALU_DEP_1) | instskip(SKIP_1) | instid1(VALU_DEP_2)
	v_mul_f32_e32 v0, 0x4f800000, v2
	v_cmp_gt_f32_e32 vcc_lo, 0xf800000, v2
	v_cndmask_b32_e32 v0, v2, v0, vcc_lo
	s_delay_alu instid0(VALU_DEP_1) | instskip(SKIP_3) | instid1(VALU_DEP_2)
	v_sqrt_f32_e32 v1, v0
	s_waitcnt_depctr 0xfff
	v_add_nc_u32_e32 v2, -1, v1
	v_add_nc_u32_e32 v3, 1, v1
	v_fma_f32 v4, -v2, v1, v0
	s_delay_alu instid0(VALU_DEP_2) | instskip(NEXT) | instid1(VALU_DEP_2)
	v_fma_f32 v5, -v3, v1, v0
	v_cmp_ge_f32_e64 s0, 0, v4
	s_delay_alu instid0(VALU_DEP_1) | instskip(NEXT) | instid1(VALU_DEP_3)
	v_cndmask_b32_e64 v1, v1, v2, s0
	v_cmp_lt_f32_e64 s0, 0, v5
	s_delay_alu instid0(VALU_DEP_1) | instskip(NEXT) | instid1(VALU_DEP_1)
	v_cndmask_b32_e64 v1, v1, v3, s0
	v_mul_f32_e32 v2, 0x37800000, v1
	s_delay_alu instid0(VALU_DEP_1) | instskip(SKIP_1) | instid1(VALU_DEP_2)
	v_cndmask_b32_e32 v1, v1, v2, vcc_lo
	v_cmp_class_f32_e64 vcc_lo, v0, 0x260
	v_dual_cndmask_b32 v0, v1, v0 :: v_dual_mov_b32 v1, 0
	ds_store_b64 v1, v[0:1] offset:672
.LBB45_65:
	s_or_b32 exec_lo, exec_lo, s2
	v_dual_mov_b32 v1, 0 :: v_dual_add_nc_u32 v0, 0x2a0, v13
	s_waitcnt lgkmcnt(0)
	buffer_gl0_inv
	ds_load_b64 v[2:3], v1 offset:672
	v_or_b32_e32 v1, v8, v9
	s_delay_alu instid0(VALU_DEP_1) | instskip(SKIP_3) | instid1(VALU_DEP_1)
	v_cmp_ne_u32_e64 s0, 0, v1
	s_waitcnt lgkmcnt(0)
	v_cmp_neq_f32_e32 vcc_lo, 0, v2
	v_cmp_neq_f32_e64 s2, 0, v3
	s_or_b32 vcc_lo, vcc_lo, s2
	s_add_i32 s2, s16, s17
	v_dual_cndmask_b32 v2, 1.0, v2 :: v_dual_cndmask_b32 v3, 0, v3
	s_or_b32 s5, vcc_lo, s0
	s_delay_alu instid0(SALU_CYCLE_1) | instskip(NEXT) | instid1(SALU_CYCLE_1)
	s_xor_b32 s12, s5, -1
	s_and_saveexec_b32 s5, s12
	s_cbranch_execz .LBB45_69
; %bb.66:
	v_mbcnt_lo_u32_b32 v2, exec_lo, 0
	s_mov_b32 s12, exec_lo
	s_delay_alu instid0(VALU_DEP_1)
	v_cmpx_eq_u32_e32 0, v2
	s_cbranch_execz .LBB45_68
; %bb.67:
	v_dual_mov_b32 v2, 0 :: v_dual_mov_b32 v3, s2
	global_atomic_min_i32 v2, v3, s[10:11]
.LBB45_68:
	s_or_b32 exec_lo, exec_lo, s12
	v_dual_mov_b32 v2, 1.0 :: v_dual_mov_b32 v3, 0
.LBB45_69:
	s_or_b32 exec_lo, exec_lo, s5
	s_and_saveexec_b32 s5, s1
	s_cbranch_execz .LBB45_71
; %bb.70:
	v_mul_u32_u24_e32 v16, 56, v9
	ds_load_2addr_b64 v[4:7], v16 offset0:84 offset1:126
	s_waitcnt lgkmcnt(0)
	v_dual_mul_f32 v13, v3, v3 :: v_dual_sub_f32 v4, v4, v6
	v_sub_f32_e32 v5, v5, v7
	s_delay_alu instid0(VALU_DEP_1) | instskip(NEXT) | instid1(VALU_DEP_1)
	v_dual_fmac_f32 v13, v2, v2 :: v_dual_mul_f32 v6, v3, v5
	v_div_scale_f32 v14, null, v13, v13, 1.0
	v_div_scale_f32 v18, vcc_lo, 1.0, v13, 1.0
	v_mul_f32_e64 v3, v3, -v4
	s_delay_alu instid0(VALU_DEP_3) | instskip(SKIP_1) | instid1(VALU_DEP_2)
	v_rcp_f32_e32 v15, v14
	v_fmac_f32_e32 v6, v4, v2
	v_fmac_f32_e32 v3, v5, v2
	s_waitcnt_depctr 0xfff
	v_fma_f32 v17, -v14, v15, 1.0
	s_delay_alu instid0(VALU_DEP_1) | instskip(NEXT) | instid1(VALU_DEP_1)
	v_fmac_f32_e32 v15, v17, v15
	v_mul_f32_e32 v17, v18, v15
	s_delay_alu instid0(VALU_DEP_1) | instskip(NEXT) | instid1(VALU_DEP_1)
	v_fma_f32 v19, -v14, v17, v18
	v_fmac_f32_e32 v17, v19, v15
	s_delay_alu instid0(VALU_DEP_1) | instskip(NEXT) | instid1(VALU_DEP_1)
	v_fma_f32 v7, -v14, v17, v18
	v_div_fmas_f32 v7, v7, v15, v17
	s_delay_alu instid0(VALU_DEP_1) | instskip(NEXT) | instid1(VALU_DEP_1)
	v_div_fixup_f32 v4, v7, v13, 1.0
	v_mul_f32_e32 v2, v4, v6
	v_mul_f32_e32 v3, v4, v3
	v_mul_u32_u24_e32 v4, 56, v8
	ds_store_b64 v16, v[2:3] offset:672
	s_waitcnt lgkmcnt(0)
	s_waitcnt_vscnt null, 0x0
	buffer_gl0_inv
	ds_load_b64 v[4:5], v4 offset:672
	ds_load_b64 v[6:7], v12
	s_waitcnt lgkmcnt(0)
	v_fma_f32 v6, v2, v4, v6
	v_fmac_f32_e32 v7, v3, v4
	s_delay_alu instid0(VALU_DEP_2) | instskip(NEXT) | instid1(VALU_DEP_2)
	v_fmac_f32_e32 v6, v3, v5
	v_fma_f32 v7, v2, -v5, v7
	ds_store_b64 v12, v[6:7]
.LBB45_71:
	s_or_b32 exec_lo, exec_lo, s5
	s_delay_alu instid0(SALU_CYCLE_1)
	s_mov_b32 s5, exec_lo
	s_waitcnt lgkmcnt(0)
	s_waitcnt_vscnt null, 0x0
	buffer_gl0_inv
	v_cmpx_eq_u32_e32 1, v9
	s_cbranch_execz .LBB45_79
; %bb.72:
	v_mov_b32_e32 v4, 0
	ds_load_2addr_b64 v[13:16], v4 offset0:92 offset1:134
	s_waitcnt lgkmcnt(0)
	v_dual_sub_f32 v5, v14, v16 :: v_dual_sub_f32 v2, v13, v15
	s_delay_alu instid0(VALU_DEP_1) | instskip(SKIP_1) | instid1(VALU_DEP_3)
	v_cmp_gt_f32_e32 vcc_lo, 0, v2
	v_cndmask_b32_e64 v2, v2, -v2, vcc_lo
	v_cmp_gt_f32_e32 vcc_lo, 0, v5
	v_cndmask_b32_e64 v3, v5, -v5, vcc_lo
	s_delay_alu instid0(VALU_DEP_1)
	v_cmp_gt_f32_e32 vcc_lo, v2, v3
	s_cbranch_vccnz .LBB45_76
; %bb.73:
	v_cmp_eq_f32_e32 vcc_lo, 0, v5
	s_cbranch_vccnz .LBB45_75
; %bb.74:
	v_div_scale_f32 v4, null, v3, v3, v2
	v_div_scale_f32 v7, vcc_lo, v2, v3, v2
	s_delay_alu instid0(VALU_DEP_2) | instskip(SKIP_2) | instid1(VALU_DEP_1)
	v_rcp_f32_e32 v5, v4
	s_waitcnt_depctr 0xfff
	v_fma_f32 v6, -v4, v5, 1.0
	v_fmac_f32_e32 v5, v6, v5
	s_delay_alu instid0(VALU_DEP_1) | instskip(NEXT) | instid1(VALU_DEP_1)
	v_mul_f32_e32 v6, v7, v5
	v_fma_f32 v13, -v4, v6, v7
	s_delay_alu instid0(VALU_DEP_1) | instskip(NEXT) | instid1(VALU_DEP_1)
	v_fmac_f32_e32 v6, v13, v5
	v_fma_f32 v4, -v4, v6, v7
	s_delay_alu instid0(VALU_DEP_1) | instskip(NEXT) | instid1(VALU_DEP_1)
	v_div_fmas_f32 v4, v4, v5, v6
	v_div_fixup_f32 v4, v4, v3, v2
	s_delay_alu instid0(VALU_DEP_1) | instskip(NEXT) | instid1(VALU_DEP_1)
	v_fma_f32 v4, v4, v4, 1.0
	v_mul_f32_e32 v5, 0x4f800000, v4
	v_cmp_gt_f32_e32 vcc_lo, 0xf800000, v4
	s_delay_alu instid0(VALU_DEP_2) | instskip(NEXT) | instid1(VALU_DEP_1)
	v_cndmask_b32_e32 v4, v4, v5, vcc_lo
	v_sqrt_f32_e32 v5, v4
	s_waitcnt_depctr 0xfff
	v_add_nc_u32_e32 v6, -1, v5
	v_add_nc_u32_e32 v7, 1, v5
	s_delay_alu instid0(VALU_DEP_2) | instskip(NEXT) | instid1(VALU_DEP_2)
	v_fma_f32 v13, -v6, v5, v4
	v_fma_f32 v14, -v7, v5, v4
	s_delay_alu instid0(VALU_DEP_2) | instskip(NEXT) | instid1(VALU_DEP_1)
	v_cmp_ge_f32_e64 s1, 0, v13
	v_cndmask_b32_e64 v5, v5, v6, s1
	s_delay_alu instid0(VALU_DEP_3) | instskip(NEXT) | instid1(VALU_DEP_1)
	v_cmp_lt_f32_e64 s1, 0, v14
	v_cndmask_b32_e64 v5, v5, v7, s1
	s_delay_alu instid0(VALU_DEP_1) | instskip(NEXT) | instid1(VALU_DEP_1)
	v_mul_f32_e32 v6, 0x37800000, v5
	v_cndmask_b32_e32 v5, v5, v6, vcc_lo
	v_cmp_class_f32_e64 vcc_lo, v4, 0x260
	s_delay_alu instid0(VALU_DEP_2) | instskip(NEXT) | instid1(VALU_DEP_1)
	v_cndmask_b32_e32 v4, v5, v4, vcc_lo
	v_mul_f32_e32 v4, v3, v4
.LBB45_75:
	s_cbranch_execz .LBB45_77
	s_branch .LBB45_78
.LBB45_76:
                                        ; implicit-def: $vgpr4
.LBB45_77:
	v_div_scale_f32 v4, null, v2, v2, v3
	v_div_scale_f32 v7, vcc_lo, v3, v2, v3
	s_delay_alu instid0(VALU_DEP_2) | instskip(SKIP_2) | instid1(VALU_DEP_1)
	v_rcp_f32_e32 v5, v4
	s_waitcnt_depctr 0xfff
	v_fma_f32 v6, -v4, v5, 1.0
	v_fmac_f32_e32 v5, v6, v5
	s_delay_alu instid0(VALU_DEP_1) | instskip(NEXT) | instid1(VALU_DEP_1)
	v_mul_f32_e32 v6, v7, v5
	v_fma_f32 v13, -v4, v6, v7
	s_delay_alu instid0(VALU_DEP_1) | instskip(NEXT) | instid1(VALU_DEP_1)
	v_fmac_f32_e32 v6, v13, v5
	v_fma_f32 v4, -v4, v6, v7
	s_delay_alu instid0(VALU_DEP_1) | instskip(NEXT) | instid1(VALU_DEP_1)
	v_div_fmas_f32 v4, v4, v5, v6
	v_div_fixup_f32 v3, v4, v2, v3
	s_delay_alu instid0(VALU_DEP_1) | instskip(NEXT) | instid1(VALU_DEP_1)
	v_fma_f32 v3, v3, v3, 1.0
	v_mul_f32_e32 v4, 0x4f800000, v3
	v_cmp_gt_f32_e32 vcc_lo, 0xf800000, v3
	s_delay_alu instid0(VALU_DEP_2) | instskip(NEXT) | instid1(VALU_DEP_1)
	v_cndmask_b32_e32 v3, v3, v4, vcc_lo
	v_sqrt_f32_e32 v4, v3
	s_waitcnt_depctr 0xfff
	v_add_nc_u32_e32 v5, -1, v4
	v_add_nc_u32_e32 v6, 1, v4
	s_delay_alu instid0(VALU_DEP_2) | instskip(NEXT) | instid1(VALU_DEP_2)
	v_fma_f32 v7, -v5, v4, v3
	v_fma_f32 v13, -v6, v4, v3
	s_delay_alu instid0(VALU_DEP_2) | instskip(NEXT) | instid1(VALU_DEP_1)
	v_cmp_ge_f32_e64 s1, 0, v7
	v_cndmask_b32_e64 v4, v4, v5, s1
	s_delay_alu instid0(VALU_DEP_3) | instskip(NEXT) | instid1(VALU_DEP_1)
	v_cmp_lt_f32_e64 s1, 0, v13
	v_cndmask_b32_e64 v4, v4, v6, s1
	s_delay_alu instid0(VALU_DEP_1) | instskip(NEXT) | instid1(VALU_DEP_1)
	v_mul_f32_e32 v5, 0x37800000, v4
	v_cndmask_b32_e32 v4, v4, v5, vcc_lo
	v_cmp_class_f32_e64 vcc_lo, v3, 0x260
	s_delay_alu instid0(VALU_DEP_2) | instskip(NEXT) | instid1(VALU_DEP_1)
	v_cndmask_b32_e32 v3, v4, v3, vcc_lo
	v_mul_f32_e32 v4, v2, v3
.LBB45_78:
	s_delay_alu instid0(VALU_DEP_1) | instskip(SKIP_1) | instid1(VALU_DEP_2)
	v_mul_f32_e32 v2, 0x4f800000, v4
	v_cmp_gt_f32_e32 vcc_lo, 0xf800000, v4
	v_cndmask_b32_e32 v2, v4, v2, vcc_lo
	s_delay_alu instid0(VALU_DEP_1) | instskip(SKIP_3) | instid1(VALU_DEP_2)
	v_sqrt_f32_e32 v3, v2
	s_waitcnt_depctr 0xfff
	v_add_nc_u32_e32 v4, -1, v3
	v_add_nc_u32_e32 v5, 1, v3
	v_fma_f32 v6, -v4, v3, v2
	s_delay_alu instid0(VALU_DEP_2) | instskip(NEXT) | instid1(VALU_DEP_2)
	v_fma_f32 v7, -v5, v3, v2
	v_cmp_ge_f32_e64 s1, 0, v6
	s_delay_alu instid0(VALU_DEP_1) | instskip(NEXT) | instid1(VALU_DEP_3)
	v_cndmask_b32_e64 v3, v3, v4, s1
	v_cmp_lt_f32_e64 s1, 0, v7
	s_delay_alu instid0(VALU_DEP_1) | instskip(NEXT) | instid1(VALU_DEP_1)
	v_cndmask_b32_e64 v3, v3, v5, s1
	v_mul_f32_e32 v4, 0x37800000, v3
	s_delay_alu instid0(VALU_DEP_1) | instskip(SKIP_1) | instid1(VALU_DEP_2)
	v_cndmask_b32_e32 v3, v3, v4, vcc_lo
	v_cmp_class_f32_e64 vcc_lo, v2, 0x260
	v_dual_cndmask_b32 v2, v3, v2 :: v_dual_mov_b32 v3, 0
	ds_store_b64 v3, v[2:3] offset:736
.LBB45_79:
	s_or_b32 exec_lo, exec_lo, s5
	v_mov_b32_e32 v2, 0
	s_waitcnt lgkmcnt(0)
	buffer_gl0_inv
	ds_load_b64 v[2:3], v2 offset:736
	s_waitcnt lgkmcnt(0)
	v_cmp_neq_f32_e32 vcc_lo, 0, v2
	v_cmp_neq_f32_e64 s1, 0, v3
	s_delay_alu instid0(VALU_DEP_1) | instskip(SKIP_2) | instid1(SALU_CYCLE_1)
	s_or_b32 vcc_lo, vcc_lo, s1
	v_dual_cndmask_b32 v3, 0, v3 :: v_dual_cndmask_b32 v2, 1.0, v2
	s_or_b32 s1, vcc_lo, s0
	s_xor_b32 s5, s1, -1
	s_delay_alu instid0(SALU_CYCLE_1)
	s_and_saveexec_b32 s1, s5
	s_cbranch_execz .LBB45_83
; %bb.80:
	v_mbcnt_lo_u32_b32 v2, exec_lo, 0
	s_mov_b32 s5, exec_lo
	s_delay_alu instid0(VALU_DEP_1)
	v_cmpx_eq_u32_e32 0, v2
	s_cbranch_execz .LBB45_82
; %bb.81:
	v_dual_mov_b32 v2, 0 :: v_dual_mov_b32 v3, s2
	global_atomic_min_i32 v2, v3, s[10:11]
.LBB45_82:
	s_or_b32 exec_lo, exec_lo, s5
	v_dual_mov_b32 v2, 1.0 :: v_dual_mov_b32 v3, 0
.LBB45_83:
	s_or_b32 exec_lo, exec_lo, s1
	s_delay_alu instid0(SALU_CYCLE_1)
	s_mov_b32 s1, exec_lo
	v_cmpx_lt_u32_e32 1, v9
	s_cbranch_execz .LBB45_85
; %bb.84:
	v_mul_u32_u24_e32 v16, 56, v9
	ds_load_2addr_b64 v[4:7], v16 offset0:85 offset1:127
	s_waitcnt lgkmcnt(0)
	v_dual_mul_f32 v13, v3, v3 :: v_dual_sub_f32 v4, v4, v6
	v_sub_f32_e32 v5, v5, v7
	s_delay_alu instid0(VALU_DEP_1) | instskip(NEXT) | instid1(VALU_DEP_1)
	v_dual_fmac_f32 v13, v2, v2 :: v_dual_mul_f32 v6, v3, v5
	v_div_scale_f32 v14, null, v13, v13, 1.0
	v_div_scale_f32 v18, vcc_lo, 1.0, v13, 1.0
	v_mul_f32_e64 v3, v3, -v4
	s_delay_alu instid0(VALU_DEP_3) | instskip(SKIP_1) | instid1(VALU_DEP_2)
	v_rcp_f32_e32 v15, v14
	v_fmac_f32_e32 v6, v4, v2
	v_fmac_f32_e32 v3, v5, v2
	s_waitcnt_depctr 0xfff
	v_fma_f32 v17, -v14, v15, 1.0
	s_delay_alu instid0(VALU_DEP_1) | instskip(NEXT) | instid1(VALU_DEP_1)
	v_fmac_f32_e32 v15, v17, v15
	v_mul_f32_e32 v17, v18, v15
	s_delay_alu instid0(VALU_DEP_1) | instskip(NEXT) | instid1(VALU_DEP_1)
	v_fma_f32 v19, -v14, v17, v18
	v_fmac_f32_e32 v17, v19, v15
	s_delay_alu instid0(VALU_DEP_1) | instskip(NEXT) | instid1(VALU_DEP_1)
	v_fma_f32 v7, -v14, v17, v18
	v_div_fmas_f32 v7, v7, v15, v17
	s_delay_alu instid0(VALU_DEP_1) | instskip(NEXT) | instid1(VALU_DEP_1)
	v_div_fixup_f32 v4, v7, v13, 1.0
	v_mul_f32_e32 v2, v4, v6
	v_mul_f32_e32 v3, v4, v3
	v_mul_u32_u24_e32 v4, 56, v8
	ds_store_b64 v16, v[2:3] offset:680
	s_waitcnt lgkmcnt(0)
	s_waitcnt_vscnt null, 0x0
	buffer_gl0_inv
	ds_load_b64 v[4:5], v4 offset:680
	ds_load_b64 v[6:7], v12
	s_waitcnt lgkmcnt(0)
	v_fma_f32 v6, v2, v4, v6
	v_fmac_f32_e32 v7, v3, v4
	s_delay_alu instid0(VALU_DEP_2) | instskip(NEXT) | instid1(VALU_DEP_2)
	v_fmac_f32_e32 v6, v3, v5
	v_fma_f32 v7, v2, -v5, v7
	ds_store_b64 v12, v[6:7]
.LBB45_85:
	s_or_b32 exec_lo, exec_lo, s1
	s_delay_alu instid0(SALU_CYCLE_1)
	s_mov_b32 s5, exec_lo
	s_waitcnt lgkmcnt(0)
	s_waitcnt_vscnt null, 0x0
	buffer_gl0_inv
	v_cmpx_eq_u32_e32 2, v9
	s_cbranch_execz .LBB45_93
; %bb.86:
	v_mov_b32_e32 v4, 0
	ds_load_2addr_b64 v[13:16], v4 offset0:100 offset1:142
	s_waitcnt lgkmcnt(0)
	v_dual_sub_f32 v5, v14, v16 :: v_dual_sub_f32 v2, v13, v15
	s_delay_alu instid0(VALU_DEP_1) | instskip(SKIP_1) | instid1(VALU_DEP_3)
	v_cmp_gt_f32_e32 vcc_lo, 0, v2
	v_cndmask_b32_e64 v2, v2, -v2, vcc_lo
	v_cmp_gt_f32_e32 vcc_lo, 0, v5
	v_cndmask_b32_e64 v3, v5, -v5, vcc_lo
	s_delay_alu instid0(VALU_DEP_1)
	v_cmp_gt_f32_e32 vcc_lo, v2, v3
	s_cbranch_vccnz .LBB45_90
; %bb.87:
	v_cmp_eq_f32_e32 vcc_lo, 0, v5
	s_cbranch_vccnz .LBB45_89
; %bb.88:
	v_div_scale_f32 v4, null, v3, v3, v2
	v_div_scale_f32 v7, vcc_lo, v2, v3, v2
	s_delay_alu instid0(VALU_DEP_2) | instskip(SKIP_2) | instid1(VALU_DEP_1)
	v_rcp_f32_e32 v5, v4
	s_waitcnt_depctr 0xfff
	v_fma_f32 v6, -v4, v5, 1.0
	v_fmac_f32_e32 v5, v6, v5
	s_delay_alu instid0(VALU_DEP_1) | instskip(NEXT) | instid1(VALU_DEP_1)
	v_mul_f32_e32 v6, v7, v5
	v_fma_f32 v13, -v4, v6, v7
	s_delay_alu instid0(VALU_DEP_1) | instskip(NEXT) | instid1(VALU_DEP_1)
	v_fmac_f32_e32 v6, v13, v5
	v_fma_f32 v4, -v4, v6, v7
	s_delay_alu instid0(VALU_DEP_1) | instskip(NEXT) | instid1(VALU_DEP_1)
	v_div_fmas_f32 v4, v4, v5, v6
	v_div_fixup_f32 v4, v4, v3, v2
	s_delay_alu instid0(VALU_DEP_1) | instskip(NEXT) | instid1(VALU_DEP_1)
	v_fma_f32 v4, v4, v4, 1.0
	v_mul_f32_e32 v5, 0x4f800000, v4
	v_cmp_gt_f32_e32 vcc_lo, 0xf800000, v4
	s_delay_alu instid0(VALU_DEP_2) | instskip(NEXT) | instid1(VALU_DEP_1)
	v_cndmask_b32_e32 v4, v4, v5, vcc_lo
	v_sqrt_f32_e32 v5, v4
	s_waitcnt_depctr 0xfff
	v_add_nc_u32_e32 v6, -1, v5
	v_add_nc_u32_e32 v7, 1, v5
	s_delay_alu instid0(VALU_DEP_2) | instskip(NEXT) | instid1(VALU_DEP_2)
	v_fma_f32 v13, -v6, v5, v4
	v_fma_f32 v14, -v7, v5, v4
	s_delay_alu instid0(VALU_DEP_2) | instskip(NEXT) | instid1(VALU_DEP_1)
	v_cmp_ge_f32_e64 s1, 0, v13
	v_cndmask_b32_e64 v5, v5, v6, s1
	s_delay_alu instid0(VALU_DEP_3) | instskip(NEXT) | instid1(VALU_DEP_1)
	v_cmp_lt_f32_e64 s1, 0, v14
	v_cndmask_b32_e64 v5, v5, v7, s1
	s_delay_alu instid0(VALU_DEP_1) | instskip(NEXT) | instid1(VALU_DEP_1)
	v_mul_f32_e32 v6, 0x37800000, v5
	v_cndmask_b32_e32 v5, v5, v6, vcc_lo
	v_cmp_class_f32_e64 vcc_lo, v4, 0x260
	s_delay_alu instid0(VALU_DEP_2) | instskip(NEXT) | instid1(VALU_DEP_1)
	v_cndmask_b32_e32 v4, v5, v4, vcc_lo
	v_mul_f32_e32 v4, v3, v4
.LBB45_89:
	s_cbranch_execz .LBB45_91
	s_branch .LBB45_92
.LBB45_90:
                                        ; implicit-def: $vgpr4
.LBB45_91:
	v_div_scale_f32 v4, null, v2, v2, v3
	v_div_scale_f32 v7, vcc_lo, v3, v2, v3
	s_delay_alu instid0(VALU_DEP_2) | instskip(SKIP_2) | instid1(VALU_DEP_1)
	v_rcp_f32_e32 v5, v4
	s_waitcnt_depctr 0xfff
	v_fma_f32 v6, -v4, v5, 1.0
	v_fmac_f32_e32 v5, v6, v5
	s_delay_alu instid0(VALU_DEP_1) | instskip(NEXT) | instid1(VALU_DEP_1)
	v_mul_f32_e32 v6, v7, v5
	v_fma_f32 v13, -v4, v6, v7
	s_delay_alu instid0(VALU_DEP_1) | instskip(NEXT) | instid1(VALU_DEP_1)
	v_fmac_f32_e32 v6, v13, v5
	v_fma_f32 v4, -v4, v6, v7
	s_delay_alu instid0(VALU_DEP_1) | instskip(NEXT) | instid1(VALU_DEP_1)
	v_div_fmas_f32 v4, v4, v5, v6
	v_div_fixup_f32 v3, v4, v2, v3
	s_delay_alu instid0(VALU_DEP_1) | instskip(NEXT) | instid1(VALU_DEP_1)
	v_fma_f32 v3, v3, v3, 1.0
	v_mul_f32_e32 v4, 0x4f800000, v3
	v_cmp_gt_f32_e32 vcc_lo, 0xf800000, v3
	s_delay_alu instid0(VALU_DEP_2) | instskip(NEXT) | instid1(VALU_DEP_1)
	v_cndmask_b32_e32 v3, v3, v4, vcc_lo
	v_sqrt_f32_e32 v4, v3
	s_waitcnt_depctr 0xfff
	v_add_nc_u32_e32 v5, -1, v4
	v_add_nc_u32_e32 v6, 1, v4
	s_delay_alu instid0(VALU_DEP_2) | instskip(NEXT) | instid1(VALU_DEP_2)
	v_fma_f32 v7, -v5, v4, v3
	v_fma_f32 v13, -v6, v4, v3
	s_delay_alu instid0(VALU_DEP_2) | instskip(NEXT) | instid1(VALU_DEP_1)
	v_cmp_ge_f32_e64 s1, 0, v7
	v_cndmask_b32_e64 v4, v4, v5, s1
	s_delay_alu instid0(VALU_DEP_3) | instskip(NEXT) | instid1(VALU_DEP_1)
	v_cmp_lt_f32_e64 s1, 0, v13
	v_cndmask_b32_e64 v4, v4, v6, s1
	s_delay_alu instid0(VALU_DEP_1) | instskip(NEXT) | instid1(VALU_DEP_1)
	v_mul_f32_e32 v5, 0x37800000, v4
	v_cndmask_b32_e32 v4, v4, v5, vcc_lo
	v_cmp_class_f32_e64 vcc_lo, v3, 0x260
	s_delay_alu instid0(VALU_DEP_2) | instskip(NEXT) | instid1(VALU_DEP_1)
	v_cndmask_b32_e32 v3, v4, v3, vcc_lo
	v_mul_f32_e32 v4, v2, v3
.LBB45_92:
	s_delay_alu instid0(VALU_DEP_1) | instskip(SKIP_1) | instid1(VALU_DEP_2)
	v_mul_f32_e32 v2, 0x4f800000, v4
	v_cmp_gt_f32_e32 vcc_lo, 0xf800000, v4
	v_cndmask_b32_e32 v2, v4, v2, vcc_lo
	s_delay_alu instid0(VALU_DEP_1) | instskip(SKIP_3) | instid1(VALU_DEP_2)
	v_sqrt_f32_e32 v3, v2
	s_waitcnt_depctr 0xfff
	v_add_nc_u32_e32 v4, -1, v3
	v_add_nc_u32_e32 v5, 1, v3
	v_fma_f32 v6, -v4, v3, v2
	s_delay_alu instid0(VALU_DEP_2) | instskip(NEXT) | instid1(VALU_DEP_2)
	v_fma_f32 v7, -v5, v3, v2
	v_cmp_ge_f32_e64 s1, 0, v6
	s_delay_alu instid0(VALU_DEP_1) | instskip(NEXT) | instid1(VALU_DEP_3)
	v_cndmask_b32_e64 v3, v3, v4, s1
	v_cmp_lt_f32_e64 s1, 0, v7
	s_delay_alu instid0(VALU_DEP_1) | instskip(NEXT) | instid1(VALU_DEP_1)
	v_cndmask_b32_e64 v3, v3, v5, s1
	v_mul_f32_e32 v4, 0x37800000, v3
	s_delay_alu instid0(VALU_DEP_1) | instskip(SKIP_1) | instid1(VALU_DEP_2)
	v_cndmask_b32_e32 v3, v3, v4, vcc_lo
	v_cmp_class_f32_e64 vcc_lo, v2, 0x260
	v_dual_cndmask_b32 v2, v3, v2 :: v_dual_mov_b32 v3, 0
	ds_store_b64 v3, v[2:3] offset:800
.LBB45_93:
	s_or_b32 exec_lo, exec_lo, s5
	v_mov_b32_e32 v2, 0
	s_waitcnt lgkmcnt(0)
	buffer_gl0_inv
	ds_load_b64 v[2:3], v2 offset:800
	s_waitcnt lgkmcnt(0)
	v_cmp_neq_f32_e32 vcc_lo, 0, v2
	v_cmp_neq_f32_e64 s1, 0, v3
	s_delay_alu instid0(VALU_DEP_1) | instskip(SKIP_2) | instid1(SALU_CYCLE_1)
	s_or_b32 vcc_lo, vcc_lo, s1
	v_dual_cndmask_b32 v3, 0, v3 :: v_dual_cndmask_b32 v2, 1.0, v2
	s_or_b32 s1, vcc_lo, s0
	s_xor_b32 s5, s1, -1
	s_delay_alu instid0(SALU_CYCLE_1)
	s_and_saveexec_b32 s1, s5
	s_cbranch_execz .LBB45_97
; %bb.94:
	v_mbcnt_lo_u32_b32 v2, exec_lo, 0
	s_mov_b32 s5, exec_lo
	s_delay_alu instid0(VALU_DEP_1)
	v_cmpx_eq_u32_e32 0, v2
	s_cbranch_execz .LBB45_96
; %bb.95:
	v_dual_mov_b32 v2, 0 :: v_dual_mov_b32 v3, s2
	global_atomic_min_i32 v2, v3, s[10:11]
.LBB45_96:
	s_or_b32 exec_lo, exec_lo, s5
	v_dual_mov_b32 v2, 1.0 :: v_dual_mov_b32 v3, 0
.LBB45_97:
	s_or_b32 exec_lo, exec_lo, s1
	s_delay_alu instid0(SALU_CYCLE_1)
	s_mov_b32 s1, exec_lo
	v_cmpx_lt_u32_e32 2, v9
	s_cbranch_execz .LBB45_99
; %bb.98:
	v_mul_u32_u24_e32 v16, 56, v9
	ds_load_2addr_b64 v[4:7], v16 offset0:86 offset1:128
	s_waitcnt lgkmcnt(0)
	v_dual_mul_f32 v13, v3, v3 :: v_dual_sub_f32 v4, v4, v6
	v_sub_f32_e32 v5, v5, v7
	s_delay_alu instid0(VALU_DEP_1) | instskip(NEXT) | instid1(VALU_DEP_1)
	v_dual_fmac_f32 v13, v2, v2 :: v_dual_mul_f32 v6, v3, v5
	v_div_scale_f32 v14, null, v13, v13, 1.0
	v_div_scale_f32 v18, vcc_lo, 1.0, v13, 1.0
	v_mul_f32_e64 v3, v3, -v4
	s_delay_alu instid0(VALU_DEP_3) | instskip(SKIP_1) | instid1(VALU_DEP_2)
	v_rcp_f32_e32 v15, v14
	v_fmac_f32_e32 v6, v4, v2
	v_fmac_f32_e32 v3, v5, v2
	s_waitcnt_depctr 0xfff
	v_fma_f32 v17, -v14, v15, 1.0
	s_delay_alu instid0(VALU_DEP_1) | instskip(NEXT) | instid1(VALU_DEP_1)
	v_fmac_f32_e32 v15, v17, v15
	v_mul_f32_e32 v17, v18, v15
	s_delay_alu instid0(VALU_DEP_1) | instskip(NEXT) | instid1(VALU_DEP_1)
	v_fma_f32 v19, -v14, v17, v18
	v_fmac_f32_e32 v17, v19, v15
	s_delay_alu instid0(VALU_DEP_1) | instskip(NEXT) | instid1(VALU_DEP_1)
	v_fma_f32 v7, -v14, v17, v18
	v_div_fmas_f32 v7, v7, v15, v17
	s_delay_alu instid0(VALU_DEP_1) | instskip(NEXT) | instid1(VALU_DEP_1)
	v_div_fixup_f32 v4, v7, v13, 1.0
	v_mul_f32_e32 v2, v4, v6
	v_mul_f32_e32 v3, v4, v3
	v_mul_u32_u24_e32 v4, 56, v8
	ds_store_b64 v16, v[2:3] offset:688
	s_waitcnt lgkmcnt(0)
	s_waitcnt_vscnt null, 0x0
	buffer_gl0_inv
	ds_load_b64 v[4:5], v4 offset:688
	ds_load_b64 v[6:7], v12
	s_waitcnt lgkmcnt(0)
	v_fma_f32 v6, v2, v4, v6
	v_fmac_f32_e32 v7, v3, v4
	s_delay_alu instid0(VALU_DEP_2) | instskip(NEXT) | instid1(VALU_DEP_2)
	v_fmac_f32_e32 v6, v3, v5
	v_fma_f32 v7, v2, -v5, v7
	ds_store_b64 v12, v[6:7]
.LBB45_99:
	s_or_b32 exec_lo, exec_lo, s1
	s_delay_alu instid0(SALU_CYCLE_1)
	s_mov_b32 s5, exec_lo
	s_waitcnt lgkmcnt(0)
	s_waitcnt_vscnt null, 0x0
	buffer_gl0_inv
	v_cmpx_eq_u32_e32 3, v9
	s_cbranch_execz .LBB45_107
; %bb.100:
	v_mov_b32_e32 v4, 0
	ds_load_2addr_b64 v[13:16], v4 offset0:108 offset1:150
	s_waitcnt lgkmcnt(0)
	v_dual_sub_f32 v5, v14, v16 :: v_dual_sub_f32 v2, v13, v15
	s_delay_alu instid0(VALU_DEP_1) | instskip(SKIP_1) | instid1(VALU_DEP_3)
	v_cmp_gt_f32_e32 vcc_lo, 0, v2
	v_cndmask_b32_e64 v2, v2, -v2, vcc_lo
	v_cmp_gt_f32_e32 vcc_lo, 0, v5
	v_cndmask_b32_e64 v3, v5, -v5, vcc_lo
	s_delay_alu instid0(VALU_DEP_1)
	v_cmp_gt_f32_e32 vcc_lo, v2, v3
	s_cbranch_vccnz .LBB45_104
; %bb.101:
	v_cmp_eq_f32_e32 vcc_lo, 0, v5
	s_cbranch_vccnz .LBB45_103
; %bb.102:
	v_div_scale_f32 v4, null, v3, v3, v2
	v_div_scale_f32 v7, vcc_lo, v2, v3, v2
	s_delay_alu instid0(VALU_DEP_2) | instskip(SKIP_2) | instid1(VALU_DEP_1)
	v_rcp_f32_e32 v5, v4
	s_waitcnt_depctr 0xfff
	v_fma_f32 v6, -v4, v5, 1.0
	v_fmac_f32_e32 v5, v6, v5
	s_delay_alu instid0(VALU_DEP_1) | instskip(NEXT) | instid1(VALU_DEP_1)
	v_mul_f32_e32 v6, v7, v5
	v_fma_f32 v13, -v4, v6, v7
	s_delay_alu instid0(VALU_DEP_1) | instskip(NEXT) | instid1(VALU_DEP_1)
	v_fmac_f32_e32 v6, v13, v5
	v_fma_f32 v4, -v4, v6, v7
	s_delay_alu instid0(VALU_DEP_1) | instskip(NEXT) | instid1(VALU_DEP_1)
	v_div_fmas_f32 v4, v4, v5, v6
	v_div_fixup_f32 v4, v4, v3, v2
	s_delay_alu instid0(VALU_DEP_1) | instskip(NEXT) | instid1(VALU_DEP_1)
	v_fma_f32 v4, v4, v4, 1.0
	v_mul_f32_e32 v5, 0x4f800000, v4
	v_cmp_gt_f32_e32 vcc_lo, 0xf800000, v4
	s_delay_alu instid0(VALU_DEP_2) | instskip(NEXT) | instid1(VALU_DEP_1)
	v_cndmask_b32_e32 v4, v4, v5, vcc_lo
	v_sqrt_f32_e32 v5, v4
	s_waitcnt_depctr 0xfff
	v_add_nc_u32_e32 v6, -1, v5
	v_add_nc_u32_e32 v7, 1, v5
	s_delay_alu instid0(VALU_DEP_2) | instskip(NEXT) | instid1(VALU_DEP_2)
	v_fma_f32 v13, -v6, v5, v4
	v_fma_f32 v14, -v7, v5, v4
	s_delay_alu instid0(VALU_DEP_2) | instskip(NEXT) | instid1(VALU_DEP_1)
	v_cmp_ge_f32_e64 s1, 0, v13
	v_cndmask_b32_e64 v5, v5, v6, s1
	s_delay_alu instid0(VALU_DEP_3) | instskip(NEXT) | instid1(VALU_DEP_1)
	v_cmp_lt_f32_e64 s1, 0, v14
	v_cndmask_b32_e64 v5, v5, v7, s1
	s_delay_alu instid0(VALU_DEP_1) | instskip(NEXT) | instid1(VALU_DEP_1)
	v_mul_f32_e32 v6, 0x37800000, v5
	v_cndmask_b32_e32 v5, v5, v6, vcc_lo
	v_cmp_class_f32_e64 vcc_lo, v4, 0x260
	s_delay_alu instid0(VALU_DEP_2) | instskip(NEXT) | instid1(VALU_DEP_1)
	v_cndmask_b32_e32 v4, v5, v4, vcc_lo
	v_mul_f32_e32 v4, v3, v4
.LBB45_103:
	s_cbranch_execz .LBB45_105
	s_branch .LBB45_106
.LBB45_104:
                                        ; implicit-def: $vgpr4
.LBB45_105:
	v_div_scale_f32 v4, null, v2, v2, v3
	v_div_scale_f32 v7, vcc_lo, v3, v2, v3
	s_delay_alu instid0(VALU_DEP_2) | instskip(SKIP_2) | instid1(VALU_DEP_1)
	v_rcp_f32_e32 v5, v4
	s_waitcnt_depctr 0xfff
	v_fma_f32 v6, -v4, v5, 1.0
	v_fmac_f32_e32 v5, v6, v5
	s_delay_alu instid0(VALU_DEP_1) | instskip(NEXT) | instid1(VALU_DEP_1)
	v_mul_f32_e32 v6, v7, v5
	v_fma_f32 v13, -v4, v6, v7
	s_delay_alu instid0(VALU_DEP_1) | instskip(NEXT) | instid1(VALU_DEP_1)
	v_fmac_f32_e32 v6, v13, v5
	v_fma_f32 v4, -v4, v6, v7
	s_delay_alu instid0(VALU_DEP_1) | instskip(NEXT) | instid1(VALU_DEP_1)
	v_div_fmas_f32 v4, v4, v5, v6
	v_div_fixup_f32 v3, v4, v2, v3
	s_delay_alu instid0(VALU_DEP_1) | instskip(NEXT) | instid1(VALU_DEP_1)
	v_fma_f32 v3, v3, v3, 1.0
	v_mul_f32_e32 v4, 0x4f800000, v3
	v_cmp_gt_f32_e32 vcc_lo, 0xf800000, v3
	s_delay_alu instid0(VALU_DEP_2) | instskip(NEXT) | instid1(VALU_DEP_1)
	v_cndmask_b32_e32 v3, v3, v4, vcc_lo
	v_sqrt_f32_e32 v4, v3
	s_waitcnt_depctr 0xfff
	v_add_nc_u32_e32 v5, -1, v4
	v_add_nc_u32_e32 v6, 1, v4
	s_delay_alu instid0(VALU_DEP_2) | instskip(NEXT) | instid1(VALU_DEP_2)
	v_fma_f32 v7, -v5, v4, v3
	v_fma_f32 v13, -v6, v4, v3
	s_delay_alu instid0(VALU_DEP_2) | instskip(NEXT) | instid1(VALU_DEP_1)
	v_cmp_ge_f32_e64 s1, 0, v7
	v_cndmask_b32_e64 v4, v4, v5, s1
	s_delay_alu instid0(VALU_DEP_3) | instskip(NEXT) | instid1(VALU_DEP_1)
	v_cmp_lt_f32_e64 s1, 0, v13
	v_cndmask_b32_e64 v4, v4, v6, s1
	s_delay_alu instid0(VALU_DEP_1) | instskip(NEXT) | instid1(VALU_DEP_1)
	v_mul_f32_e32 v5, 0x37800000, v4
	v_cndmask_b32_e32 v4, v4, v5, vcc_lo
	v_cmp_class_f32_e64 vcc_lo, v3, 0x260
	s_delay_alu instid0(VALU_DEP_2) | instskip(NEXT) | instid1(VALU_DEP_1)
	v_cndmask_b32_e32 v3, v4, v3, vcc_lo
	v_mul_f32_e32 v4, v2, v3
.LBB45_106:
	s_delay_alu instid0(VALU_DEP_1) | instskip(SKIP_1) | instid1(VALU_DEP_2)
	v_mul_f32_e32 v2, 0x4f800000, v4
	v_cmp_gt_f32_e32 vcc_lo, 0xf800000, v4
	v_cndmask_b32_e32 v2, v4, v2, vcc_lo
	s_delay_alu instid0(VALU_DEP_1) | instskip(SKIP_3) | instid1(VALU_DEP_2)
	v_sqrt_f32_e32 v3, v2
	s_waitcnt_depctr 0xfff
	v_add_nc_u32_e32 v4, -1, v3
	v_add_nc_u32_e32 v5, 1, v3
	v_fma_f32 v6, -v4, v3, v2
	s_delay_alu instid0(VALU_DEP_2) | instskip(NEXT) | instid1(VALU_DEP_2)
	v_fma_f32 v7, -v5, v3, v2
	v_cmp_ge_f32_e64 s1, 0, v6
	s_delay_alu instid0(VALU_DEP_1) | instskip(NEXT) | instid1(VALU_DEP_3)
	v_cndmask_b32_e64 v3, v3, v4, s1
	v_cmp_lt_f32_e64 s1, 0, v7
	s_delay_alu instid0(VALU_DEP_1) | instskip(NEXT) | instid1(VALU_DEP_1)
	v_cndmask_b32_e64 v3, v3, v5, s1
	v_mul_f32_e32 v4, 0x37800000, v3
	s_delay_alu instid0(VALU_DEP_1) | instskip(SKIP_1) | instid1(VALU_DEP_2)
	v_cndmask_b32_e32 v3, v3, v4, vcc_lo
	v_cmp_class_f32_e64 vcc_lo, v2, 0x260
	v_dual_cndmask_b32 v2, v3, v2 :: v_dual_mov_b32 v3, 0
	ds_store_b64 v3, v[2:3] offset:864
.LBB45_107:
	s_or_b32 exec_lo, exec_lo, s5
	v_mov_b32_e32 v2, 0
	s_waitcnt lgkmcnt(0)
	buffer_gl0_inv
	ds_load_b64 v[2:3], v2 offset:864
	s_waitcnt lgkmcnt(0)
	v_cmp_neq_f32_e32 vcc_lo, 0, v2
	v_cmp_neq_f32_e64 s1, 0, v3
	s_delay_alu instid0(VALU_DEP_1) | instskip(SKIP_2) | instid1(SALU_CYCLE_1)
	s_or_b32 vcc_lo, vcc_lo, s1
	v_dual_cndmask_b32 v3, 0, v3 :: v_dual_cndmask_b32 v2, 1.0, v2
	s_or_b32 s1, vcc_lo, s0
	s_xor_b32 s5, s1, -1
	s_delay_alu instid0(SALU_CYCLE_1)
	s_and_saveexec_b32 s1, s5
	s_cbranch_execz .LBB45_111
; %bb.108:
	v_mbcnt_lo_u32_b32 v2, exec_lo, 0
	s_mov_b32 s5, exec_lo
	s_delay_alu instid0(VALU_DEP_1)
	v_cmpx_eq_u32_e32 0, v2
	s_cbranch_execz .LBB45_110
; %bb.109:
	v_dual_mov_b32 v2, 0 :: v_dual_mov_b32 v3, s2
	global_atomic_min_i32 v2, v3, s[10:11]
.LBB45_110:
	s_or_b32 exec_lo, exec_lo, s5
	v_dual_mov_b32 v2, 1.0 :: v_dual_mov_b32 v3, 0
.LBB45_111:
	s_or_b32 exec_lo, exec_lo, s1
	s_delay_alu instid0(SALU_CYCLE_1)
	s_mov_b32 s1, exec_lo
	v_cmpx_lt_u32_e32 3, v9
	s_cbranch_execz .LBB45_113
; %bb.112:
	v_mul_u32_u24_e32 v16, 56, v9
	ds_load_2addr_b64 v[4:7], v16 offset0:87 offset1:129
	s_waitcnt lgkmcnt(0)
	v_dual_mul_f32 v13, v3, v3 :: v_dual_sub_f32 v4, v4, v6
	v_sub_f32_e32 v5, v5, v7
	s_delay_alu instid0(VALU_DEP_1) | instskip(NEXT) | instid1(VALU_DEP_1)
	v_dual_fmac_f32 v13, v2, v2 :: v_dual_mul_f32 v6, v3, v5
	v_div_scale_f32 v14, null, v13, v13, 1.0
	v_div_scale_f32 v18, vcc_lo, 1.0, v13, 1.0
	v_mul_f32_e64 v3, v3, -v4
	s_delay_alu instid0(VALU_DEP_3) | instskip(SKIP_1) | instid1(VALU_DEP_2)
	v_rcp_f32_e32 v15, v14
	v_fmac_f32_e32 v6, v4, v2
	v_fmac_f32_e32 v3, v5, v2
	s_waitcnt_depctr 0xfff
	v_fma_f32 v17, -v14, v15, 1.0
	s_delay_alu instid0(VALU_DEP_1) | instskip(NEXT) | instid1(VALU_DEP_1)
	v_fmac_f32_e32 v15, v17, v15
	v_mul_f32_e32 v17, v18, v15
	s_delay_alu instid0(VALU_DEP_1) | instskip(NEXT) | instid1(VALU_DEP_1)
	v_fma_f32 v19, -v14, v17, v18
	v_fmac_f32_e32 v17, v19, v15
	s_delay_alu instid0(VALU_DEP_1) | instskip(NEXT) | instid1(VALU_DEP_1)
	v_fma_f32 v7, -v14, v17, v18
	v_div_fmas_f32 v7, v7, v15, v17
	s_delay_alu instid0(VALU_DEP_1) | instskip(NEXT) | instid1(VALU_DEP_1)
	v_div_fixup_f32 v4, v7, v13, 1.0
	v_mul_f32_e32 v2, v4, v6
	v_mul_f32_e32 v3, v4, v3
	v_mul_u32_u24_e32 v4, 56, v8
	ds_store_b64 v16, v[2:3] offset:696
	s_waitcnt lgkmcnt(0)
	s_waitcnt_vscnt null, 0x0
	buffer_gl0_inv
	ds_load_b64 v[4:5], v4 offset:696
	ds_load_b64 v[6:7], v12
	s_waitcnt lgkmcnt(0)
	v_fma_f32 v6, v2, v4, v6
	v_fmac_f32_e32 v7, v3, v4
	s_delay_alu instid0(VALU_DEP_2) | instskip(NEXT) | instid1(VALU_DEP_2)
	v_fmac_f32_e32 v6, v3, v5
	v_fma_f32 v7, v2, -v5, v7
	ds_store_b64 v12, v[6:7]
.LBB45_113:
	s_or_b32 exec_lo, exec_lo, s1
	s_delay_alu instid0(SALU_CYCLE_1)
	s_mov_b32 s5, exec_lo
	s_waitcnt lgkmcnt(0)
	s_waitcnt_vscnt null, 0x0
	buffer_gl0_inv
	v_cmpx_eq_u32_e32 4, v9
	s_cbranch_execz .LBB45_121
; %bb.114:
	v_mov_b32_e32 v4, 0
	ds_load_2addr_b64 v[13:16], v4 offset0:116 offset1:158
	s_waitcnt lgkmcnt(0)
	v_dual_sub_f32 v5, v14, v16 :: v_dual_sub_f32 v2, v13, v15
	s_delay_alu instid0(VALU_DEP_1) | instskip(SKIP_1) | instid1(VALU_DEP_3)
	v_cmp_gt_f32_e32 vcc_lo, 0, v2
	v_cndmask_b32_e64 v2, v2, -v2, vcc_lo
	v_cmp_gt_f32_e32 vcc_lo, 0, v5
	v_cndmask_b32_e64 v3, v5, -v5, vcc_lo
	s_delay_alu instid0(VALU_DEP_1)
	v_cmp_gt_f32_e32 vcc_lo, v2, v3
	s_cbranch_vccnz .LBB45_118
; %bb.115:
	v_cmp_eq_f32_e32 vcc_lo, 0, v5
	s_cbranch_vccnz .LBB45_117
; %bb.116:
	v_div_scale_f32 v4, null, v3, v3, v2
	v_div_scale_f32 v7, vcc_lo, v2, v3, v2
	s_delay_alu instid0(VALU_DEP_2) | instskip(SKIP_2) | instid1(VALU_DEP_1)
	v_rcp_f32_e32 v5, v4
	s_waitcnt_depctr 0xfff
	v_fma_f32 v6, -v4, v5, 1.0
	v_fmac_f32_e32 v5, v6, v5
	s_delay_alu instid0(VALU_DEP_1) | instskip(NEXT) | instid1(VALU_DEP_1)
	v_mul_f32_e32 v6, v7, v5
	v_fma_f32 v13, -v4, v6, v7
	s_delay_alu instid0(VALU_DEP_1) | instskip(NEXT) | instid1(VALU_DEP_1)
	v_fmac_f32_e32 v6, v13, v5
	v_fma_f32 v4, -v4, v6, v7
	s_delay_alu instid0(VALU_DEP_1) | instskip(NEXT) | instid1(VALU_DEP_1)
	v_div_fmas_f32 v4, v4, v5, v6
	v_div_fixup_f32 v4, v4, v3, v2
	s_delay_alu instid0(VALU_DEP_1) | instskip(NEXT) | instid1(VALU_DEP_1)
	v_fma_f32 v4, v4, v4, 1.0
	v_mul_f32_e32 v5, 0x4f800000, v4
	v_cmp_gt_f32_e32 vcc_lo, 0xf800000, v4
	s_delay_alu instid0(VALU_DEP_2) | instskip(NEXT) | instid1(VALU_DEP_1)
	v_cndmask_b32_e32 v4, v4, v5, vcc_lo
	v_sqrt_f32_e32 v5, v4
	s_waitcnt_depctr 0xfff
	v_add_nc_u32_e32 v6, -1, v5
	v_add_nc_u32_e32 v7, 1, v5
	s_delay_alu instid0(VALU_DEP_2) | instskip(NEXT) | instid1(VALU_DEP_2)
	v_fma_f32 v13, -v6, v5, v4
	v_fma_f32 v14, -v7, v5, v4
	s_delay_alu instid0(VALU_DEP_2) | instskip(NEXT) | instid1(VALU_DEP_1)
	v_cmp_ge_f32_e64 s1, 0, v13
	v_cndmask_b32_e64 v5, v5, v6, s1
	s_delay_alu instid0(VALU_DEP_3) | instskip(NEXT) | instid1(VALU_DEP_1)
	v_cmp_lt_f32_e64 s1, 0, v14
	v_cndmask_b32_e64 v5, v5, v7, s1
	s_delay_alu instid0(VALU_DEP_1) | instskip(NEXT) | instid1(VALU_DEP_1)
	v_mul_f32_e32 v6, 0x37800000, v5
	v_cndmask_b32_e32 v5, v5, v6, vcc_lo
	v_cmp_class_f32_e64 vcc_lo, v4, 0x260
	s_delay_alu instid0(VALU_DEP_2) | instskip(NEXT) | instid1(VALU_DEP_1)
	v_cndmask_b32_e32 v4, v5, v4, vcc_lo
	v_mul_f32_e32 v4, v3, v4
.LBB45_117:
	s_cbranch_execz .LBB45_119
	s_branch .LBB45_120
.LBB45_118:
                                        ; implicit-def: $vgpr4
.LBB45_119:
	v_div_scale_f32 v4, null, v2, v2, v3
	v_div_scale_f32 v7, vcc_lo, v3, v2, v3
	s_delay_alu instid0(VALU_DEP_2) | instskip(SKIP_2) | instid1(VALU_DEP_1)
	v_rcp_f32_e32 v5, v4
	s_waitcnt_depctr 0xfff
	v_fma_f32 v6, -v4, v5, 1.0
	v_fmac_f32_e32 v5, v6, v5
	s_delay_alu instid0(VALU_DEP_1) | instskip(NEXT) | instid1(VALU_DEP_1)
	v_mul_f32_e32 v6, v7, v5
	v_fma_f32 v13, -v4, v6, v7
	s_delay_alu instid0(VALU_DEP_1) | instskip(NEXT) | instid1(VALU_DEP_1)
	v_fmac_f32_e32 v6, v13, v5
	v_fma_f32 v4, -v4, v6, v7
	s_delay_alu instid0(VALU_DEP_1) | instskip(NEXT) | instid1(VALU_DEP_1)
	v_div_fmas_f32 v4, v4, v5, v6
	v_div_fixup_f32 v3, v4, v2, v3
	s_delay_alu instid0(VALU_DEP_1) | instskip(NEXT) | instid1(VALU_DEP_1)
	v_fma_f32 v3, v3, v3, 1.0
	v_mul_f32_e32 v4, 0x4f800000, v3
	v_cmp_gt_f32_e32 vcc_lo, 0xf800000, v3
	s_delay_alu instid0(VALU_DEP_2) | instskip(NEXT) | instid1(VALU_DEP_1)
	v_cndmask_b32_e32 v3, v3, v4, vcc_lo
	v_sqrt_f32_e32 v4, v3
	s_waitcnt_depctr 0xfff
	v_add_nc_u32_e32 v5, -1, v4
	v_add_nc_u32_e32 v6, 1, v4
	s_delay_alu instid0(VALU_DEP_2) | instskip(NEXT) | instid1(VALU_DEP_2)
	v_fma_f32 v7, -v5, v4, v3
	v_fma_f32 v13, -v6, v4, v3
	s_delay_alu instid0(VALU_DEP_2) | instskip(NEXT) | instid1(VALU_DEP_1)
	v_cmp_ge_f32_e64 s1, 0, v7
	v_cndmask_b32_e64 v4, v4, v5, s1
	s_delay_alu instid0(VALU_DEP_3) | instskip(NEXT) | instid1(VALU_DEP_1)
	v_cmp_lt_f32_e64 s1, 0, v13
	v_cndmask_b32_e64 v4, v4, v6, s1
	s_delay_alu instid0(VALU_DEP_1) | instskip(NEXT) | instid1(VALU_DEP_1)
	v_mul_f32_e32 v5, 0x37800000, v4
	v_cndmask_b32_e32 v4, v4, v5, vcc_lo
	v_cmp_class_f32_e64 vcc_lo, v3, 0x260
	s_delay_alu instid0(VALU_DEP_2) | instskip(NEXT) | instid1(VALU_DEP_1)
	v_cndmask_b32_e32 v3, v4, v3, vcc_lo
	v_mul_f32_e32 v4, v2, v3
.LBB45_120:
	s_delay_alu instid0(VALU_DEP_1) | instskip(SKIP_1) | instid1(VALU_DEP_2)
	v_mul_f32_e32 v2, 0x4f800000, v4
	v_cmp_gt_f32_e32 vcc_lo, 0xf800000, v4
	v_cndmask_b32_e32 v2, v4, v2, vcc_lo
	s_delay_alu instid0(VALU_DEP_1) | instskip(SKIP_3) | instid1(VALU_DEP_2)
	v_sqrt_f32_e32 v3, v2
	s_waitcnt_depctr 0xfff
	v_add_nc_u32_e32 v4, -1, v3
	v_add_nc_u32_e32 v5, 1, v3
	v_fma_f32 v6, -v4, v3, v2
	s_delay_alu instid0(VALU_DEP_2) | instskip(NEXT) | instid1(VALU_DEP_2)
	v_fma_f32 v7, -v5, v3, v2
	v_cmp_ge_f32_e64 s1, 0, v6
	s_delay_alu instid0(VALU_DEP_1) | instskip(NEXT) | instid1(VALU_DEP_3)
	v_cndmask_b32_e64 v3, v3, v4, s1
	v_cmp_lt_f32_e64 s1, 0, v7
	s_delay_alu instid0(VALU_DEP_1) | instskip(NEXT) | instid1(VALU_DEP_1)
	v_cndmask_b32_e64 v3, v3, v5, s1
	v_mul_f32_e32 v4, 0x37800000, v3
	s_delay_alu instid0(VALU_DEP_1) | instskip(SKIP_1) | instid1(VALU_DEP_2)
	v_cndmask_b32_e32 v3, v3, v4, vcc_lo
	v_cmp_class_f32_e64 vcc_lo, v2, 0x260
	v_dual_cndmask_b32 v2, v3, v2 :: v_dual_mov_b32 v3, 0
	ds_store_b64 v3, v[2:3] offset:928
.LBB45_121:
	s_or_b32 exec_lo, exec_lo, s5
	v_mov_b32_e32 v2, 0
	s_waitcnt lgkmcnt(0)
	buffer_gl0_inv
	ds_load_b64 v[2:3], v2 offset:928
	s_waitcnt lgkmcnt(0)
	v_cmp_neq_f32_e32 vcc_lo, 0, v2
	v_cmp_neq_f32_e64 s1, 0, v3
	s_delay_alu instid0(VALU_DEP_1) | instskip(SKIP_2) | instid1(SALU_CYCLE_1)
	s_or_b32 vcc_lo, vcc_lo, s1
	v_dual_cndmask_b32 v3, 0, v3 :: v_dual_cndmask_b32 v2, 1.0, v2
	s_or_b32 s1, vcc_lo, s0
	s_xor_b32 s5, s1, -1
	s_delay_alu instid0(SALU_CYCLE_1)
	s_and_saveexec_b32 s1, s5
	s_cbranch_execz .LBB45_125
; %bb.122:
	v_mbcnt_lo_u32_b32 v2, exec_lo, 0
	s_mov_b32 s5, exec_lo
	s_delay_alu instid0(VALU_DEP_1)
	v_cmpx_eq_u32_e32 0, v2
	s_cbranch_execz .LBB45_124
; %bb.123:
	v_dual_mov_b32 v2, 0 :: v_dual_mov_b32 v3, s2
	global_atomic_min_i32 v2, v3, s[10:11]
.LBB45_124:
	s_or_b32 exec_lo, exec_lo, s5
	v_dual_mov_b32 v2, 1.0 :: v_dual_mov_b32 v3, 0
.LBB45_125:
	s_or_b32 exec_lo, exec_lo, s1
	s_delay_alu instid0(SALU_CYCLE_1)
	s_mov_b32 s1, exec_lo
	v_cmpx_lt_u32_e32 4, v9
	s_cbranch_execz .LBB45_127
; %bb.126:
	v_mul_u32_u24_e32 v16, 56, v9
	ds_load_2addr_b64 v[4:7], v16 offset0:88 offset1:130
	s_waitcnt lgkmcnt(0)
	v_dual_mul_f32 v13, v3, v3 :: v_dual_sub_f32 v4, v4, v6
	v_sub_f32_e32 v5, v5, v7
	s_delay_alu instid0(VALU_DEP_1) | instskip(NEXT) | instid1(VALU_DEP_1)
	v_dual_fmac_f32 v13, v2, v2 :: v_dual_mul_f32 v6, v3, v5
	v_div_scale_f32 v14, null, v13, v13, 1.0
	v_div_scale_f32 v18, vcc_lo, 1.0, v13, 1.0
	v_mul_f32_e64 v3, v3, -v4
	s_delay_alu instid0(VALU_DEP_3) | instskip(SKIP_1) | instid1(VALU_DEP_2)
	v_rcp_f32_e32 v15, v14
	v_fmac_f32_e32 v6, v4, v2
	v_fmac_f32_e32 v3, v5, v2
	s_waitcnt_depctr 0xfff
	v_fma_f32 v17, -v14, v15, 1.0
	s_delay_alu instid0(VALU_DEP_1) | instskip(NEXT) | instid1(VALU_DEP_1)
	v_fmac_f32_e32 v15, v17, v15
	v_mul_f32_e32 v17, v18, v15
	s_delay_alu instid0(VALU_DEP_1) | instskip(NEXT) | instid1(VALU_DEP_1)
	v_fma_f32 v19, -v14, v17, v18
	v_fmac_f32_e32 v17, v19, v15
	s_delay_alu instid0(VALU_DEP_1) | instskip(NEXT) | instid1(VALU_DEP_1)
	v_fma_f32 v7, -v14, v17, v18
	v_div_fmas_f32 v7, v7, v15, v17
	s_delay_alu instid0(VALU_DEP_1) | instskip(NEXT) | instid1(VALU_DEP_1)
	v_div_fixup_f32 v4, v7, v13, 1.0
	v_mul_f32_e32 v2, v4, v6
	v_mul_f32_e32 v3, v4, v3
	v_mul_u32_u24_e32 v4, 56, v8
	ds_store_b64 v16, v[2:3] offset:704
	s_waitcnt lgkmcnt(0)
	s_waitcnt_vscnt null, 0x0
	buffer_gl0_inv
	ds_load_b64 v[4:5], v4 offset:704
	ds_load_b64 v[6:7], v12
	s_waitcnt lgkmcnt(0)
	v_fma_f32 v6, v2, v4, v6
	v_fmac_f32_e32 v7, v3, v4
	s_delay_alu instid0(VALU_DEP_2) | instskip(NEXT) | instid1(VALU_DEP_2)
	v_fmac_f32_e32 v6, v3, v5
	v_fma_f32 v7, v2, -v5, v7
	ds_store_b64 v12, v[6:7]
.LBB45_127:
	s_or_b32 exec_lo, exec_lo, s1
	s_delay_alu instid0(SALU_CYCLE_1)
	s_mov_b32 s5, exec_lo
	s_waitcnt lgkmcnt(0)
	s_waitcnt_vscnt null, 0x0
	buffer_gl0_inv
	v_cmpx_eq_u32_e32 5, v9
	s_cbranch_execz .LBB45_135
; %bb.128:
	v_mov_b32_e32 v4, 0
	ds_load_2addr_b64 v[13:16], v4 offset0:124 offset1:166
	s_waitcnt lgkmcnt(0)
	v_dual_sub_f32 v5, v14, v16 :: v_dual_sub_f32 v2, v13, v15
	s_delay_alu instid0(VALU_DEP_1) | instskip(SKIP_1) | instid1(VALU_DEP_3)
	v_cmp_gt_f32_e32 vcc_lo, 0, v2
	v_cndmask_b32_e64 v2, v2, -v2, vcc_lo
	v_cmp_gt_f32_e32 vcc_lo, 0, v5
	v_cndmask_b32_e64 v3, v5, -v5, vcc_lo
	s_delay_alu instid0(VALU_DEP_1)
	v_cmp_gt_f32_e32 vcc_lo, v2, v3
	s_cbranch_vccnz .LBB45_132
; %bb.129:
	v_cmp_eq_f32_e32 vcc_lo, 0, v5
	s_cbranch_vccnz .LBB45_131
; %bb.130:
	v_div_scale_f32 v4, null, v3, v3, v2
	v_div_scale_f32 v7, vcc_lo, v2, v3, v2
	s_delay_alu instid0(VALU_DEP_2) | instskip(SKIP_2) | instid1(VALU_DEP_1)
	v_rcp_f32_e32 v5, v4
	s_waitcnt_depctr 0xfff
	v_fma_f32 v6, -v4, v5, 1.0
	v_fmac_f32_e32 v5, v6, v5
	s_delay_alu instid0(VALU_DEP_1) | instskip(NEXT) | instid1(VALU_DEP_1)
	v_mul_f32_e32 v6, v7, v5
	v_fma_f32 v13, -v4, v6, v7
	s_delay_alu instid0(VALU_DEP_1) | instskip(NEXT) | instid1(VALU_DEP_1)
	v_fmac_f32_e32 v6, v13, v5
	v_fma_f32 v4, -v4, v6, v7
	s_delay_alu instid0(VALU_DEP_1) | instskip(NEXT) | instid1(VALU_DEP_1)
	v_div_fmas_f32 v4, v4, v5, v6
	v_div_fixup_f32 v4, v4, v3, v2
	s_delay_alu instid0(VALU_DEP_1) | instskip(NEXT) | instid1(VALU_DEP_1)
	v_fma_f32 v4, v4, v4, 1.0
	v_mul_f32_e32 v5, 0x4f800000, v4
	v_cmp_gt_f32_e32 vcc_lo, 0xf800000, v4
	s_delay_alu instid0(VALU_DEP_2) | instskip(NEXT) | instid1(VALU_DEP_1)
	v_cndmask_b32_e32 v4, v4, v5, vcc_lo
	v_sqrt_f32_e32 v5, v4
	s_waitcnt_depctr 0xfff
	v_add_nc_u32_e32 v6, -1, v5
	v_add_nc_u32_e32 v7, 1, v5
	s_delay_alu instid0(VALU_DEP_2) | instskip(NEXT) | instid1(VALU_DEP_2)
	v_fma_f32 v13, -v6, v5, v4
	v_fma_f32 v14, -v7, v5, v4
	s_delay_alu instid0(VALU_DEP_2) | instskip(NEXT) | instid1(VALU_DEP_1)
	v_cmp_ge_f32_e64 s1, 0, v13
	v_cndmask_b32_e64 v5, v5, v6, s1
	s_delay_alu instid0(VALU_DEP_3) | instskip(NEXT) | instid1(VALU_DEP_1)
	v_cmp_lt_f32_e64 s1, 0, v14
	v_cndmask_b32_e64 v5, v5, v7, s1
	s_delay_alu instid0(VALU_DEP_1) | instskip(NEXT) | instid1(VALU_DEP_1)
	v_mul_f32_e32 v6, 0x37800000, v5
	v_cndmask_b32_e32 v5, v5, v6, vcc_lo
	v_cmp_class_f32_e64 vcc_lo, v4, 0x260
	s_delay_alu instid0(VALU_DEP_2) | instskip(NEXT) | instid1(VALU_DEP_1)
	v_cndmask_b32_e32 v4, v5, v4, vcc_lo
	v_mul_f32_e32 v4, v3, v4
.LBB45_131:
	s_cbranch_execz .LBB45_133
	s_branch .LBB45_134
.LBB45_132:
                                        ; implicit-def: $vgpr4
.LBB45_133:
	v_div_scale_f32 v4, null, v2, v2, v3
	v_div_scale_f32 v7, vcc_lo, v3, v2, v3
	s_delay_alu instid0(VALU_DEP_2) | instskip(SKIP_2) | instid1(VALU_DEP_1)
	v_rcp_f32_e32 v5, v4
	s_waitcnt_depctr 0xfff
	v_fma_f32 v6, -v4, v5, 1.0
	v_fmac_f32_e32 v5, v6, v5
	s_delay_alu instid0(VALU_DEP_1) | instskip(NEXT) | instid1(VALU_DEP_1)
	v_mul_f32_e32 v6, v7, v5
	v_fma_f32 v13, -v4, v6, v7
	s_delay_alu instid0(VALU_DEP_1) | instskip(NEXT) | instid1(VALU_DEP_1)
	v_fmac_f32_e32 v6, v13, v5
	v_fma_f32 v4, -v4, v6, v7
	s_delay_alu instid0(VALU_DEP_1) | instskip(NEXT) | instid1(VALU_DEP_1)
	v_div_fmas_f32 v4, v4, v5, v6
	v_div_fixup_f32 v3, v4, v2, v3
	s_delay_alu instid0(VALU_DEP_1) | instskip(NEXT) | instid1(VALU_DEP_1)
	v_fma_f32 v3, v3, v3, 1.0
	v_mul_f32_e32 v4, 0x4f800000, v3
	v_cmp_gt_f32_e32 vcc_lo, 0xf800000, v3
	s_delay_alu instid0(VALU_DEP_2) | instskip(NEXT) | instid1(VALU_DEP_1)
	v_cndmask_b32_e32 v3, v3, v4, vcc_lo
	v_sqrt_f32_e32 v4, v3
	s_waitcnt_depctr 0xfff
	v_add_nc_u32_e32 v5, -1, v4
	v_add_nc_u32_e32 v6, 1, v4
	s_delay_alu instid0(VALU_DEP_2) | instskip(NEXT) | instid1(VALU_DEP_2)
	v_fma_f32 v7, -v5, v4, v3
	v_fma_f32 v13, -v6, v4, v3
	s_delay_alu instid0(VALU_DEP_2) | instskip(NEXT) | instid1(VALU_DEP_1)
	v_cmp_ge_f32_e64 s1, 0, v7
	v_cndmask_b32_e64 v4, v4, v5, s1
	s_delay_alu instid0(VALU_DEP_3) | instskip(NEXT) | instid1(VALU_DEP_1)
	v_cmp_lt_f32_e64 s1, 0, v13
	v_cndmask_b32_e64 v4, v4, v6, s1
	s_delay_alu instid0(VALU_DEP_1) | instskip(NEXT) | instid1(VALU_DEP_1)
	v_mul_f32_e32 v5, 0x37800000, v4
	v_cndmask_b32_e32 v4, v4, v5, vcc_lo
	v_cmp_class_f32_e64 vcc_lo, v3, 0x260
	s_delay_alu instid0(VALU_DEP_2) | instskip(NEXT) | instid1(VALU_DEP_1)
	v_cndmask_b32_e32 v3, v4, v3, vcc_lo
	v_mul_f32_e32 v4, v2, v3
.LBB45_134:
	s_delay_alu instid0(VALU_DEP_1) | instskip(SKIP_1) | instid1(VALU_DEP_2)
	v_mul_f32_e32 v2, 0x4f800000, v4
	v_cmp_gt_f32_e32 vcc_lo, 0xf800000, v4
	v_cndmask_b32_e32 v2, v4, v2, vcc_lo
	s_delay_alu instid0(VALU_DEP_1) | instskip(SKIP_3) | instid1(VALU_DEP_2)
	v_sqrt_f32_e32 v3, v2
	s_waitcnt_depctr 0xfff
	v_add_nc_u32_e32 v4, -1, v3
	v_add_nc_u32_e32 v5, 1, v3
	v_fma_f32 v6, -v4, v3, v2
	s_delay_alu instid0(VALU_DEP_2) | instskip(NEXT) | instid1(VALU_DEP_2)
	v_fma_f32 v7, -v5, v3, v2
	v_cmp_ge_f32_e64 s1, 0, v6
	s_delay_alu instid0(VALU_DEP_1) | instskip(NEXT) | instid1(VALU_DEP_3)
	v_cndmask_b32_e64 v3, v3, v4, s1
	v_cmp_lt_f32_e64 s1, 0, v7
	s_delay_alu instid0(VALU_DEP_1) | instskip(NEXT) | instid1(VALU_DEP_1)
	v_cndmask_b32_e64 v3, v3, v5, s1
	v_mul_f32_e32 v4, 0x37800000, v3
	s_delay_alu instid0(VALU_DEP_1) | instskip(SKIP_1) | instid1(VALU_DEP_2)
	v_cndmask_b32_e32 v3, v3, v4, vcc_lo
	v_cmp_class_f32_e64 vcc_lo, v2, 0x260
	v_dual_cndmask_b32 v2, v3, v2 :: v_dual_mov_b32 v3, 0
	ds_store_b64 v3, v[2:3] offset:992
.LBB45_135:
	s_or_b32 exec_lo, exec_lo, s5
	v_mov_b32_e32 v2, 0
	s_waitcnt lgkmcnt(0)
	buffer_gl0_inv
	ds_load_b64 v[2:3], v2 offset:992
	s_waitcnt lgkmcnt(0)
	v_cmp_neq_f32_e32 vcc_lo, 0, v2
	v_cmp_neq_f32_e64 s1, 0, v3
	s_delay_alu instid0(VALU_DEP_1) | instskip(SKIP_2) | instid1(SALU_CYCLE_1)
	s_or_b32 vcc_lo, vcc_lo, s1
	v_dual_cndmask_b32 v3, 0, v3 :: v_dual_cndmask_b32 v2, 1.0, v2
	s_or_b32 s0, vcc_lo, s0
	s_xor_b32 s1, s0, -1
	s_delay_alu instid0(SALU_CYCLE_1)
	s_and_saveexec_b32 s0, s1
	s_cbranch_execz .LBB45_139
; %bb.136:
	v_mbcnt_lo_u32_b32 v2, exec_lo, 0
	s_mov_b32 s1, exec_lo
	s_delay_alu instid0(VALU_DEP_1)
	v_cmpx_eq_u32_e32 0, v2
	s_cbranch_execz .LBB45_138
; %bb.137:
	v_dual_mov_b32 v2, 0 :: v_dual_mov_b32 v3, s2
	global_atomic_min_i32 v2, v3, s[10:11]
.LBB45_138:
	s_or_b32 exec_lo, exec_lo, s1
	v_dual_mov_b32 v2, 1.0 :: v_dual_mov_b32 v3, 0
.LBB45_139:
	s_or_b32 exec_lo, exec_lo, s0
	s_delay_alu instid0(SALU_CYCLE_1)
	s_mov_b32 s0, exec_lo
	v_cmpx_lt_u32_e32 5, v9
	s_cbranch_execz .LBB45_141
; %bb.140:
	v_mul_u32_u24_e32 v16, 56, v9
	ds_load_2addr_b64 v[4:7], v16 offset0:89 offset1:131
	s_waitcnt lgkmcnt(0)
	v_dual_mul_f32 v13, v3, v3 :: v_dual_sub_f32 v4, v4, v6
	v_sub_f32_e32 v5, v5, v7
	s_delay_alu instid0(VALU_DEP_1) | instskip(NEXT) | instid1(VALU_DEP_1)
	v_dual_fmac_f32 v13, v2, v2 :: v_dual_mul_f32 v6, v3, v5
	v_div_scale_f32 v14, null, v13, v13, 1.0
	v_div_scale_f32 v18, vcc_lo, 1.0, v13, 1.0
	v_mul_f32_e64 v3, v3, -v4
	s_delay_alu instid0(VALU_DEP_3) | instskip(SKIP_1) | instid1(VALU_DEP_2)
	v_rcp_f32_e32 v15, v14
	v_fmac_f32_e32 v6, v4, v2
	v_fmac_f32_e32 v3, v5, v2
	s_waitcnt_depctr 0xfff
	v_fma_f32 v17, -v14, v15, 1.0
	s_delay_alu instid0(VALU_DEP_1) | instskip(NEXT) | instid1(VALU_DEP_1)
	v_fmac_f32_e32 v15, v17, v15
	v_mul_f32_e32 v17, v18, v15
	s_delay_alu instid0(VALU_DEP_1) | instskip(NEXT) | instid1(VALU_DEP_1)
	v_fma_f32 v19, -v14, v17, v18
	v_fmac_f32_e32 v17, v19, v15
	s_delay_alu instid0(VALU_DEP_1) | instskip(NEXT) | instid1(VALU_DEP_1)
	v_fma_f32 v7, -v14, v17, v18
	v_div_fmas_f32 v7, v7, v15, v17
	s_delay_alu instid0(VALU_DEP_1) | instskip(NEXT) | instid1(VALU_DEP_1)
	v_div_fixup_f32 v4, v7, v13, 1.0
	v_mul_f32_e32 v2, v4, v6
	v_mul_f32_e32 v3, v4, v3
	v_mul_u32_u24_e32 v4, 56, v8
	ds_store_b64 v16, v[2:3] offset:712
	s_waitcnt lgkmcnt(0)
	s_waitcnt_vscnt null, 0x0
	buffer_gl0_inv
	ds_load_b64 v[4:5], v4 offset:712
	ds_load_b64 v[6:7], v12
	s_waitcnt lgkmcnt(0)
	v_fma_f32 v6, v2, v4, v6
	v_fmac_f32_e32 v7, v3, v4
	s_delay_alu instid0(VALU_DEP_2) | instskip(NEXT) | instid1(VALU_DEP_2)
	v_fmac_f32_e32 v6, v3, v5
	v_fma_f32 v7, v2, -v5, v7
	ds_store_b64 v12, v[6:7]
.LBB45_141:
	s_or_b32 exec_lo, exec_lo, s0
	s_delay_alu instid0(SALU_CYCLE_1)
	s_and_not1_b32 vcc_lo, exec_lo, s4
	s_waitcnt lgkmcnt(0)
	s_waitcnt_vscnt null, 0x0
	buffer_gl0_inv
	s_cbranch_vccnz .LBB45_143
; %bb.142:
	v_mov_b32_e32 v10, v11
.LBB45_143:
	s_delay_alu instid0(VALU_DEP_1) | instskip(SKIP_3) | instid1(VALU_DEP_1)
	v_add_nc_u32_e32 v2, s3, v10
	ds_load_b64 v[4:5], v0
	v_cmp_eq_u32_e64 s3, 0, v1
	v_ashrrev_i32_e32 v3, 31, v2
	v_lshlrev_b64 v[2:3], 3, v[2:3]
	s_delay_alu instid0(VALU_DEP_1) | instskip(NEXT) | instid1(VALU_DEP_2)
	v_add_co_u32 v2, vcc_lo, s18, v2
	v_add_co_ci_u32_e32 v3, vcc_lo, s19, v3, vcc_lo
	s_waitcnt lgkmcnt(0)
	global_store_b64 v[2:3], v[4:5], off
	s_branch .LBB45_149
.LBB45_144:
	v_or_b32_e32 v0, v8, v9
	s_mov_b32 s0, exec_lo
	s_delay_alu instid0(VALU_DEP_1)
	v_cmpx_eq_u32_e32 0, v0
	s_cbranch_execz .LBB45_148
; %bb.145:
	v_mbcnt_lo_u32_b32 v0, exec_lo, 0
	s_mov_b32 s1, exec_lo
	s_delay_alu instid0(VALU_DEP_1)
	v_cmpx_eq_u32_e32 0, v0
	s_cbranch_execz .LBB45_147
; %bb.146:
	s_add_i32 s2, s16, s17
	s_delay_alu instid0(SALU_CYCLE_1)
	v_dual_mov_b32 v0, 0 :: v_dual_mov_b32 v1, s2
	global_atomic_min_i32 v0, v1, s[10:11]
.LBB45_147:
	s_or_b32 exec_lo, exec_lo, s1
	s_delay_alu instid0(SALU_CYCLE_1)
	s_or_b32 s3, s3, exec_lo
.LBB45_148:
	s_or_b32 exec_lo, exec_lo, s0
.LBB45_149:
	s_and_saveexec_b32 s0, s3
	s_cbranch_execnz .LBB45_151
; %bb.150:
	s_nop 0
	s_sendmsg sendmsg(MSG_DEALLOC_VGPRS)
	s_endpgm
.LBB45_151:
	v_dual_mov_b32 v0, 0 :: v_dual_mov_b32 v1, 1
	s_add_u32 s0, s6, s8
	s_addc_u32 s1, s7, s9
	s_waitcnt_vscnt null, 0x0
	global_store_b32 v0, v1, s[0:1]
	s_nop 0
	s_sendmsg sendmsg(MSG_DEALLOC_VGPRS)
	s_endpgm
	.section	.rodata,"a",@progbits
	.p2align	6, 0x0
	.amdhsa_kernel _ZN9rocsparseL26bsric0_2_8_unrolled_kernelILi36ELi32ELi6E21rocsparse_complex_numIfEEEv20rocsparse_direction_iiPKiS5_PT2_S5_PiS5_S8_21rocsparse_index_base_
		.amdhsa_group_segment_fixed_size 1728
		.amdhsa_private_segment_fixed_size 0
		.amdhsa_kernarg_size 76
		.amdhsa_user_sgpr_count 15
		.amdhsa_user_sgpr_dispatch_ptr 0
		.amdhsa_user_sgpr_queue_ptr 0
		.amdhsa_user_sgpr_kernarg_segment_ptr 1
		.amdhsa_user_sgpr_dispatch_id 0
		.amdhsa_user_sgpr_private_segment_size 0
		.amdhsa_wavefront_size32 1
		.amdhsa_uses_dynamic_stack 0
		.amdhsa_enable_private_segment 0
		.amdhsa_system_sgpr_workgroup_id_x 1
		.amdhsa_system_sgpr_workgroup_id_y 0
		.amdhsa_system_sgpr_workgroup_id_z 0
		.amdhsa_system_sgpr_workgroup_info 0
		.amdhsa_system_vgpr_workitem_id 1
		.amdhsa_next_free_vgpr 49
		.amdhsa_next_free_sgpr 37
		.amdhsa_reserve_vcc 1
		.amdhsa_float_round_mode_32 0
		.amdhsa_float_round_mode_16_64 0
		.amdhsa_float_denorm_mode_32 3
		.amdhsa_float_denorm_mode_16_64 3
		.amdhsa_dx10_clamp 1
		.amdhsa_ieee_mode 1
		.amdhsa_fp16_overflow 0
		.amdhsa_workgroup_processor_mode 1
		.amdhsa_memory_ordered 1
		.amdhsa_forward_progress 0
		.amdhsa_shared_vgpr_count 0
		.amdhsa_exception_fp_ieee_invalid_op 0
		.amdhsa_exception_fp_denorm_src 0
		.amdhsa_exception_fp_ieee_div_zero 0
		.amdhsa_exception_fp_ieee_overflow 0
		.amdhsa_exception_fp_ieee_underflow 0
		.amdhsa_exception_fp_ieee_inexact 0
		.amdhsa_exception_int_div_zero 0
	.end_amdhsa_kernel
	.section	.text._ZN9rocsparseL26bsric0_2_8_unrolled_kernelILi36ELi32ELi6E21rocsparse_complex_numIfEEEv20rocsparse_direction_iiPKiS5_PT2_S5_PiS5_S8_21rocsparse_index_base_,"axG",@progbits,_ZN9rocsparseL26bsric0_2_8_unrolled_kernelILi36ELi32ELi6E21rocsparse_complex_numIfEEEv20rocsparse_direction_iiPKiS5_PT2_S5_PiS5_S8_21rocsparse_index_base_,comdat
.Lfunc_end45:
	.size	_ZN9rocsparseL26bsric0_2_8_unrolled_kernelILi36ELi32ELi6E21rocsparse_complex_numIfEEEv20rocsparse_direction_iiPKiS5_PT2_S5_PiS5_S8_21rocsparse_index_base_, .Lfunc_end45-_ZN9rocsparseL26bsric0_2_8_unrolled_kernelILi36ELi32ELi6E21rocsparse_complex_numIfEEEv20rocsparse_direction_iiPKiS5_PT2_S5_PiS5_S8_21rocsparse_index_base_
                                        ; -- End function
	.section	.AMDGPU.csdata,"",@progbits
; Kernel info:
; codeLenInByte = 12368
; NumSgprs: 39
; NumVgprs: 49
; ScratchSize: 0
; MemoryBound: 0
; FloatMode: 240
; IeeeMode: 1
; LDSByteSize: 1728 bytes/workgroup (compile time only)
; SGPRBlocks: 4
; VGPRBlocks: 6
; NumSGPRsForWavesPerEU: 39
; NumVGPRsForWavesPerEU: 49
; Occupancy: 16
; WaveLimiterHint : 1
; COMPUTE_PGM_RSRC2:SCRATCH_EN: 0
; COMPUTE_PGM_RSRC2:USER_SGPR: 15
; COMPUTE_PGM_RSRC2:TRAP_HANDLER: 0
; COMPUTE_PGM_RSRC2:TGID_X_EN: 1
; COMPUTE_PGM_RSRC2:TGID_Y_EN: 0
; COMPUTE_PGM_RSRC2:TGID_Z_EN: 0
; COMPUTE_PGM_RSRC2:TIDIG_COMP_CNT: 1
	.section	.text._ZN9rocsparseL26bsric0_2_8_unrolled_kernelILi49ELi32ELi7E21rocsparse_complex_numIfEEEv20rocsparse_direction_iiPKiS5_PT2_S5_PiS5_S8_21rocsparse_index_base_,"axG",@progbits,_ZN9rocsparseL26bsric0_2_8_unrolled_kernelILi49ELi32ELi7E21rocsparse_complex_numIfEEEv20rocsparse_direction_iiPKiS5_PT2_S5_PiS5_S8_21rocsparse_index_base_,comdat
	.globl	_ZN9rocsparseL26bsric0_2_8_unrolled_kernelILi49ELi32ELi7E21rocsparse_complex_numIfEEEv20rocsparse_direction_iiPKiS5_PT2_S5_PiS5_S8_21rocsparse_index_base_ ; -- Begin function _ZN9rocsparseL26bsric0_2_8_unrolled_kernelILi49ELi32ELi7E21rocsparse_complex_numIfEEEv20rocsparse_direction_iiPKiS5_PT2_S5_PiS5_S8_21rocsparse_index_base_
	.p2align	8
	.type	_ZN9rocsparseL26bsric0_2_8_unrolled_kernelILi49ELi32ELi7E21rocsparse_complex_numIfEEEv20rocsparse_direction_iiPKiS5_PT2_S5_PiS5_S8_21rocsparse_index_base_,@function
_ZN9rocsparseL26bsric0_2_8_unrolled_kernelILi49ELi32ELi7E21rocsparse_complex_numIfEEEv20rocsparse_direction_iiPKiS5_PT2_S5_PiS5_S8_21rocsparse_index_base_: ; @_ZN9rocsparseL26bsric0_2_8_unrolled_kernelILi49ELi32ELi7E21rocsparse_complex_numIfEEEv20rocsparse_direction_iiPKiS5_PT2_S5_PiS5_S8_21rocsparse_index_base_
; %bb.0:
	s_load_b256 s[4:11], s[0:1], 0x28
	s_mov_b32 s2, s15
	s_mov_b32 s3, 0
	v_and_b32_e32 v8, 0x3ff, v0
	s_lshl_b64 s[12:13], s[2:3], 2
	v_bfe_u32 v9, v0, 10, 10
	s_waitcnt lgkmcnt(0)
	s_add_u32 s8, s8, s12
	s_addc_u32 s9, s9, s13
	s_load_b32 s16, s[8:9], 0x0
	s_waitcnt lgkmcnt(0)
	s_ashr_i32 s17, s16, 31
	s_delay_alu instid0(SALU_CYCLE_1) | instskip(NEXT) | instid1(SALU_CYCLE_1)
	s_lshl_b64 s[8:9], s[16:17], 2
	s_add_u32 s12, s4, s8
	s_addc_u32 s13, s5, s9
	s_load_b32 s26, s[12:13], 0x0
	s_load_b32 s17, s[0:1], 0x48
	s_waitcnt lgkmcnt(0)
	s_cmp_lg_u32 s26, -1
	s_cbranch_scc0 .LBB46_64
; %bb.1:
	s_clause 0x1
	s_load_b128 s[12:15], s[0:1], 0x10
	s_load_b64 s[18:19], s[0:1], 0x20
	v_mad_u32_u24 v10, v9, 7, v8
	s_waitcnt lgkmcnt(0)
	s_add_u32 s2, s12, s8
	s_addc_u32 s3, s13, s9
	s_load_b32 s2, s[2:3], 0x0
	s_mov_b32 s3, exec_lo
	s_waitcnt lgkmcnt(0)
	s_sub_i32 s27, s2, s17
	s_delay_alu instid0(SALU_CYCLE_1) | instskip(NEXT) | instid1(VALU_DEP_1)
	v_add_nc_u32_e32 v0, s27, v10
	v_cmpx_ge_i32_e64 s26, v0
	s_cbranch_execz .LBB46_4
; %bb.2:
	v_ashrrev_i32_e32 v1, 31, v0
	v_lshl_add_u32 v3, v10, 2, 0x800
	s_mov_b32 s20, 0
	s_delay_alu instid0(VALU_DEP_2) | instskip(NEXT) | instid1(VALU_DEP_1)
	v_lshlrev_b64 v[1:2], 2, v[0:1]
	v_add_co_u32 v1, vcc_lo, s14, v1
	s_delay_alu instid0(VALU_DEP_2)
	v_add_co_ci_u32_e32 v2, vcc_lo, s15, v2, vcc_lo
	.p2align	6
.LBB46_3:                               ; =>This Inner Loop Header: Depth=1
	global_load_b32 v4, v[1:2], off
	v_add_nc_u32_e32 v0, 49, v0
	v_add_co_u32 v1, vcc_lo, 0xc4, v1
	v_add_co_ci_u32_e32 v2, vcc_lo, 0, v2, vcc_lo
	s_delay_alu instid0(VALU_DEP_3) | instskip(NEXT) | instid1(VALU_DEP_1)
	v_cmp_lt_i32_e64 s2, s26, v0
	s_or_b32 s20, s2, s20
	s_waitcnt vmcnt(0)
	v_subrev_nc_u32_e32 v4, s17, v4
	ds_store_b32 v3, v4
	v_add_nc_u32_e32 v3, 0xc4, v3
	s_and_not1_b32 exec_lo, exec_lo, s20
	s_cbranch_execnz .LBB46_3
.LBB46_4:
	s_or_b32 exec_lo, exec_lo, s3
	s_load_b32 s28, s[0:1], 0x0
	v_mov_b32_e32 v0, 0
	v_lshlrev_b32_e32 v2, 3, v8
	v_mul_u32_u24_e32 v14, 7, v9
	v_mad_u32_u24 v11, v8, 7, v9
	s_cmp_ge_i32 s27, s26
	v_mov_b32_e32 v1, v0
	v_lshl_add_u32 v13, v9, 6, v2
	s_delay_alu instid0(VALU_DEP_1)
	v_add_nc_u32_e32 v12, 0x540, v13
	ds_store_b64 v13, v[0:1] offset:1344
	s_waitcnt lgkmcnt(0)
	buffer_gl0_inv
	s_cbranch_scc1 .LBB46_58
; %bb.5:
	v_lshlrev_b32_e32 v1, 6, v9
	s_cmp_eq_u32 s28, 0
	v_mad_u32_u24 v3, v8, 7, v9
	v_or_b32_e32 v4, v8, v9
	s_cselect_b32 vcc_lo, -1, 0
	v_add_nc_u32_e32 v16, 0x380, v1
	v_add_nc_u32_e32 v17, 0x1c0, v1
	v_mul_u32_u24_e32 v15, 7, v8
	v_add_nc_u32_e32 v18, v1, v2
	v_cndmask_b32_e32 v1, v3, v10, vcc_lo
	v_add_nc_u32_e32 v19, v16, v2
	v_add_nc_u32_e32 v20, v17, v2
	v_cmp_ne_u32_e64 s0, 0, v4
	v_lshl_add_u32 v21, v8, 6, 0x380
	s_cmp_lg_u32 s28, 0
	s_mov_b32 s2, s27
	s_cselect_b32 s29, -1, 0
	s_branch .LBB46_9
.LBB46_6:                               ;   in Loop: Header=BB46_9 Depth=1
	s_or_b32 exec_lo, exec_lo, s20
	v_dual_mov_b32 v6, 1.0 :: v_dual_mov_b32 v7, 0
.LBB46_7:                               ;   in Loop: Header=BB46_9 Depth=1
	s_or_b32 exec_lo, exec_lo, s1
	ds_load_b128 v[22:25], v16
	ds_load_b64 v[42:43], v17 offset:48
	ds_load_b128 v[26:29], v0 offset:384
	ds_load_b128 v[30:33], v0 offset:400
	;; [unrolled: 1-line block ×3, first 2 shown]
	s_add_i32 s2, s2, 1
	s_delay_alu instid0(SALU_CYCLE_1) | instskip(SKIP_4) | instid1(VALU_DEP_2)
	s_cmp_ge_i32 s2, s26
	s_cselect_b32 s23, -1, 0
	s_waitcnt lgkmcnt(2)
	v_fma_f32 v38, v27, v22, v43
	v_fmac_f32_e32 v42, v26, v22
	v_fma_f32 v22, v26, -v23, v38
	s_delay_alu instid0(VALU_DEP_2) | instskip(SKIP_2) | instid1(VALU_DEP_1)
	v_fmac_f32_e32 v42, v27, v23
	ds_load_b128 v[38:41], v16 offset:32
	v_fmac_f32_e32 v22, v29, v24
	v_fma_f32 v27, v28, -v25, v22
	s_waitcnt lgkmcnt(1)
	s_delay_alu instid0(VALU_DEP_1) | instskip(NEXT) | instid1(VALU_DEP_1)
	v_fmac_f32_e32 v27, v31, v34
	v_fma_f32 v27, v30, -v35, v27
	s_delay_alu instid0(VALU_DEP_1) | instskip(NEXT) | instid1(VALU_DEP_1)
	v_fmac_f32_e32 v27, v33, v36
	v_fma_f32 v27, v32, -v37, v27
	v_fmac_f32_e32 v42, v28, v24
	s_delay_alu instid0(VALU_DEP_1) | instskip(SKIP_2) | instid1(VALU_DEP_1)
	v_fmac_f32_e32 v42, v29, v25
	ds_load_b128 v[22:25], v0 offset:416
	v_fmac_f32_e32 v42, v30, v34
	v_fmac_f32_e32 v42, v31, v35
	s_delay_alu instid0(VALU_DEP_1) | instskip(SKIP_1) | instid1(VALU_DEP_1)
	v_fmac_f32_e32 v42, v32, v36
	s_waitcnt lgkmcnt(0)
	v_dual_fmac_f32 v42, v33, v37 :: v_dual_fmac_f32 v27, v23, v38
	s_delay_alu instid0(VALU_DEP_1) | instskip(NEXT) | instid1(VALU_DEP_2)
	v_fmac_f32_e32 v42, v22, v38
	v_fma_f32 v22, v22, -v39, v27
	s_delay_alu instid0(VALU_DEP_2) | instskip(NEXT) | instid1(VALU_DEP_2)
	v_fmac_f32_e32 v42, v23, v39
	v_fmac_f32_e32 v22, v25, v40
	s_delay_alu instid0(VALU_DEP_2) | instskip(NEXT) | instid1(VALU_DEP_2)
	v_fmac_f32_e32 v42, v24, v40
	v_fma_f32 v22, v24, -v41, v22
	v_mul_f32_e32 v26, v7, v7
	s_delay_alu instid0(VALU_DEP_3) | instskip(NEXT) | instid1(VALU_DEP_3)
	v_fmac_f32_e32 v42, v25, v41
	v_sub_f32_e32 v5, v5, v22
	s_delay_alu instid0(VALU_DEP_3) | instskip(NEXT) | instid1(VALU_DEP_3)
	v_fmac_f32_e32 v26, v6, v6
	v_sub_f32_e32 v4, v4, v42
	s_delay_alu instid0(VALU_DEP_2) | instskip(SKIP_1) | instid1(VALU_DEP_2)
	v_div_scale_f32 v28, null, v26, v26, 1.0
	v_div_scale_f32 v31, vcc_lo, 1.0, v26, 1.0
	v_rcp_f32_e32 v29, v28
	s_waitcnt_depctr 0xfff
	v_fma_f32 v30, -v28, v29, 1.0
	s_delay_alu instid0(VALU_DEP_1) | instskip(NEXT) | instid1(VALU_DEP_1)
	v_fmac_f32_e32 v29, v30, v29
	v_mul_f32_e32 v30, v31, v29
	s_delay_alu instid0(VALU_DEP_1) | instskip(NEXT) | instid1(VALU_DEP_1)
	v_fma_f32 v23, -v28, v30, v31
	v_fmac_f32_e32 v30, v23, v29
	s_delay_alu instid0(VALU_DEP_1) | instskip(NEXT) | instid1(VALU_DEP_1)
	v_fma_f32 v23, -v28, v30, v31
	v_div_fmas_f32 v22, v23, v29, v30
	v_mul_f32_e32 v23, v7, v5
	v_mul_f32_e64 v7, v7, -v4
	s_delay_alu instid0(VALU_DEP_3) | instskip(NEXT) | instid1(VALU_DEP_3)
	v_div_fixup_f32 v22, v22, v26, 1.0
	v_fmac_f32_e32 v23, v4, v6
	s_delay_alu instid0(VALU_DEP_1) | instskip(NEXT) | instid1(VALU_DEP_1)
	v_dual_fmac_f32 v7, v5, v6 :: v_dual_mul_f32 v4, v22, v23
	v_mul_f32_e32 v5, v22, v7
	ds_store_b64 v16, v[4:5] offset:48
	s_waitcnt lgkmcnt(0)
	s_waitcnt_vscnt null, 0x0
	buffer_gl0_inv
	ds_load_b64 v[6:7], v21 offset:48
	ds_load_b64 v[22:23], v12
	s_waitcnt lgkmcnt(0)
	v_fmac_f32_e32 v23, v5, v6
	v_fma_f32 v22, v4, v6, v22
	s_delay_alu instid0(VALU_DEP_2) | instskip(NEXT) | instid1(VALU_DEP_2)
	v_fma_f32 v23, v4, -v7, v23
	v_fmac_f32_e32 v22, v5, v7
	ds_store_b64 v12, v[22:23]
	s_waitcnt lgkmcnt(0)
	buffer_gl0_inv
	ds_load_b64 v[4:5], v19
	s_waitcnt lgkmcnt(0)
	global_store_b64 v[2:3], v[4:5], off
	s_waitcnt_vscnt null, 0x0
	buffer_gl1_inv
	buffer_gl0_inv
.LBB46_8:                               ;   in Loop: Header=BB46_9 Depth=1
	s_and_b32 vcc_lo, exec_lo, s23
	s_cbranch_vccnz .LBB46_58
.LBB46_9:                               ; =>This Loop Header: Depth=1
                                        ;     Child Loop BB46_12 Depth 2
                                        ;     Child Loop BB46_23 Depth 2
	s_ashr_i32 s3, s2, 31
	s_delay_alu instid0(SALU_CYCLE_1) | instskip(NEXT) | instid1(SALU_CYCLE_1)
	s_lshl_b64 s[20:21], s[2:3], 2
	s_add_u32 s20, s14, s20
	s_addc_u32 s21, s15, s21
	s_load_b32 s3, s[20:21], 0x0
	s_waitcnt lgkmcnt(0)
	s_sub_i32 s22, s3, s17
	s_delay_alu instid0(SALU_CYCLE_1) | instskip(NEXT) | instid1(SALU_CYCLE_1)
	s_ashr_i32 s23, s22, 31
	s_lshl_b64 s[20:21], s[22:23], 2
	s_mov_b32 s23, -1
	s_add_u32 s24, s4, s20
	s_addc_u32 s25, s5, s21
	s_load_b32 s1, s[24:25], 0x0
	s_waitcnt lgkmcnt(0)
	s_cmp_eq_u32 s1, -1
	s_cbranch_scc1 .LBB46_8
; %bb.10:                               ;   in Loop: Header=BB46_9 Depth=1
	v_mad_u64_u32 v[2:3], null, s2, 49, v[1:2]
	s_add_u32 s24, s12, s20
	s_addc_u32 s25, s13, s21
	ds_load_b32 v6, v0 offset:2048
	s_load_b32 s23, s[24:25], 0x0
	v_ashrrev_i32_e32 v3, 31, v2
	s_delay_alu instid0(VALU_DEP_1) | instskip(NEXT) | instid1(VALU_DEP_1)
	v_lshlrev_b64 v[2:3], 3, v[2:3]
	v_add_co_u32 v2, vcc_lo, s18, v2
	s_delay_alu instid0(VALU_DEP_2)
	v_add_co_ci_u32_e32 v3, vcc_lo, s19, v3, vcc_lo
	s_waitcnt lgkmcnt(0)
	v_cmp_ge_i32_e32 vcc_lo, s22, v6
	s_sub_i32 s24, s23, s17
	global_load_b64 v[4:5], v[2:3], off
	s_cmp_le_i32 s24, s1
	s_cselect_b32 s23, -1, 0
	s_delay_alu instid0(SALU_CYCLE_1) | instskip(NEXT) | instid1(SALU_CYCLE_1)
	s_and_b32 s23, s23, vcc_lo
	s_and_not1_b32 vcc_lo, exec_lo, s23
	s_mov_b32 s23, 0
	s_waitcnt vmcnt(0)
	ds_store_b64 v19, v[4:5]
	s_cbranch_vccnz .LBB46_22
; %bb.11:                               ;   in Loop: Header=BB46_9 Depth=1
	s_mov_b32 s30, 0
	s_mov_b32 s31, 0
.LBB46_12:                              ;   Parent Loop BB46_9 Depth=1
                                        ; =>  This Inner Loop Header: Depth=2
	s_ashr_i32 s25, s24, 31
                                        ; implicit-def: $sgpr33
	s_delay_alu instid0(SALU_CYCLE_1) | instskip(NEXT) | instid1(SALU_CYCLE_1)
	s_lshl_b64 s[34:35], s[24:25], 2
	s_add_u32 s34, s14, s34
	s_addc_u32 s35, s15, s35
	s_lshl_b32 s23, s31, 2
	s_delay_alu instid0(SALU_CYCLE_1)
	v_mov_b32_e32 v4, s23
	s_load_b32 s23, s[34:35], 0x0
	s_mov_b32 s35, -1
                                        ; implicit-def: $sgpr34
	ds_load_b32 v4, v4 offset:2048
	s_waitcnt lgkmcnt(0)
	s_sub_i32 s36, s23, s17
                                        ; implicit-def: $sgpr23
	s_delay_alu instid0(SALU_CYCLE_1)
	v_cmp_ge_i32_e32 vcc_lo, s36, v4
	v_readfirstlane_b32 s25, v4
	s_cbranch_vccz .LBB46_18
; %bb.13:                               ;   in Loop: Header=BB46_12 Depth=2
	s_delay_alu instid0(VALU_DEP_1)
	s_cmp_le_i32 s36, s25
                                        ; implicit-def: $sgpr23
                                        ; implicit-def: $sgpr34
                                        ; implicit-def: $sgpr33
	s_cbranch_scc0 .LBB46_15
; %bb.14:                               ;   in Loop: Header=BB46_12 Depth=2
	s_add_i32 s23, s31, s27
	s_lshl_b32 s33, s30, 2
	s_mul_i32 s23, s23, 49
	s_mul_i32 s34, s24, 49
	s_delay_alu instid0(SALU_CYCLE_1)
	v_dual_mov_b32 v4, s23 :: v_dual_mov_b32 v5, s34
	v_add_nc_u32_e64 v6, 0x400, s33
	s_add_i32 s33, s31, 1
	s_add_i32 s34, s24, 1
	;; [unrolled: 1-line block ×3, first 2 shown]
	s_mov_b32 s35, 0
	ds_store_2addr_b32 v6, v5, v4 offset0:192 offset1:224
.LBB46_15:                              ;   in Loop: Header=BB46_12 Depth=2
	s_and_not1_b32 vcc_lo, exec_lo, s35
	s_cbranch_vccnz .LBB46_17
; %bb.16:                               ;   in Loop: Header=BB46_12 Depth=2
	s_add_i32 s33, s31, 1
	s_mov_b32 s23, s30
	s_mov_b32 s34, s24
.LBB46_17:                              ;   in Loop: Header=BB46_12 Depth=2
	s_mov_b32 s35, 0
.LBB46_18:                              ;   in Loop: Header=BB46_12 Depth=2
	s_delay_alu instid0(SALU_CYCLE_1)
	s_and_not1_b32 vcc_lo, exec_lo, s35
	s_cbranch_vccnz .LBB46_20
; %bb.19:                               ;   in Loop: Header=BB46_12 Depth=2
	s_add_i32 s34, s24, 1
	s_mov_b32 s33, s31
	s_mov_b32 s23, s30
.LBB46_20:                              ;   in Loop: Header=BB46_12 Depth=2
	s_cmp_le_i32 s34, s1
	s_cselect_b32 s24, -1, 0
	s_cmp_le_i32 s25, s22
	s_cselect_b32 s25, -1, 0
	s_delay_alu instid0(SALU_CYCLE_1) | instskip(NEXT) | instid1(SALU_CYCLE_1)
	s_and_b32 s24, s24, s25
	s_and_b32 vcc_lo, exec_lo, s24
	s_cbranch_vccz .LBB46_22
; %bb.21:                               ;   in Loop: Header=BB46_12 Depth=2
	s_mov_b32 s30, s23
	s_mov_b32 s24, s34
	;; [unrolled: 1-line block ×3, first 2 shown]
	s_branch .LBB46_12
.LBB46_22:                              ;   in Loop: Header=BB46_9 Depth=1
	s_add_u32 s20, s6, s20
	s_addc_u32 s21, s7, s21
	s_waitcnt lgkmcnt(0)
	buffer_gl0_inv
.LBB46_23:                              ;   Parent Loop BB46_9 Depth=1
                                        ; =>  This Inner Loop Header: Depth=2
	global_load_b32 v4, v0, s[20:21] glc
	s_waitcnt vmcnt(0)
	v_cmp_eq_u32_e32 vcc_lo, 0, v4
	s_cbranch_vccnz .LBB46_23
; %bb.24:                               ;   in Loop: Header=BB46_9 Depth=1
	v_mad_u64_u32 v[4:5], null, s1, 49, v[1:2]
	buffer_gl1_inv
	buffer_gl0_inv
	v_dual_mov_b32 v7, 0 :: v_dual_mov_b32 v6, 0
	s_cmp_lt_i32 s23, 2
	v_ashrrev_i32_e32 v5, 31, v4
	s_delay_alu instid0(VALU_DEP_1) | instskip(NEXT) | instid1(VALU_DEP_1)
	v_lshlrev_b64 v[4:5], 3, v[4:5]
	v_add_co_u32 v4, vcc_lo, s18, v4
	s_delay_alu instid0(VALU_DEP_2)
	v_add_co_ci_u32_e32 v5, vcc_lo, s19, v5, vcc_lo
	global_load_b64 v[4:5], v[4:5], off
	s_waitcnt vmcnt(0)
	ds_store_b64 v18, v[4:5]
	s_waitcnt lgkmcnt(0)
	buffer_gl0_inv
	s_cbranch_scc1 .LBB46_31
; %bb.25:                               ;   in Loop: Header=BB46_9 Depth=1
	v_dual_mov_b32 v23, 0 :: v_dual_mov_b32 v22, 0
	s_add_i32 s1, s23, -1
	s_movk_i32 s20, 0x700
	s_delay_alu instid0(SALU_CYCLE_1)
	v_mov_b32_e32 v4, s20
	s_and_b32 vcc_lo, exec_lo, s29
	ds_load_2addr_b32 v[4:5], v4 offset1:32
	s_cbranch_vccz .LBB46_27
.LBB46_26:                              ;   in Loop: Header=BB46_9 Depth=1
	s_waitcnt lgkmcnt(0)
	v_add_nc_u32_e32 v6, v4, v8
	v_add_nc_u32_e32 v24, v5, v9
	s_delay_alu instid0(VALU_DEP_2) | instskip(SKIP_1) | instid1(VALU_DEP_3)
	v_ashrrev_i32_e32 v7, 31, v6
	v_add_nc_u32_e32 v26, 7, v6
	v_ashrrev_i32_e32 v25, 31, v24
	v_add_nc_u32_e32 v28, 7, v24
	v_add_nc_u32_e32 v34, 14, v6
	v_lshlrev_b64 v[30:31], 3, v[6:7]
	v_ashrrev_i32_e32 v27, 31, v26
	v_lshlrev_b64 v[32:33], 3, v[24:25]
	v_ashrrev_i32_e32 v29, 31, v28
	v_ashrrev_i32_e32 v35, 31, v34
	v_add_nc_u32_e32 v36, 14, v24
	v_lshlrev_b64 v[25:26], 3, v[26:27]
	v_add_co_u32 v30, vcc_lo, s18, v30
	v_add_co_ci_u32_e32 v31, vcc_lo, s19, v31, vcc_lo
	v_add_co_u32 v32, vcc_lo, s18, v32
	v_lshlrev_b64 v[27:28], 3, v[28:29]
	v_add_co_ci_u32_e32 v33, vcc_lo, s19, v33, vcc_lo
	v_add_co_u32 v25, vcc_lo, s18, v25
	v_add_co_ci_u32_e32 v26, vcc_lo, s19, v26, vcc_lo
	s_delay_alu instid0(VALU_DEP_4)
	v_add_co_u32 v27, vcc_lo, s18, v27
	v_add_co_ci_u32_e32 v28, vcc_lo, s19, v28, vcc_lo
	v_lshlrev_b64 v[34:35], 3, v[34:35]
	v_ashrrev_i32_e32 v37, 31, v36
	s_clause 0x3
	global_load_b64 v[29:30], v[30:31], off
	global_load_b64 v[31:32], v[32:33], off
	global_load_b64 v[25:26], v[25:26], off
	global_load_b64 v[27:28], v[27:28], off
	v_add_nc_u32_e32 v33, 21, v6
	v_add_nc_u32_e32 v44, 28, v24
	;; [unrolled: 1-line block ×3, first 2 shown]
	v_add_co_u32 v38, vcc_lo, s18, v34
	v_lshlrev_b64 v[36:37], 3, v[36:37]
	v_add_co_ci_u32_e32 v39, vcc_lo, s19, v35, vcc_lo
	v_add_nc_u32_e32 v35, 21, v24
	v_ashrrev_i32_e32 v34, 31, v33
	v_ashrrev_i32_e32 v45, 31, v44
	v_add_co_u32 v40, vcc_lo, s18, v36
	s_delay_alu instid0(VALU_DEP_4) | instskip(SKIP_3) | instid1(VALU_DEP_4)
	v_ashrrev_i32_e32 v36, 31, v35
	v_add_co_ci_u32_e32 v41, vcc_lo, s19, v37, vcc_lo
	v_add_nc_u32_e32 v37, 28, v6
	v_lshlrev_b64 v[33:34], 3, v[33:34]
	v_lshlrev_b64 v[35:36], 3, v[35:36]
	s_clause 0x1
	global_load_b64 v[42:43], v[38:39], off
	global_load_b64 v[39:40], v[40:41], off
	v_lshlrev_b64 v[44:45], 3, v[44:45]
	v_ashrrev_i32_e32 v38, 31, v37
	v_add_nc_u32_e32 v48, 35, v24
	v_add_co_u32 v33, vcc_lo, s18, v33
	v_add_co_ci_u32_e32 v34, vcc_lo, s19, v34, vcc_lo
	v_add_co_u32 v35, vcc_lo, s18, v35
	v_lshlrev_b64 v[37:38], 3, v[37:38]
	v_add_co_ci_u32_e32 v36, vcc_lo, s19, v36, vcc_lo
	v_ashrrev_i32_e32 v47, 31, v46
	s_clause 0x1
	global_load_b64 v[33:34], v[33:34], off
	global_load_b64 v[35:36], v[35:36], off
	v_add_co_u32 v37, vcc_lo, s18, v37
	v_add_co_ci_u32_e32 v38, vcc_lo, s19, v38, vcc_lo
	v_ashrrev_i32_e32 v49, 31, v48
	v_add_co_u32 v44, vcc_lo, s18, v44
	v_lshlrev_b64 v[46:47], 3, v[46:47]
	v_add_nc_u32_e32 v6, 42, v6
	v_add_co_ci_u32_e32 v45, vcc_lo, s19, v45, vcc_lo
	v_lshlrev_b64 v[48:49], 3, v[48:49]
	v_add_nc_u32_e32 v50, 42, v24
	s_clause 0x1
	global_load_b64 v[37:38], v[37:38], off
	global_load_b64 v[44:45], v[44:45], off
	v_ashrrev_i32_e32 v7, 31, v6
	v_add_co_u32 v46, vcc_lo, s18, v46
	v_add_co_ci_u32_e32 v47, vcc_lo, s19, v47, vcc_lo
	v_ashrrev_i32_e32 v51, 31, v50
	v_add_co_u32 v48, vcc_lo, s18, v48
	v_lshlrev_b64 v[6:7], 3, v[6:7]
	v_add_co_ci_u32_e32 v49, vcc_lo, s19, v49, vcc_lo
	s_delay_alu instid0(VALU_DEP_4)
	v_lshlrev_b64 v[50:51], 3, v[50:51]
	s_clause 0x1
	global_load_b64 v[46:47], v[46:47], off
	global_load_b64 v[48:49], v[48:49], off
	v_add_co_u32 v6, vcc_lo, s18, v6
	v_add_co_ci_u32_e32 v7, vcc_lo, s19, v7, vcc_lo
	v_add_co_u32 v50, vcc_lo, s18, v50
	v_add_co_ci_u32_e32 v51, vcc_lo, s19, v51, vcc_lo
	s_clause 0x1
	global_load_b64 v[52:53], v[6:7], off
	global_load_b64 v[50:51], v[50:51], off
	s_waitcnt vmcnt(12)
	v_fma_f32 v6, v29, v31, v22
	v_fma_f32 v7, v30, v31, v23
	s_delay_alu instid0(VALU_DEP_2) | instskip(NEXT) | instid1(VALU_DEP_2)
	v_fmac_f32_e32 v6, v30, v32
	v_fma_f32 v7, v29, -v32, v7
	s_waitcnt vmcnt(10)
	s_delay_alu instid0(VALU_DEP_2) | instskip(NEXT) | instid1(VALU_DEP_2)
	v_fmac_f32_e32 v6, v25, v27
	v_fmac_f32_e32 v7, v26, v27
	s_delay_alu instid0(VALU_DEP_2) | instskip(NEXT) | instid1(VALU_DEP_2)
	v_fmac_f32_e32 v6, v26, v28
	v_fma_f32 v7, v25, -v28, v7
	s_waitcnt vmcnt(8)
	s_delay_alu instid0(VALU_DEP_2) | instskip(NEXT) | instid1(VALU_DEP_2)
	v_fmac_f32_e32 v6, v42, v39
	v_fmac_f32_e32 v7, v43, v39
	;; [unrolled: 7-line block ×6, first 2 shown]
	s_delay_alu instid0(VALU_DEP_2) | instskip(NEXT) | instid1(VALU_DEP_2)
	v_fmac_f32_e32 v6, v53, v51
	v_fma_f32 v7, v52, -v51, v7
	s_cbranch_execz .LBB46_28
	s_branch .LBB46_29
.LBB46_27:                              ;   in Loop: Header=BB46_9 Depth=1
                                        ; implicit-def: $vgpr7
.LBB46_28:                              ;   in Loop: Header=BB46_9 Depth=1
	s_waitcnt lgkmcnt(0)
	v_add_nc_u32_e32 v4, v4, v15
	v_add_nc_u32_e32 v6, v5, v14
	s_delay_alu instid0(VALU_DEP_2) | instskip(NEXT) | instid1(VALU_DEP_2)
	v_ashrrev_i32_e32 v5, 31, v4
	v_ashrrev_i32_e32 v7, 31, v6
	s_delay_alu instid0(VALU_DEP_2) | instskip(NEXT) | instid1(VALU_DEP_2)
	v_lshlrev_b64 v[4:5], 3, v[4:5]
	v_lshlrev_b64 v[6:7], 3, v[6:7]
	s_delay_alu instid0(VALU_DEP_2) | instskip(NEXT) | instid1(VALU_DEP_3)
	v_add_co_u32 v44, vcc_lo, s18, v4
	v_add_co_ci_u32_e32 v45, vcc_lo, s19, v5, vcc_lo
	s_delay_alu instid0(VALU_DEP_3) | instskip(NEXT) | instid1(VALU_DEP_4)
	v_add_co_u32 v46, vcc_lo, s18, v6
	v_add_co_ci_u32_e32 v47, vcc_lo, s19, v7, vcc_lo
	s_clause 0x7
	global_load_b128 v[4:7], v[44:45], off
	global_load_b128 v[24:27], v[46:47], off
	global_load_b128 v[28:31], v[44:45], off offset:16
	global_load_b128 v[32:35], v[46:47], off offset:16
	;; [unrolled: 1-line block ×4, first 2 shown]
	global_load_b64 v[44:45], v[44:45], off offset:48
	global_load_b64 v[46:47], v[46:47], off offset:48
	s_waitcnt vmcnt(6)
	v_fmac_f32_e32 v23, v5, v24
	v_fmac_f32_e32 v22, v4, v24
	s_delay_alu instid0(VALU_DEP_2) | instskip(NEXT) | instid1(VALU_DEP_2)
	v_fma_f32 v4, v4, -v25, v23
	v_fmac_f32_e32 v22, v5, v25
	s_delay_alu instid0(VALU_DEP_2) | instskip(NEXT) | instid1(VALU_DEP_2)
	v_fmac_f32_e32 v4, v7, v26
	v_fmac_f32_e32 v22, v6, v26
	s_delay_alu instid0(VALU_DEP_2) | instskip(NEXT) | instid1(VALU_DEP_2)
	v_fma_f32 v4, v6, -v27, v4
	v_fmac_f32_e32 v22, v7, v27
	s_waitcnt vmcnt(4)
	s_delay_alu instid0(VALU_DEP_2) | instskip(NEXT) | instid1(VALU_DEP_2)
	v_fmac_f32_e32 v4, v29, v32
	v_fmac_f32_e32 v22, v28, v32
	s_delay_alu instid0(VALU_DEP_2) | instskip(NEXT) | instid1(VALU_DEP_2)
	v_fma_f32 v4, v28, -v33, v4
	v_fmac_f32_e32 v22, v29, v33
	s_delay_alu instid0(VALU_DEP_2) | instskip(NEXT) | instid1(VALU_DEP_2)
	v_fmac_f32_e32 v4, v31, v34
	v_fmac_f32_e32 v22, v30, v34
	s_delay_alu instid0(VALU_DEP_2) | instskip(NEXT) | instid1(VALU_DEP_2)
	v_fma_f32 v4, v30, -v35, v4
	v_fmac_f32_e32 v22, v31, v35
	s_waitcnt vmcnt(2)
	s_delay_alu instid0(VALU_DEP_2) | instskip(NEXT) | instid1(VALU_DEP_2)
	v_fmac_f32_e32 v4, v37, v40
	v_fmac_f32_e32 v22, v36, v40
	s_delay_alu instid0(VALU_DEP_2) | instskip(NEXT) | instid1(VALU_DEP_2)
	v_fma_f32 v4, v36, -v41, v4
	v_fmac_f32_e32 v22, v37, v41
	s_delay_alu instid0(VALU_DEP_2) | instskip(NEXT) | instid1(VALU_DEP_2)
	v_fmac_f32_e32 v4, v39, v42
	v_fmac_f32_e32 v22, v38, v42
	s_delay_alu instid0(VALU_DEP_2) | instskip(NEXT) | instid1(VALU_DEP_2)
	v_fma_f32 v4, v38, -v43, v4
	v_fmac_f32_e32 v22, v39, v43
	s_waitcnt vmcnt(0)
	s_delay_alu instid0(VALU_DEP_2) | instskip(NEXT) | instid1(VALU_DEP_2)
	v_fmac_f32_e32 v4, v45, v46
	v_fmac_f32_e32 v22, v44, v46
	s_delay_alu instid0(VALU_DEP_2) | instskip(NEXT) | instid1(VALU_DEP_2)
	v_fma_f32 v7, v44, -v47, v4
	v_fmac_f32_e32 v22, v45, v47
	s_delay_alu instid0(VALU_DEP_1)
	v_mov_b32_e32 v6, v22
.LBB46_29:                              ;   in Loop: Header=BB46_9 Depth=1
	s_add_i32 s1, s1, -1
	s_add_i32 s20, s20, 4
	s_cmp_eq_u32 s1, 0
	s_cbranch_scc1 .LBB46_31
; %bb.30:                               ;   in Loop: Header=BB46_9 Depth=1
	v_dual_mov_b32 v23, v7 :: v_dual_mov_b32 v22, v6
	s_waitcnt lgkmcnt(0)
	v_mov_b32_e32 v4, s20
	s_and_b32 vcc_lo, exec_lo, s29
	ds_load_2addr_b32 v[4:5], v4 offset1:32
	s_cbranch_vccz .LBB46_27
	s_branch .LBB46_26
.LBB46_31:                              ;   in Loop: Header=BB46_9 Depth=1
	ds_store_b64 v20, v[6:7]
	s_waitcnt lgkmcnt(0)
	buffer_gl0_inv
	ds_load_b64 v[6:7], v0
	ds_load_b64 v[4:5], v16
	s_waitcnt lgkmcnt(1)
	v_cmp_neq_f32_e32 vcc_lo, 0, v6
	v_cmp_neq_f32_e64 s1, 0, v7
	s_delay_alu instid0(VALU_DEP_1) | instskip(SKIP_2) | instid1(SALU_CYCLE_1)
	s_or_b32 vcc_lo, vcc_lo, s1
	v_dual_cndmask_b32 v6, 1.0, v6 :: v_dual_cndmask_b32 v7, 0, v7
	s_or_b32 s1, vcc_lo, s0
	s_xor_b32 s20, s1, -1
	s_delay_alu instid0(SALU_CYCLE_1)
	s_and_saveexec_b32 s1, s20
	s_cbranch_execz .LBB46_35
; %bb.32:                               ;   in Loop: Header=BB46_9 Depth=1
	v_mbcnt_lo_u32_b32 v6, exec_lo, 0
	s_mov_b32 s20, exec_lo
	s_delay_alu instid0(VALU_DEP_1)
	v_cmpx_eq_u32_e32 0, v6
	s_cbranch_execz .LBB46_34
; %bb.33:                               ;   in Loop: Header=BB46_9 Depth=1
	v_mov_b32_e32 v6, s3
	global_atomic_min_i32 v0, v6, s[10:11]
.LBB46_34:                              ;   in Loop: Header=BB46_9 Depth=1
	s_or_b32 exec_lo, exec_lo, s20
	v_dual_mov_b32 v6, 1.0 :: v_dual_mov_b32 v7, 0
.LBB46_35:                              ;   in Loop: Header=BB46_9 Depth=1
	s_or_b32 exec_lo, exec_lo, s1
	ds_load_b64 v[22:23], v17
	v_mul_f32_e32 v24, v7, v7
	s_waitcnt lgkmcnt(0)
	s_delay_alu instid0(VALU_DEP_1) | instskip(NEXT) | instid1(VALU_DEP_1)
	v_dual_fmac_f32 v24, v6, v6 :: v_dual_sub_f32 v5, v5, v23
	v_div_scale_f32 v25, null, v24, v24, 1.0
	v_div_scale_f32 v28, vcc_lo, 1.0, v24, 1.0
	v_sub_f32_e32 v4, v4, v22
	s_delay_alu instid0(VALU_DEP_3) | instskip(SKIP_1) | instid1(VALU_DEP_2)
	v_rcp_f32_e32 v26, v25
	v_mul_f32_e32 v22, v7, v5
	v_mul_f32_e64 v7, v7, -v4
	s_delay_alu instid0(VALU_DEP_1) | instskip(SKIP_2) | instid1(VALU_DEP_1)
	v_fmac_f32_e32 v7, v5, v6
	s_waitcnt_depctr 0xfff
	v_fma_f32 v27, -v25, v26, 1.0
	v_fmac_f32_e32 v26, v27, v26
	s_delay_alu instid0(VALU_DEP_1) | instskip(NEXT) | instid1(VALU_DEP_1)
	v_mul_f32_e32 v27, v28, v26
	v_fma_f32 v29, -v25, v27, v28
	s_delay_alu instid0(VALU_DEP_1) | instskip(NEXT) | instid1(VALU_DEP_1)
	v_fmac_f32_e32 v27, v29, v26
	v_fma_f32 v23, -v25, v27, v28
	s_delay_alu instid0(VALU_DEP_1) | instskip(NEXT) | instid1(VALU_DEP_1)
	v_div_fmas_f32 v23, v23, v26, v27
	v_div_fixup_f32 v23, v23, v24, 1.0
	s_delay_alu instid0(VALU_DEP_1) | instskip(NEXT) | instid1(VALU_DEP_1)
	v_dual_mul_f32 v5, v23, v7 :: v_dual_fmac_f32 v22, v4, v6
	v_mul_f32_e32 v4, v23, v22
	ds_store_b64 v16, v[4:5]
	s_waitcnt lgkmcnt(0)
	s_waitcnt_vscnt null, 0x0
	buffer_gl0_inv
	ds_load_b64 v[6:7], v21
	ds_load_b64 v[22:23], v12
	s_waitcnt lgkmcnt(0)
	v_fma_f32 v22, v4, v6, v22
	v_fmac_f32_e32 v23, v5, v6
	s_delay_alu instid0(VALU_DEP_2) | instskip(NEXT) | instid1(VALU_DEP_2)
	v_fmac_f32_e32 v22, v5, v7
	v_fma_f32 v23, v4, -v7, v23
	ds_store_b64 v12, v[22:23]
	s_waitcnt lgkmcnt(0)
	buffer_gl0_inv
	ds_load_b64 v[6:7], v0 offset:72
	ds_load_b64 v[4:5], v16 offset:8
	s_waitcnt lgkmcnt(1)
	v_cmp_neq_f32_e32 vcc_lo, 0, v6
	v_cmp_neq_f32_e64 s1, 0, v7
	s_delay_alu instid0(VALU_DEP_1) | instskip(SKIP_2) | instid1(SALU_CYCLE_1)
	s_or_b32 vcc_lo, vcc_lo, s1
	v_dual_cndmask_b32 v6, 1.0, v6 :: v_dual_cndmask_b32 v7, 0, v7
	s_or_b32 s1, vcc_lo, s0
	s_xor_b32 s20, s1, -1
	s_delay_alu instid0(SALU_CYCLE_1)
	s_and_saveexec_b32 s1, s20
	s_cbranch_execz .LBB46_39
; %bb.36:                               ;   in Loop: Header=BB46_9 Depth=1
	v_mbcnt_lo_u32_b32 v6, exec_lo, 0
	s_mov_b32 s20, exec_lo
	s_delay_alu instid0(VALU_DEP_1)
	v_cmpx_eq_u32_e32 0, v6
	s_cbranch_execz .LBB46_38
; %bb.37:                               ;   in Loop: Header=BB46_9 Depth=1
	v_mov_b32_e32 v6, s3
	global_atomic_min_i32 v0, v6, s[10:11]
.LBB46_38:                              ;   in Loop: Header=BB46_9 Depth=1
	s_or_b32 exec_lo, exec_lo, s20
	v_dual_mov_b32 v6, 1.0 :: v_dual_mov_b32 v7, 0
.LBB46_39:                              ;   in Loop: Header=BB46_9 Depth=1
	s_or_b32 exec_lo, exec_lo, s1
	ds_load_b64 v[22:23], v16
	ds_load_b64 v[24:25], v0 offset:64
	ds_load_b64 v[26:27], v17 offset:8
	v_mul_f32_e32 v28, v7, v7
	s_waitcnt lgkmcnt(0)
	v_fma_f32 v27, v25, v22, v27
	v_fmac_f32_e32 v26, v24, v22
	s_delay_alu instid0(VALU_DEP_2) | instskip(NEXT) | instid1(VALU_DEP_2)
	v_fma_f32 v22, v24, -v23, v27
	v_fmac_f32_e32 v26, v25, v23
	s_delay_alu instid0(VALU_DEP_2) | instskip(SKIP_1) | instid1(VALU_DEP_2)
	v_sub_f32_e32 v5, v5, v22
	v_fmac_f32_e32 v28, v6, v6
	v_dual_sub_f32 v4, v4, v26 :: v_dual_mul_f32 v23, v7, v5
	s_delay_alu instid0(VALU_DEP_2) | instskip(NEXT) | instid1(VALU_DEP_2)
	v_div_scale_f32 v29, null, v28, v28, 1.0
	v_mul_f32_e64 v7, v7, -v4
	v_div_scale_f32 v32, vcc_lo, 1.0, v28, 1.0
	s_delay_alu instid0(VALU_DEP_3) | instskip(SKIP_1) | instid1(VALU_DEP_3)
	v_rcp_f32_e32 v30, v29
	v_fmac_f32_e32 v23, v4, v6
	v_fmac_f32_e32 v7, v5, v6
	s_waitcnt_depctr 0xfff
	v_fma_f32 v31, -v29, v30, 1.0
	s_delay_alu instid0(VALU_DEP_1) | instskip(NEXT) | instid1(VALU_DEP_1)
	v_fmac_f32_e32 v30, v31, v30
	v_mul_f32_e32 v31, v32, v30
	s_delay_alu instid0(VALU_DEP_1) | instskip(NEXT) | instid1(VALU_DEP_1)
	v_fma_f32 v33, -v29, v31, v32
	v_fmac_f32_e32 v31, v33, v30
	s_delay_alu instid0(VALU_DEP_1) | instskip(NEXT) | instid1(VALU_DEP_1)
	v_fma_f32 v22, -v29, v31, v32
	v_div_fmas_f32 v22, v22, v30, v31
	s_delay_alu instid0(VALU_DEP_1) | instskip(NEXT) | instid1(VALU_DEP_1)
	v_div_fixup_f32 v22, v22, v28, 1.0
	v_mul_f32_e32 v4, v22, v23
	v_mul_f32_e32 v5, v22, v7
	ds_store_b64 v16, v[4:5] offset:8
	s_waitcnt lgkmcnt(0)
	s_waitcnt_vscnt null, 0x0
	buffer_gl0_inv
	ds_load_b64 v[6:7], v21 offset:8
	ds_load_b64 v[22:23], v12
	s_waitcnt lgkmcnt(0)
	v_fma_f32 v22, v4, v6, v22
	v_fmac_f32_e32 v23, v5, v6
	s_delay_alu instid0(VALU_DEP_2) | instskip(NEXT) | instid1(VALU_DEP_2)
	v_fmac_f32_e32 v22, v5, v7
	v_fma_f32 v23, v4, -v7, v23
	ds_store_b64 v12, v[22:23]
	s_waitcnt lgkmcnt(0)
	buffer_gl0_inv
	ds_load_b64 v[6:7], v0 offset:144
	ds_load_b64 v[4:5], v16 offset:16
	s_waitcnt lgkmcnt(1)
	v_cmp_neq_f32_e32 vcc_lo, 0, v6
	v_cmp_neq_f32_e64 s1, 0, v7
	s_delay_alu instid0(VALU_DEP_1) | instskip(SKIP_2) | instid1(SALU_CYCLE_1)
	s_or_b32 vcc_lo, vcc_lo, s1
	v_dual_cndmask_b32 v6, 1.0, v6 :: v_dual_cndmask_b32 v7, 0, v7
	s_or_b32 s1, vcc_lo, s0
	s_xor_b32 s20, s1, -1
	s_delay_alu instid0(SALU_CYCLE_1)
	s_and_saveexec_b32 s1, s20
	s_cbranch_execz .LBB46_43
; %bb.40:                               ;   in Loop: Header=BB46_9 Depth=1
	v_mbcnt_lo_u32_b32 v6, exec_lo, 0
	s_mov_b32 s20, exec_lo
	s_delay_alu instid0(VALU_DEP_1)
	v_cmpx_eq_u32_e32 0, v6
	s_cbranch_execz .LBB46_42
; %bb.41:                               ;   in Loop: Header=BB46_9 Depth=1
	v_mov_b32_e32 v6, s3
	global_atomic_min_i32 v0, v6, s[10:11]
.LBB46_42:                              ;   in Loop: Header=BB46_9 Depth=1
	s_or_b32 exec_lo, exec_lo, s20
	v_dual_mov_b32 v6, 1.0 :: v_dual_mov_b32 v7, 0
.LBB46_43:                              ;   in Loop: Header=BB46_9 Depth=1
	s_or_b32 exec_lo, exec_lo, s1
	ds_load_b128 v[22:25], v0 offset:128
	ds_load_b128 v[26:29], v16
	ds_load_b64 v[30:31], v17 offset:16
	s_waitcnt lgkmcnt(0)
	v_fma_f32 v31, v23, v26, v31
	v_fmac_f32_e32 v30, v22, v26
	s_delay_alu instid0(VALU_DEP_2) | instskip(NEXT) | instid1(VALU_DEP_2)
	v_fma_f32 v22, v22, -v27, v31
	v_fmac_f32_e32 v30, v23, v27
	s_delay_alu instid0(VALU_DEP_2) | instskip(NEXT) | instid1(VALU_DEP_1)
	v_fmac_f32_e32 v22, v25, v28
	v_fma_f32 v22, v24, -v29, v22
	s_delay_alu instid0(VALU_DEP_1) | instskip(NEXT) | instid1(VALU_DEP_1)
	v_dual_mul_f32 v32, v7, v7 :: v_dual_sub_f32 v5, v5, v22
	v_fmac_f32_e32 v32, v6, v6
	v_fmac_f32_e32 v30, v24, v28
	s_delay_alu instid0(VALU_DEP_2) | instskip(SKIP_1) | instid1(VALU_DEP_3)
	v_div_scale_f32 v33, null, v32, v32, 1.0
	v_div_scale_f32 v36, vcc_lo, 1.0, v32, 1.0
	v_fmac_f32_e32 v30, v25, v29
	s_delay_alu instid0(VALU_DEP_3) | instskip(NEXT) | instid1(VALU_DEP_1)
	v_rcp_f32_e32 v34, v33
	v_sub_f32_e32 v4, v4, v30
	s_waitcnt_depctr 0xfff
	v_fma_f32 v35, -v33, v34, 1.0
	s_delay_alu instid0(VALU_DEP_1) | instskip(NEXT) | instid1(VALU_DEP_1)
	v_fmac_f32_e32 v34, v35, v34
	v_mul_f32_e32 v26, v36, v34
	s_delay_alu instid0(VALU_DEP_1) | instskip(NEXT) | instid1(VALU_DEP_1)
	v_fma_f32 v23, -v33, v26, v36
	v_fmac_f32_e32 v26, v23, v34
	v_mul_f32_e32 v23, v7, v5
	v_mul_f32_e64 v7, v7, -v4
	s_delay_alu instid0(VALU_DEP_3) | instskip(NEXT) | instid1(VALU_DEP_3)
	v_fma_f32 v22, -v33, v26, v36
	v_fmac_f32_e32 v23, v4, v6
	s_delay_alu instid0(VALU_DEP_3) | instskip(NEXT) | instid1(VALU_DEP_3)
	v_fmac_f32_e32 v7, v5, v6
	v_div_fmas_f32 v22, v22, v34, v26
	s_delay_alu instid0(VALU_DEP_1) | instskip(NEXT) | instid1(VALU_DEP_1)
	v_div_fixup_f32 v22, v22, v32, 1.0
	v_mul_f32_e32 v5, v22, v7
	v_mul_f32_e32 v4, v22, v23
	ds_store_b64 v16, v[4:5] offset:16
	s_waitcnt lgkmcnt(0)
	s_waitcnt_vscnt null, 0x0
	buffer_gl0_inv
	ds_load_b64 v[6:7], v21 offset:16
	ds_load_b64 v[22:23], v12
	s_waitcnt lgkmcnt(0)
	v_fmac_f32_e32 v23, v5, v6
	v_fma_f32 v22, v4, v6, v22
	s_delay_alu instid0(VALU_DEP_2) | instskip(NEXT) | instid1(VALU_DEP_2)
	v_fma_f32 v23, v4, -v7, v23
	v_fmac_f32_e32 v22, v5, v7
	ds_store_b64 v12, v[22:23]
	s_waitcnt lgkmcnt(0)
	buffer_gl0_inv
	ds_load_b64 v[6:7], v0 offset:216
	ds_load_b64 v[4:5], v16 offset:24
	s_waitcnt lgkmcnt(1)
	v_cmp_neq_f32_e32 vcc_lo, 0, v6
	v_cmp_neq_f32_e64 s1, 0, v7
	s_delay_alu instid0(VALU_DEP_1) | instskip(SKIP_2) | instid1(SALU_CYCLE_1)
	s_or_b32 vcc_lo, vcc_lo, s1
	v_dual_cndmask_b32 v6, 1.0, v6 :: v_dual_cndmask_b32 v7, 0, v7
	s_or_b32 s1, vcc_lo, s0
	s_xor_b32 s20, s1, -1
	s_delay_alu instid0(SALU_CYCLE_1)
	s_and_saveexec_b32 s1, s20
	s_cbranch_execz .LBB46_47
; %bb.44:                               ;   in Loop: Header=BB46_9 Depth=1
	v_mbcnt_lo_u32_b32 v6, exec_lo, 0
	s_mov_b32 s20, exec_lo
	s_delay_alu instid0(VALU_DEP_1)
	v_cmpx_eq_u32_e32 0, v6
	s_cbranch_execz .LBB46_46
; %bb.45:                               ;   in Loop: Header=BB46_9 Depth=1
	v_mov_b32_e32 v6, s3
	global_atomic_min_i32 v0, v6, s[10:11]
.LBB46_46:                              ;   in Loop: Header=BB46_9 Depth=1
	s_or_b32 exec_lo, exec_lo, s20
	v_dual_mov_b32 v6, 1.0 :: v_dual_mov_b32 v7, 0
.LBB46_47:                              ;   in Loop: Header=BB46_9 Depth=1
	s_or_b32 exec_lo, exec_lo, s1
	ds_load_b128 v[22:25], v0 offset:192
	ds_load_b64 v[30:31], v17 offset:24
	ds_load_b128 v[26:29], v16
	ds_load_b64 v[32:33], v0 offset:208
	ds_load_b64 v[34:35], v16 offset:16
	s_waitcnt lgkmcnt(2)
	v_fma_f32 v31, v23, v26, v31
	v_fmac_f32_e32 v30, v22, v26
	s_delay_alu instid0(VALU_DEP_2) | instskip(NEXT) | instid1(VALU_DEP_2)
	v_fma_f32 v22, v22, -v27, v31
	v_fmac_f32_e32 v30, v23, v27
	s_delay_alu instid0(VALU_DEP_2) | instskip(NEXT) | instid1(VALU_DEP_1)
	v_fmac_f32_e32 v22, v25, v28
	v_fma_f32 v22, v24, -v29, v22
	s_waitcnt lgkmcnt(0)
	s_delay_alu instid0(VALU_DEP_1) | instskip(NEXT) | instid1(VALU_DEP_1)
	v_fmac_f32_e32 v22, v33, v34
	v_fma_f32 v22, v32, -v35, v22
	s_delay_alu instid0(VALU_DEP_1) | instskip(NEXT) | instid1(VALU_DEP_1)
	v_dual_mul_f32 v36, v7, v7 :: v_dual_sub_f32 v5, v5, v22
	v_fmac_f32_e32 v36, v6, v6
	v_fmac_f32_e32 v30, v24, v28
	s_delay_alu instid0(VALU_DEP_2) | instskip(SKIP_1) | instid1(VALU_DEP_3)
	v_div_scale_f32 v37, null, v36, v36, 1.0
	v_div_scale_f32 v23, vcc_lo, 1.0, v36, 1.0
	v_fmac_f32_e32 v30, v25, v29
	s_delay_alu instid0(VALU_DEP_3) | instskip(NEXT) | instid1(VALU_DEP_1)
	v_rcp_f32_e32 v38, v37
	v_fmac_f32_e32 v30, v32, v34
	s_delay_alu instid0(VALU_DEP_1) | instskip(SKIP_3) | instid1(VALU_DEP_2)
	v_fmac_f32_e32 v30, v33, v35
	s_waitcnt_depctr 0xfff
	v_fma_f32 v26, -v37, v38, 1.0
	v_sub_f32_e32 v4, v4, v30
	v_fmac_f32_e32 v38, v26, v38
	s_delay_alu instid0(VALU_DEP_1) | instskip(NEXT) | instid1(VALU_DEP_1)
	v_mul_f32_e32 v26, v23, v38
	v_fma_f32 v24, -v37, v26, v23
	s_delay_alu instid0(VALU_DEP_1) | instskip(NEXT) | instid1(VALU_DEP_1)
	v_fmac_f32_e32 v26, v24, v38
	v_fma_f32 v23, -v37, v26, v23
	s_delay_alu instid0(VALU_DEP_1) | instskip(SKIP_2) | instid1(VALU_DEP_3)
	v_div_fmas_f32 v22, v23, v38, v26
	v_mul_f32_e32 v23, v7, v5
	v_mul_f32_e64 v7, v7, -v4
	v_div_fixup_f32 v22, v22, v36, 1.0
	s_delay_alu instid0(VALU_DEP_3) | instskip(NEXT) | instid1(VALU_DEP_3)
	v_fmac_f32_e32 v23, v4, v6
	v_fmac_f32_e32 v7, v5, v6
	s_delay_alu instid0(VALU_DEP_1) | instskip(NEXT) | instid1(VALU_DEP_3)
	v_mul_f32_e32 v5, v22, v7
	v_mul_f32_e32 v4, v22, v23
	ds_store_b64 v16, v[4:5] offset:24
	s_waitcnt lgkmcnt(0)
	s_waitcnt_vscnt null, 0x0
	buffer_gl0_inv
	ds_load_b64 v[6:7], v21 offset:24
	ds_load_b64 v[22:23], v12
	s_waitcnt lgkmcnt(0)
	v_fmac_f32_e32 v23, v5, v6
	v_fma_f32 v22, v4, v6, v22
	s_delay_alu instid0(VALU_DEP_2) | instskip(NEXT) | instid1(VALU_DEP_2)
	v_fma_f32 v23, v4, -v7, v23
	v_fmac_f32_e32 v22, v5, v7
	ds_store_b64 v12, v[22:23]
	s_waitcnt lgkmcnt(0)
	buffer_gl0_inv
	ds_load_b64 v[6:7], v0 offset:288
	ds_load_b64 v[4:5], v16 offset:32
	s_waitcnt lgkmcnt(1)
	v_cmp_neq_f32_e32 vcc_lo, 0, v6
	v_cmp_neq_f32_e64 s1, 0, v7
	s_delay_alu instid0(VALU_DEP_1) | instskip(SKIP_2) | instid1(SALU_CYCLE_1)
	s_or_b32 vcc_lo, vcc_lo, s1
	v_dual_cndmask_b32 v6, 1.0, v6 :: v_dual_cndmask_b32 v7, 0, v7
	s_or_b32 s1, vcc_lo, s0
	s_xor_b32 s20, s1, -1
	s_delay_alu instid0(SALU_CYCLE_1)
	s_and_saveexec_b32 s1, s20
	s_cbranch_execz .LBB46_51
; %bb.48:                               ;   in Loop: Header=BB46_9 Depth=1
	v_mbcnt_lo_u32_b32 v6, exec_lo, 0
	s_mov_b32 s20, exec_lo
	s_delay_alu instid0(VALU_DEP_1)
	v_cmpx_eq_u32_e32 0, v6
	s_cbranch_execz .LBB46_50
; %bb.49:                               ;   in Loop: Header=BB46_9 Depth=1
	v_mov_b32_e32 v6, s3
	global_atomic_min_i32 v0, v6, s[10:11]
.LBB46_50:                              ;   in Loop: Header=BB46_9 Depth=1
	s_or_b32 exec_lo, exec_lo, s20
	v_dual_mov_b32 v6, 1.0 :: v_dual_mov_b32 v7, 0
.LBB46_51:                              ;   in Loop: Header=BB46_9 Depth=1
	s_or_b32 exec_lo, exec_lo, s1
	ds_load_b128 v[22:25], v0 offset:256
	ds_load_b64 v[38:39], v17 offset:32
	ds_load_b128 v[26:29], v16
	ds_load_b128 v[30:33], v0 offset:272
	ds_load_b128 v[34:37], v16 offset:16
	v_mul_f32_e32 v40, v7, v7
	s_waitcnt lgkmcnt(2)
	v_fmac_f32_e32 v38, v22, v26
	v_fma_f32 v39, v23, v26, v39
	s_delay_alu instid0(VALU_DEP_2) | instskip(NEXT) | instid1(VALU_DEP_2)
	v_fmac_f32_e32 v38, v23, v27
	v_fma_f32 v22, v22, -v27, v39
	s_delay_alu instid0(VALU_DEP_2) | instskip(NEXT) | instid1(VALU_DEP_1)
	v_fmac_f32_e32 v38, v24, v28
	v_fmac_f32_e32 v38, v25, v29
	s_waitcnt lgkmcnt(0)
	s_delay_alu instid0(VALU_DEP_1) | instskip(NEXT) | instid1(VALU_DEP_1)
	v_fmac_f32_e32 v38, v30, v34
	v_fmac_f32_e32 v38, v31, v35
	s_delay_alu instid0(VALU_DEP_1) | instskip(NEXT) | instid1(VALU_DEP_1)
	v_fmac_f32_e32 v38, v32, v36
	v_fmac_f32_e32 v38, v33, v37
	s_delay_alu instid0(VALU_DEP_1) | instskip(SKIP_1) | instid1(VALU_DEP_1)
	v_sub_f32_e32 v4, v4, v38
	v_fmac_f32_e32 v22, v25, v28
	v_fma_f32 v22, v24, -v29, v22
	s_delay_alu instid0(VALU_DEP_1) | instskip(NEXT) | instid1(VALU_DEP_1)
	v_fmac_f32_e32 v22, v31, v34
	v_fma_f32 v22, v30, -v35, v22
	s_delay_alu instid0(VALU_DEP_1) | instskip(NEXT) | instid1(VALU_DEP_1)
	v_fmac_f32_e32 v22, v33, v36
	v_fma_f32 v22, v32, -v37, v22
	s_delay_alu instid0(VALU_DEP_1) | instskip(SKIP_1) | instid1(VALU_DEP_1)
	v_sub_f32_e32 v5, v5, v22
	v_fmac_f32_e32 v40, v6, v6
	v_div_scale_f32 v41, null, v40, v40, 1.0
	v_div_scale_f32 v24, vcc_lo, 1.0, v40, 1.0
	s_delay_alu instid0(VALU_DEP_2) | instskip(SKIP_2) | instid1(VALU_DEP_1)
	v_rcp_f32_e32 v26, v41
	s_waitcnt_depctr 0xfff
	v_fma_f32 v23, -v41, v26, 1.0
	v_fmac_f32_e32 v26, v23, v26
	s_delay_alu instid0(VALU_DEP_1) | instskip(NEXT) | instid1(VALU_DEP_1)
	v_mul_f32_e32 v23, v24, v26
	v_fma_f32 v25, -v41, v23, v24
	s_delay_alu instid0(VALU_DEP_1) | instskip(NEXT) | instid1(VALU_DEP_1)
	v_fmac_f32_e32 v23, v25, v26
	v_fma_f32 v24, -v41, v23, v24
	s_delay_alu instid0(VALU_DEP_1) | instskip(SKIP_2) | instid1(VALU_DEP_3)
	v_div_fmas_f32 v22, v24, v26, v23
	v_mul_f32_e32 v23, v7, v5
	v_mul_f32_e64 v7, v7, -v4
	v_div_fixup_f32 v22, v22, v40, 1.0
	s_delay_alu instid0(VALU_DEP_3) | instskip(NEXT) | instid1(VALU_DEP_1)
	v_fmac_f32_e32 v23, v4, v6
	v_dual_fmac_f32 v7, v5, v6 :: v_dual_mul_f32 v4, v22, v23
	s_delay_alu instid0(VALU_DEP_1)
	v_mul_f32_e32 v5, v22, v7
	ds_store_b64 v16, v[4:5] offset:32
	s_waitcnt lgkmcnt(0)
	s_waitcnt_vscnt null, 0x0
	buffer_gl0_inv
	ds_load_b64 v[6:7], v21 offset:32
	ds_load_b64 v[22:23], v12
	s_waitcnt lgkmcnt(0)
	v_fma_f32 v22, v4, v6, v22
	v_fmac_f32_e32 v23, v5, v6
	s_delay_alu instid0(VALU_DEP_2) | instskip(NEXT) | instid1(VALU_DEP_2)
	v_fmac_f32_e32 v22, v5, v7
	v_fma_f32 v23, v4, -v7, v23
	ds_store_b64 v12, v[22:23]
	s_waitcnt lgkmcnt(0)
	buffer_gl0_inv
	ds_load_b64 v[6:7], v0 offset:360
	ds_load_b64 v[4:5], v16 offset:40
	s_waitcnt lgkmcnt(1)
	v_cmp_neq_f32_e32 vcc_lo, 0, v6
	v_cmp_neq_f32_e64 s1, 0, v7
	s_delay_alu instid0(VALU_DEP_1) | instskip(SKIP_2) | instid1(SALU_CYCLE_1)
	s_or_b32 vcc_lo, vcc_lo, s1
	v_dual_cndmask_b32 v6, 1.0, v6 :: v_dual_cndmask_b32 v7, 0, v7
	s_or_b32 s1, vcc_lo, s0
	s_xor_b32 s20, s1, -1
	s_delay_alu instid0(SALU_CYCLE_1)
	s_and_saveexec_b32 s1, s20
	s_cbranch_execz .LBB46_55
; %bb.52:                               ;   in Loop: Header=BB46_9 Depth=1
	v_mbcnt_lo_u32_b32 v6, exec_lo, 0
	s_mov_b32 s20, exec_lo
	s_delay_alu instid0(VALU_DEP_1)
	v_cmpx_eq_u32_e32 0, v6
	s_cbranch_execz .LBB46_54
; %bb.53:                               ;   in Loop: Header=BB46_9 Depth=1
	v_mov_b32_e32 v6, s3
	global_atomic_min_i32 v0, v6, s[10:11]
.LBB46_54:                              ;   in Loop: Header=BB46_9 Depth=1
	s_or_b32 exec_lo, exec_lo, s20
	v_dual_mov_b32 v6, 1.0 :: v_dual_mov_b32 v7, 0
.LBB46_55:                              ;   in Loop: Header=BB46_9 Depth=1
	s_or_b32 exec_lo, exec_lo, s1
	ds_load_b128 v[22:25], v16
	ds_load_b64 v[38:39], v17 offset:40
	ds_load_b128 v[26:29], v0 offset:320
	ds_load_b128 v[30:33], v0 offset:336
	;; [unrolled: 1-line block ×3, first 2 shown]
	s_waitcnt lgkmcnt(2)
	v_fma_f32 v39, v27, v22, v39
	v_fmac_f32_e32 v38, v26, v22
	s_delay_alu instid0(VALU_DEP_2) | instskip(NEXT) | instid1(VALU_DEP_2)
	v_fma_f32 v22, v26, -v23, v39
	v_fmac_f32_e32 v38, v27, v23
	s_delay_alu instid0(VALU_DEP_2) | instskip(NEXT) | instid1(VALU_DEP_2)
	v_fmac_f32_e32 v22, v29, v24
	v_fmac_f32_e32 v38, v28, v24
	s_delay_alu instid0(VALU_DEP_2) | instskip(NEXT) | instid1(VALU_DEP_2)
	v_fma_f32 v28, v28, -v25, v22
	v_fmac_f32_e32 v38, v29, v25
	ds_load_b64 v[22:23], v16 offset:32
	ds_load_b64 v[24:25], v0 offset:352
	s_waitcnt lgkmcnt(2)
	v_fmac_f32_e32 v28, v31, v34
	v_fmac_f32_e32 v38, v30, v34
	s_delay_alu instid0(VALU_DEP_2) | instskip(NEXT) | instid1(VALU_DEP_2)
	v_fma_f32 v28, v30, -v35, v28
	v_fmac_f32_e32 v38, v31, v35
	s_delay_alu instid0(VALU_DEP_2) | instskip(NEXT) | instid1(VALU_DEP_2)
	v_fmac_f32_e32 v28, v33, v36
	v_fmac_f32_e32 v38, v32, v36
	s_delay_alu instid0(VALU_DEP_2) | instskip(NEXT) | instid1(VALU_DEP_2)
	v_fma_f32 v28, v32, -v37, v28
	v_fmac_f32_e32 v38, v33, v37
	s_waitcnt lgkmcnt(0)
	s_delay_alu instid0(VALU_DEP_2) | instskip(NEXT) | instid1(VALU_DEP_2)
	v_fmac_f32_e32 v28, v25, v22
	v_fmac_f32_e32 v38, v24, v22
	s_delay_alu instid0(VALU_DEP_2) | instskip(SKIP_1) | instid1(VALU_DEP_3)
	v_fma_f32 v22, v24, -v23, v28
	v_mul_f32_e32 v40, v7, v7
	v_fmac_f32_e32 v38, v25, v23
	s_delay_alu instid0(VALU_DEP_3) | instskip(NEXT) | instid1(VALU_DEP_3)
	v_sub_f32_e32 v5, v5, v22
	v_fmac_f32_e32 v40, v6, v6
	s_delay_alu instid0(VALU_DEP_3) | instskip(NEXT) | instid1(VALU_DEP_2)
	v_sub_f32_e32 v4, v4, v38
	v_div_scale_f32 v26, null, v40, v40, 1.0
	v_div_scale_f32 v30, vcc_lo, 1.0, v40, 1.0
	s_delay_alu instid0(VALU_DEP_2) | instskip(SKIP_2) | instid1(VALU_DEP_1)
	v_rcp_f32_e32 v27, v26
	s_waitcnt_depctr 0xfff
	v_fma_f32 v29, -v26, v27, 1.0
	v_fmac_f32_e32 v27, v29, v27
	s_delay_alu instid0(VALU_DEP_1) | instskip(NEXT) | instid1(VALU_DEP_1)
	v_mul_f32_e32 v29, v30, v27
	v_fma_f32 v31, -v26, v29, v30
	s_delay_alu instid0(VALU_DEP_1) | instskip(NEXT) | instid1(VALU_DEP_1)
	v_fmac_f32_e32 v29, v31, v27
	v_fma_f32 v23, -v26, v29, v30
	s_delay_alu instid0(VALU_DEP_1) | instskip(SKIP_2) | instid1(VALU_DEP_3)
	v_div_fmas_f32 v22, v23, v27, v29
	v_mul_f32_e32 v23, v7, v5
	v_mul_f32_e64 v7, v7, -v4
	v_div_fixup_f32 v22, v22, v40, 1.0
	s_delay_alu instid0(VALU_DEP_3) | instskip(NEXT) | instid1(VALU_DEP_1)
	v_fmac_f32_e32 v23, v4, v6
	v_dual_fmac_f32 v7, v5, v6 :: v_dual_mul_f32 v4, v22, v23
	s_delay_alu instid0(VALU_DEP_1)
	v_mul_f32_e32 v5, v22, v7
	ds_store_b64 v16, v[4:5] offset:40
	s_waitcnt lgkmcnt(0)
	s_waitcnt_vscnt null, 0x0
	buffer_gl0_inv
	ds_load_b64 v[6:7], v21 offset:40
	ds_load_b64 v[22:23], v12
	s_waitcnt lgkmcnt(0)
	v_fma_f32 v22, v4, v6, v22
	v_fmac_f32_e32 v23, v5, v6
	s_delay_alu instid0(VALU_DEP_2) | instskip(NEXT) | instid1(VALU_DEP_2)
	v_fmac_f32_e32 v22, v5, v7
	v_fma_f32 v23, v4, -v7, v23
	ds_store_b64 v12, v[22:23]
	s_waitcnt lgkmcnt(0)
	buffer_gl0_inv
	ds_load_b64 v[6:7], v0 offset:432
	ds_load_b64 v[4:5], v16 offset:48
	s_waitcnt lgkmcnt(1)
	v_cmp_neq_f32_e32 vcc_lo, 0, v6
	v_cmp_neq_f32_e64 s1, 0, v7
	s_delay_alu instid0(VALU_DEP_1) | instskip(SKIP_2) | instid1(SALU_CYCLE_1)
	s_or_b32 vcc_lo, vcc_lo, s1
	v_dual_cndmask_b32 v6, 1.0, v6 :: v_dual_cndmask_b32 v7, 0, v7
	s_or_b32 s1, vcc_lo, s0
	s_xor_b32 s20, s1, -1
	s_delay_alu instid0(SALU_CYCLE_1)
	s_and_saveexec_b32 s1, s20
	s_cbranch_execz .LBB46_7
; %bb.56:                               ;   in Loop: Header=BB46_9 Depth=1
	v_mbcnt_lo_u32_b32 v6, exec_lo, 0
	s_mov_b32 s20, exec_lo
	s_delay_alu instid0(VALU_DEP_1)
	v_cmpx_eq_u32_e32 0, v6
	s_cbranch_execz .LBB46_6
; %bb.57:                               ;   in Loop: Header=BB46_9 Depth=1
	v_mov_b32_e32 v6, s3
	global_atomic_min_i32 v0, v6, s[10:11]
	s_branch .LBB46_6
.LBB46_58:
	v_mov_b32_e32 v0, v10
	s_cmp_lg_u32 s28, 0
	s_cselect_b32 s4, -1, 0
	s_cmp_eq_u32 s28, 0
	s_cbranch_scc1 .LBB46_60
; %bb.59:
	v_mad_u32_u24 v0, v8, 7, v9
.LBB46_60:
	s_mul_i32 s3, s26, 49
	v_cmp_ne_u32_e64 s1, 0, v9
	s_delay_alu instid0(VALU_DEP_2) | instskip(SKIP_1) | instid1(VALU_DEP_1)
	v_add_nc_u32_e32 v0, s3, v0
	s_mov_b32 s2, exec_lo
	v_ashrrev_i32_e32 v1, 31, v0
	s_delay_alu instid0(VALU_DEP_1) | instskip(NEXT) | instid1(VALU_DEP_1)
	v_lshlrev_b64 v[0:1], 3, v[0:1]
	v_add_co_u32 v0, vcc_lo, s18, v0
	s_delay_alu instid0(VALU_DEP_2)
	v_add_co_ci_u32_e32 v1, vcc_lo, s19, v1, vcc_lo
	global_load_b64 v[0:1], v[0:1], off
	s_waitcnt vmcnt(0)
	ds_store_b64 v13, v[0:1] offset:896
	s_waitcnt lgkmcnt(0)
	buffer_gl0_inv
	v_cmpx_eq_u32_e32 0, v9
	s_cbranch_execz .LBB46_69
; %bb.61:
	v_mov_b32_e32 v2, 0
	ds_load_2addr_b64 v[3:6], v2 offset0:112 offset1:168
	s_waitcnt lgkmcnt(0)
	v_dual_sub_f32 v0, v3, v5 :: v_dual_sub_f32 v3, v4, v6
	s_delay_alu instid0(VALU_DEP_1) | instskip(SKIP_1) | instid1(VALU_DEP_3)
	v_cmp_gt_f32_e32 vcc_lo, 0, v0
	v_cndmask_b32_e64 v0, v0, -v0, vcc_lo
	v_cmp_gt_f32_e32 vcc_lo, 0, v3
	v_cndmask_b32_e64 v1, v3, -v3, vcc_lo
	s_delay_alu instid0(VALU_DEP_1)
	v_cmp_ngt_f32_e32 vcc_lo, v0, v1
	s_cbranch_vccz .LBB46_65
; %bb.62:
	v_cmp_eq_f32_e32 vcc_lo, 0, v3
	s_mov_b32 s5, 0
	s_cbranch_vccnz .LBB46_66
; %bb.63:
	v_div_scale_f32 v2, null, v1, v1, v0
	v_div_scale_f32 v5, vcc_lo, v0, v1, v0
	s_delay_alu instid0(VALU_DEP_2) | instskip(SKIP_2) | instid1(VALU_DEP_1)
	v_rcp_f32_e32 v3, v2
	s_waitcnt_depctr 0xfff
	v_fma_f32 v4, -v2, v3, 1.0
	v_fmac_f32_e32 v3, v4, v3
	s_delay_alu instid0(VALU_DEP_1) | instskip(NEXT) | instid1(VALU_DEP_1)
	v_mul_f32_e32 v4, v5, v3
	v_fma_f32 v6, -v2, v4, v5
	s_delay_alu instid0(VALU_DEP_1) | instskip(NEXT) | instid1(VALU_DEP_1)
	v_fmac_f32_e32 v4, v6, v3
	v_fma_f32 v2, -v2, v4, v5
	s_delay_alu instid0(VALU_DEP_1) | instskip(NEXT) | instid1(VALU_DEP_1)
	v_div_fmas_f32 v2, v2, v3, v4
	v_div_fixup_f32 v2, v2, v1, v0
	s_delay_alu instid0(VALU_DEP_1) | instskip(NEXT) | instid1(VALU_DEP_1)
	v_fma_f32 v2, v2, v2, 1.0
	v_mul_f32_e32 v3, 0x4f800000, v2
	v_cmp_gt_f32_e32 vcc_lo, 0xf800000, v2
	s_delay_alu instid0(VALU_DEP_2) | instskip(NEXT) | instid1(VALU_DEP_1)
	v_cndmask_b32_e32 v2, v2, v3, vcc_lo
	v_sqrt_f32_e32 v3, v2
	s_waitcnt_depctr 0xfff
	v_add_nc_u32_e32 v4, -1, v3
	v_add_nc_u32_e32 v5, 1, v3
	s_delay_alu instid0(VALU_DEP_2) | instskip(NEXT) | instid1(VALU_DEP_2)
	v_fma_f32 v6, -v4, v3, v2
	v_fma_f32 v7, -v5, v3, v2
	s_delay_alu instid0(VALU_DEP_2) | instskip(NEXT) | instid1(VALU_DEP_1)
	v_cmp_ge_f32_e64 s0, 0, v6
	v_cndmask_b32_e64 v3, v3, v4, s0
	s_delay_alu instid0(VALU_DEP_3) | instskip(NEXT) | instid1(VALU_DEP_1)
	v_cmp_lt_f32_e64 s0, 0, v7
	v_cndmask_b32_e64 v3, v3, v5, s0
	s_delay_alu instid0(VALU_DEP_1) | instskip(NEXT) | instid1(VALU_DEP_1)
	v_mul_f32_e32 v4, 0x37800000, v3
	v_cndmask_b32_e32 v3, v3, v4, vcc_lo
	v_cmp_class_f32_e64 vcc_lo, v2, 0x260
	s_delay_alu instid0(VALU_DEP_2) | instskip(NEXT) | instid1(VALU_DEP_1)
	v_cndmask_b32_e32 v2, v3, v2, vcc_lo
	v_mul_f32_e32 v2, v1, v2
	s_branch .LBB46_66
.LBB46_64:
	s_cbranch_execnz .LBB46_162
	s_branch .LBB46_167
.LBB46_65:
	s_mov_b32 s5, -1
                                        ; implicit-def: $vgpr2
.LBB46_66:
	s_delay_alu instid0(SALU_CYCLE_1)
	s_and_not1_b32 vcc_lo, exec_lo, s5
	s_cbranch_vccnz .LBB46_68
; %bb.67:
	v_div_scale_f32 v2, null, v0, v0, v1
	v_div_scale_f32 v5, vcc_lo, v1, v0, v1
	s_delay_alu instid0(VALU_DEP_2) | instskip(SKIP_2) | instid1(VALU_DEP_1)
	v_rcp_f32_e32 v3, v2
	s_waitcnt_depctr 0xfff
	v_fma_f32 v4, -v2, v3, 1.0
	v_fmac_f32_e32 v3, v4, v3
	s_delay_alu instid0(VALU_DEP_1) | instskip(NEXT) | instid1(VALU_DEP_1)
	v_mul_f32_e32 v4, v5, v3
	v_fma_f32 v6, -v2, v4, v5
	s_delay_alu instid0(VALU_DEP_1) | instskip(NEXT) | instid1(VALU_DEP_1)
	v_fmac_f32_e32 v4, v6, v3
	v_fma_f32 v2, -v2, v4, v5
	s_delay_alu instid0(VALU_DEP_1) | instskip(NEXT) | instid1(VALU_DEP_1)
	v_div_fmas_f32 v2, v2, v3, v4
	v_div_fixup_f32 v1, v2, v0, v1
	s_delay_alu instid0(VALU_DEP_1) | instskip(NEXT) | instid1(VALU_DEP_1)
	v_fma_f32 v1, v1, v1, 1.0
	v_mul_f32_e32 v2, 0x4f800000, v1
	v_cmp_gt_f32_e32 vcc_lo, 0xf800000, v1
	s_delay_alu instid0(VALU_DEP_2) | instskip(NEXT) | instid1(VALU_DEP_1)
	v_cndmask_b32_e32 v1, v1, v2, vcc_lo
	v_sqrt_f32_e32 v2, v1
	s_waitcnt_depctr 0xfff
	v_add_nc_u32_e32 v3, -1, v2
	v_add_nc_u32_e32 v4, 1, v2
	s_delay_alu instid0(VALU_DEP_2) | instskip(NEXT) | instid1(VALU_DEP_2)
	v_fma_f32 v5, -v3, v2, v1
	v_fma_f32 v6, -v4, v2, v1
	s_delay_alu instid0(VALU_DEP_2) | instskip(NEXT) | instid1(VALU_DEP_1)
	v_cmp_ge_f32_e64 s0, 0, v5
	v_cndmask_b32_e64 v2, v2, v3, s0
	s_delay_alu instid0(VALU_DEP_3) | instskip(NEXT) | instid1(VALU_DEP_1)
	v_cmp_lt_f32_e64 s0, 0, v6
	v_cndmask_b32_e64 v2, v2, v4, s0
	s_delay_alu instid0(VALU_DEP_1) | instskip(NEXT) | instid1(VALU_DEP_1)
	v_mul_f32_e32 v3, 0x37800000, v2
	v_cndmask_b32_e32 v2, v2, v3, vcc_lo
	v_cmp_class_f32_e64 vcc_lo, v1, 0x260
	s_delay_alu instid0(VALU_DEP_2) | instskip(NEXT) | instid1(VALU_DEP_1)
	v_cndmask_b32_e32 v1, v2, v1, vcc_lo
	v_mul_f32_e32 v2, v0, v1
.LBB46_68:
	s_delay_alu instid0(VALU_DEP_1) | instskip(SKIP_1) | instid1(VALU_DEP_2)
	v_mul_f32_e32 v0, 0x4f800000, v2
	v_cmp_gt_f32_e32 vcc_lo, 0xf800000, v2
	v_cndmask_b32_e32 v0, v2, v0, vcc_lo
	s_delay_alu instid0(VALU_DEP_1) | instskip(SKIP_3) | instid1(VALU_DEP_2)
	v_sqrt_f32_e32 v1, v0
	s_waitcnt_depctr 0xfff
	v_add_nc_u32_e32 v2, -1, v1
	v_add_nc_u32_e32 v3, 1, v1
	v_fma_f32 v4, -v2, v1, v0
	s_delay_alu instid0(VALU_DEP_2) | instskip(NEXT) | instid1(VALU_DEP_2)
	v_fma_f32 v5, -v3, v1, v0
	v_cmp_ge_f32_e64 s0, 0, v4
	s_delay_alu instid0(VALU_DEP_1) | instskip(NEXT) | instid1(VALU_DEP_3)
	v_cndmask_b32_e64 v1, v1, v2, s0
	v_cmp_lt_f32_e64 s0, 0, v5
	s_delay_alu instid0(VALU_DEP_1) | instskip(NEXT) | instid1(VALU_DEP_1)
	v_cndmask_b32_e64 v1, v1, v3, s0
	v_mul_f32_e32 v2, 0x37800000, v1
	s_delay_alu instid0(VALU_DEP_1) | instskip(SKIP_1) | instid1(VALU_DEP_2)
	v_cndmask_b32_e32 v1, v1, v2, vcc_lo
	v_cmp_class_f32_e64 vcc_lo, v0, 0x260
	v_dual_cndmask_b32 v0, v1, v0 :: v_dual_mov_b32 v1, 0
	ds_store_b64 v1, v[0:1] offset:896
.LBB46_69:
	s_or_b32 exec_lo, exec_lo, s2
	v_dual_mov_b32 v1, 0 :: v_dual_add_nc_u32 v0, 0x380, v13
	s_waitcnt lgkmcnt(0)
	buffer_gl0_inv
	ds_load_b64 v[2:3], v1 offset:896
	v_or_b32_e32 v1, v8, v9
	s_delay_alu instid0(VALU_DEP_1) | instskip(SKIP_3) | instid1(VALU_DEP_1)
	v_cmp_ne_u32_e64 s0, 0, v1
	s_waitcnt lgkmcnt(0)
	v_cmp_neq_f32_e32 vcc_lo, 0, v2
	v_cmp_neq_f32_e64 s2, 0, v3
	s_or_b32 vcc_lo, vcc_lo, s2
	s_add_i32 s2, s16, s17
	v_dual_cndmask_b32 v2, 1.0, v2 :: v_dual_cndmask_b32 v3, 0, v3
	s_or_b32 s5, vcc_lo, s0
	s_delay_alu instid0(SALU_CYCLE_1) | instskip(NEXT) | instid1(SALU_CYCLE_1)
	s_xor_b32 s12, s5, -1
	s_and_saveexec_b32 s5, s12
	s_cbranch_execz .LBB46_73
; %bb.70:
	v_mbcnt_lo_u32_b32 v2, exec_lo, 0
	s_mov_b32 s12, exec_lo
	s_delay_alu instid0(VALU_DEP_1)
	v_cmpx_eq_u32_e32 0, v2
	s_cbranch_execz .LBB46_72
; %bb.71:
	v_dual_mov_b32 v2, 0 :: v_dual_mov_b32 v3, s2
	global_atomic_min_i32 v2, v3, s[10:11]
.LBB46_72:
	s_or_b32 exec_lo, exec_lo, s12
	v_dual_mov_b32 v2, 1.0 :: v_dual_mov_b32 v3, 0
.LBB46_73:
	s_or_b32 exec_lo, exec_lo, s5
	s_and_saveexec_b32 s5, s1
	s_cbranch_execz .LBB46_75
; %bb.74:
	s_delay_alu instid0(VALU_DEP_1) | instskip(SKIP_3) | instid1(VALU_DEP_1)
	v_dual_mul_f32 v13, v3, v3 :: v_dual_lshlrev_b32 v16, 6, v9
	ds_load_2addr_b64 v[4:7], v16 offset0:112 offset1:168
	s_waitcnt lgkmcnt(0)
	v_dual_sub_f32 v5, v5, v7 :: v_dual_sub_f32 v4, v4, v6
	v_dual_fmac_f32 v13, v2, v2 :: v_dual_mul_f32 v6, v3, v5
	s_delay_alu instid0(VALU_DEP_2) | instskip(NEXT) | instid1(VALU_DEP_2)
	v_mul_f32_e64 v3, v3, -v4
	v_div_scale_f32 v14, null, v13, v13, 1.0
	v_div_scale_f32 v18, vcc_lo, 1.0, v13, 1.0
	s_delay_alu instid0(VALU_DEP_3) | instskip(NEXT) | instid1(VALU_DEP_3)
	v_fmac_f32_e32 v3, v5, v2
	v_rcp_f32_e32 v15, v14
	v_fmac_f32_e32 v6, v4, v2
	s_waitcnt_depctr 0xfff
	v_fma_f32 v17, -v14, v15, 1.0
	s_delay_alu instid0(VALU_DEP_1) | instskip(NEXT) | instid1(VALU_DEP_1)
	v_fmac_f32_e32 v15, v17, v15
	v_mul_f32_e32 v17, v18, v15
	s_delay_alu instid0(VALU_DEP_1) | instskip(NEXT) | instid1(VALU_DEP_1)
	v_fma_f32 v19, -v14, v17, v18
	v_fmac_f32_e32 v17, v19, v15
	s_delay_alu instid0(VALU_DEP_1) | instskip(NEXT) | instid1(VALU_DEP_1)
	v_fma_f32 v7, -v14, v17, v18
	v_div_fmas_f32 v7, v7, v15, v17
	s_delay_alu instid0(VALU_DEP_1) | instskip(NEXT) | instid1(VALU_DEP_1)
	v_div_fixup_f32 v4, v7, v13, 1.0
	v_mul_f32_e32 v2, v4, v6
	v_dual_mul_f32 v3, v4, v3 :: v_dual_lshlrev_b32 v4, 6, v8
	ds_store_b64 v16, v[2:3] offset:896
	s_waitcnt lgkmcnt(0)
	s_waitcnt_vscnt null, 0x0
	buffer_gl0_inv
	ds_load_b64 v[4:5], v4 offset:896
	ds_load_b64 v[6:7], v12
	s_waitcnt lgkmcnt(0)
	v_fma_f32 v6, v2, v4, v6
	v_fmac_f32_e32 v7, v3, v4
	s_delay_alu instid0(VALU_DEP_2) | instskip(NEXT) | instid1(VALU_DEP_2)
	v_fmac_f32_e32 v6, v3, v5
	v_fma_f32 v7, v2, -v5, v7
	ds_store_b64 v12, v[6:7]
.LBB46_75:
	s_or_b32 exec_lo, exec_lo, s5
	s_delay_alu instid0(SALU_CYCLE_1)
	s_mov_b32 s5, exec_lo
	s_waitcnt lgkmcnt(0)
	s_waitcnt_vscnt null, 0x0
	buffer_gl0_inv
	v_cmpx_eq_u32_e32 1, v9
	s_cbranch_execz .LBB46_83
; %bb.76:
	v_mov_b32_e32 v4, 0
	ds_load_2addr_b64 v[13:16], v4 offset0:121 offset1:177
	s_waitcnt lgkmcnt(0)
	v_dual_sub_f32 v5, v14, v16 :: v_dual_sub_f32 v2, v13, v15
	s_delay_alu instid0(VALU_DEP_1) | instskip(SKIP_1) | instid1(VALU_DEP_3)
	v_cmp_gt_f32_e32 vcc_lo, 0, v2
	v_cndmask_b32_e64 v2, v2, -v2, vcc_lo
	v_cmp_gt_f32_e32 vcc_lo, 0, v5
	v_cndmask_b32_e64 v3, v5, -v5, vcc_lo
	s_delay_alu instid0(VALU_DEP_1)
	v_cmp_gt_f32_e32 vcc_lo, v2, v3
	s_cbranch_vccnz .LBB46_80
; %bb.77:
	v_cmp_eq_f32_e32 vcc_lo, 0, v5
	s_cbranch_vccnz .LBB46_79
; %bb.78:
	v_div_scale_f32 v4, null, v3, v3, v2
	v_div_scale_f32 v7, vcc_lo, v2, v3, v2
	s_delay_alu instid0(VALU_DEP_2) | instskip(SKIP_2) | instid1(VALU_DEP_1)
	v_rcp_f32_e32 v5, v4
	s_waitcnt_depctr 0xfff
	v_fma_f32 v6, -v4, v5, 1.0
	v_fmac_f32_e32 v5, v6, v5
	s_delay_alu instid0(VALU_DEP_1) | instskip(NEXT) | instid1(VALU_DEP_1)
	v_mul_f32_e32 v6, v7, v5
	v_fma_f32 v13, -v4, v6, v7
	s_delay_alu instid0(VALU_DEP_1) | instskip(NEXT) | instid1(VALU_DEP_1)
	v_fmac_f32_e32 v6, v13, v5
	v_fma_f32 v4, -v4, v6, v7
	s_delay_alu instid0(VALU_DEP_1) | instskip(NEXT) | instid1(VALU_DEP_1)
	v_div_fmas_f32 v4, v4, v5, v6
	v_div_fixup_f32 v4, v4, v3, v2
	s_delay_alu instid0(VALU_DEP_1) | instskip(NEXT) | instid1(VALU_DEP_1)
	v_fma_f32 v4, v4, v4, 1.0
	v_mul_f32_e32 v5, 0x4f800000, v4
	v_cmp_gt_f32_e32 vcc_lo, 0xf800000, v4
	s_delay_alu instid0(VALU_DEP_2) | instskip(NEXT) | instid1(VALU_DEP_1)
	v_cndmask_b32_e32 v4, v4, v5, vcc_lo
	v_sqrt_f32_e32 v5, v4
	s_waitcnt_depctr 0xfff
	v_add_nc_u32_e32 v6, -1, v5
	v_add_nc_u32_e32 v7, 1, v5
	s_delay_alu instid0(VALU_DEP_2) | instskip(NEXT) | instid1(VALU_DEP_2)
	v_fma_f32 v13, -v6, v5, v4
	v_fma_f32 v14, -v7, v5, v4
	s_delay_alu instid0(VALU_DEP_2) | instskip(NEXT) | instid1(VALU_DEP_1)
	v_cmp_ge_f32_e64 s1, 0, v13
	v_cndmask_b32_e64 v5, v5, v6, s1
	s_delay_alu instid0(VALU_DEP_3) | instskip(NEXT) | instid1(VALU_DEP_1)
	v_cmp_lt_f32_e64 s1, 0, v14
	v_cndmask_b32_e64 v5, v5, v7, s1
	s_delay_alu instid0(VALU_DEP_1) | instskip(NEXT) | instid1(VALU_DEP_1)
	v_mul_f32_e32 v6, 0x37800000, v5
	v_cndmask_b32_e32 v5, v5, v6, vcc_lo
	v_cmp_class_f32_e64 vcc_lo, v4, 0x260
	s_delay_alu instid0(VALU_DEP_2) | instskip(NEXT) | instid1(VALU_DEP_1)
	v_cndmask_b32_e32 v4, v5, v4, vcc_lo
	v_mul_f32_e32 v4, v3, v4
.LBB46_79:
	s_cbranch_execz .LBB46_81
	s_branch .LBB46_82
.LBB46_80:
                                        ; implicit-def: $vgpr4
.LBB46_81:
	v_div_scale_f32 v4, null, v2, v2, v3
	v_div_scale_f32 v7, vcc_lo, v3, v2, v3
	s_delay_alu instid0(VALU_DEP_2) | instskip(SKIP_2) | instid1(VALU_DEP_1)
	v_rcp_f32_e32 v5, v4
	s_waitcnt_depctr 0xfff
	v_fma_f32 v6, -v4, v5, 1.0
	v_fmac_f32_e32 v5, v6, v5
	s_delay_alu instid0(VALU_DEP_1) | instskip(NEXT) | instid1(VALU_DEP_1)
	v_mul_f32_e32 v6, v7, v5
	v_fma_f32 v13, -v4, v6, v7
	s_delay_alu instid0(VALU_DEP_1) | instskip(NEXT) | instid1(VALU_DEP_1)
	v_fmac_f32_e32 v6, v13, v5
	v_fma_f32 v4, -v4, v6, v7
	s_delay_alu instid0(VALU_DEP_1) | instskip(NEXT) | instid1(VALU_DEP_1)
	v_div_fmas_f32 v4, v4, v5, v6
	v_div_fixup_f32 v3, v4, v2, v3
	s_delay_alu instid0(VALU_DEP_1) | instskip(NEXT) | instid1(VALU_DEP_1)
	v_fma_f32 v3, v3, v3, 1.0
	v_mul_f32_e32 v4, 0x4f800000, v3
	v_cmp_gt_f32_e32 vcc_lo, 0xf800000, v3
	s_delay_alu instid0(VALU_DEP_2) | instskip(NEXT) | instid1(VALU_DEP_1)
	v_cndmask_b32_e32 v3, v3, v4, vcc_lo
	v_sqrt_f32_e32 v4, v3
	s_waitcnt_depctr 0xfff
	v_add_nc_u32_e32 v5, -1, v4
	v_add_nc_u32_e32 v6, 1, v4
	s_delay_alu instid0(VALU_DEP_2) | instskip(NEXT) | instid1(VALU_DEP_2)
	v_fma_f32 v7, -v5, v4, v3
	v_fma_f32 v13, -v6, v4, v3
	s_delay_alu instid0(VALU_DEP_2) | instskip(NEXT) | instid1(VALU_DEP_1)
	v_cmp_ge_f32_e64 s1, 0, v7
	v_cndmask_b32_e64 v4, v4, v5, s1
	s_delay_alu instid0(VALU_DEP_3) | instskip(NEXT) | instid1(VALU_DEP_1)
	v_cmp_lt_f32_e64 s1, 0, v13
	v_cndmask_b32_e64 v4, v4, v6, s1
	s_delay_alu instid0(VALU_DEP_1) | instskip(NEXT) | instid1(VALU_DEP_1)
	v_mul_f32_e32 v5, 0x37800000, v4
	v_cndmask_b32_e32 v4, v4, v5, vcc_lo
	v_cmp_class_f32_e64 vcc_lo, v3, 0x260
	s_delay_alu instid0(VALU_DEP_2) | instskip(NEXT) | instid1(VALU_DEP_1)
	v_cndmask_b32_e32 v3, v4, v3, vcc_lo
	v_mul_f32_e32 v4, v2, v3
.LBB46_82:
	s_delay_alu instid0(VALU_DEP_1) | instskip(SKIP_1) | instid1(VALU_DEP_2)
	v_mul_f32_e32 v2, 0x4f800000, v4
	v_cmp_gt_f32_e32 vcc_lo, 0xf800000, v4
	v_cndmask_b32_e32 v2, v4, v2, vcc_lo
	s_delay_alu instid0(VALU_DEP_1) | instskip(SKIP_3) | instid1(VALU_DEP_2)
	v_sqrt_f32_e32 v3, v2
	s_waitcnt_depctr 0xfff
	v_add_nc_u32_e32 v4, -1, v3
	v_add_nc_u32_e32 v5, 1, v3
	v_fma_f32 v6, -v4, v3, v2
	s_delay_alu instid0(VALU_DEP_2) | instskip(NEXT) | instid1(VALU_DEP_2)
	v_fma_f32 v7, -v5, v3, v2
	v_cmp_ge_f32_e64 s1, 0, v6
	s_delay_alu instid0(VALU_DEP_1) | instskip(NEXT) | instid1(VALU_DEP_3)
	v_cndmask_b32_e64 v3, v3, v4, s1
	v_cmp_lt_f32_e64 s1, 0, v7
	s_delay_alu instid0(VALU_DEP_1) | instskip(NEXT) | instid1(VALU_DEP_1)
	v_cndmask_b32_e64 v3, v3, v5, s1
	v_mul_f32_e32 v4, 0x37800000, v3
	s_delay_alu instid0(VALU_DEP_1) | instskip(SKIP_1) | instid1(VALU_DEP_2)
	v_cndmask_b32_e32 v3, v3, v4, vcc_lo
	v_cmp_class_f32_e64 vcc_lo, v2, 0x260
	v_dual_cndmask_b32 v2, v3, v2 :: v_dual_mov_b32 v3, 0
	ds_store_b64 v3, v[2:3] offset:968
.LBB46_83:
	s_or_b32 exec_lo, exec_lo, s5
	v_mov_b32_e32 v2, 0
	s_waitcnt lgkmcnt(0)
	buffer_gl0_inv
	ds_load_b64 v[2:3], v2 offset:968
	s_waitcnt lgkmcnt(0)
	v_cmp_neq_f32_e32 vcc_lo, 0, v2
	v_cmp_neq_f32_e64 s1, 0, v3
	s_delay_alu instid0(VALU_DEP_1) | instskip(SKIP_2) | instid1(SALU_CYCLE_1)
	s_or_b32 vcc_lo, vcc_lo, s1
	v_dual_cndmask_b32 v3, 0, v3 :: v_dual_cndmask_b32 v2, 1.0, v2
	s_or_b32 s1, vcc_lo, s0
	s_xor_b32 s5, s1, -1
	s_delay_alu instid0(SALU_CYCLE_1)
	s_and_saveexec_b32 s1, s5
	s_cbranch_execz .LBB46_87
; %bb.84:
	v_mbcnt_lo_u32_b32 v2, exec_lo, 0
	s_mov_b32 s5, exec_lo
	s_delay_alu instid0(VALU_DEP_1)
	v_cmpx_eq_u32_e32 0, v2
	s_cbranch_execz .LBB46_86
; %bb.85:
	v_dual_mov_b32 v2, 0 :: v_dual_mov_b32 v3, s2
	global_atomic_min_i32 v2, v3, s[10:11]
.LBB46_86:
	s_or_b32 exec_lo, exec_lo, s5
	v_dual_mov_b32 v2, 1.0 :: v_dual_mov_b32 v3, 0
.LBB46_87:
	s_or_b32 exec_lo, exec_lo, s1
	s_delay_alu instid0(SALU_CYCLE_1)
	s_mov_b32 s1, exec_lo
	v_cmpx_lt_u32_e32 1, v9
	s_cbranch_execz .LBB46_89
; %bb.88:
	v_dual_mul_f32 v13, v3, v3 :: v_dual_lshlrev_b32 v16, 6, v9
	ds_load_2addr_b64 v[4:7], v16 offset0:113 offset1:169
	s_waitcnt lgkmcnt(0)
	v_dual_sub_f32 v5, v5, v7 :: v_dual_sub_f32 v4, v4, v6
	s_delay_alu instid0(VALU_DEP_1) | instskip(NEXT) | instid1(VALU_DEP_2)
	v_dual_fmac_f32 v13, v2, v2 :: v_dual_mul_f32 v6, v3, v5
	v_mul_f32_e64 v3, v3, -v4
	s_delay_alu instid0(VALU_DEP_2) | instskip(SKIP_1) | instid1(VALU_DEP_3)
	v_div_scale_f32 v14, null, v13, v13, 1.0
	v_div_scale_f32 v18, vcc_lo, 1.0, v13, 1.0
	v_fmac_f32_e32 v3, v5, v2
	s_delay_alu instid0(VALU_DEP_3) | instskip(SKIP_3) | instid1(VALU_DEP_1)
	v_rcp_f32_e32 v15, v14
	v_fmac_f32_e32 v6, v4, v2
	s_waitcnt_depctr 0xfff
	v_fma_f32 v17, -v14, v15, 1.0
	v_fmac_f32_e32 v15, v17, v15
	s_delay_alu instid0(VALU_DEP_1) | instskip(NEXT) | instid1(VALU_DEP_1)
	v_mul_f32_e32 v17, v18, v15
	v_fma_f32 v19, -v14, v17, v18
	s_delay_alu instid0(VALU_DEP_1) | instskip(NEXT) | instid1(VALU_DEP_1)
	v_fmac_f32_e32 v17, v19, v15
	v_fma_f32 v7, -v14, v17, v18
	s_delay_alu instid0(VALU_DEP_1) | instskip(NEXT) | instid1(VALU_DEP_1)
	v_div_fmas_f32 v7, v7, v15, v17
	v_div_fixup_f32 v4, v7, v13, 1.0
	s_delay_alu instid0(VALU_DEP_1)
	v_mul_f32_e32 v2, v4, v6
	v_dual_mul_f32 v3, v4, v3 :: v_dual_lshlrev_b32 v4, 6, v8
	ds_store_b64 v16, v[2:3] offset:904
	s_waitcnt lgkmcnt(0)
	s_waitcnt_vscnt null, 0x0
	buffer_gl0_inv
	ds_load_b64 v[4:5], v4 offset:904
	ds_load_b64 v[6:7], v12
	s_waitcnt lgkmcnt(0)
	v_fma_f32 v6, v2, v4, v6
	v_fmac_f32_e32 v7, v3, v4
	s_delay_alu instid0(VALU_DEP_2) | instskip(NEXT) | instid1(VALU_DEP_2)
	v_fmac_f32_e32 v6, v3, v5
	v_fma_f32 v7, v2, -v5, v7
	ds_store_b64 v12, v[6:7]
.LBB46_89:
	s_or_b32 exec_lo, exec_lo, s1
	s_delay_alu instid0(SALU_CYCLE_1)
	s_mov_b32 s5, exec_lo
	s_waitcnt lgkmcnt(0)
	s_waitcnt_vscnt null, 0x0
	buffer_gl0_inv
	v_cmpx_eq_u32_e32 2, v9
	s_cbranch_execz .LBB46_97
; %bb.90:
	v_mov_b32_e32 v4, 0
	ds_load_2addr_b64 v[13:16], v4 offset0:130 offset1:186
	s_waitcnt lgkmcnt(0)
	v_dual_sub_f32 v5, v14, v16 :: v_dual_sub_f32 v2, v13, v15
	s_delay_alu instid0(VALU_DEP_1) | instskip(SKIP_1) | instid1(VALU_DEP_3)
	v_cmp_gt_f32_e32 vcc_lo, 0, v2
	v_cndmask_b32_e64 v2, v2, -v2, vcc_lo
	v_cmp_gt_f32_e32 vcc_lo, 0, v5
	v_cndmask_b32_e64 v3, v5, -v5, vcc_lo
	s_delay_alu instid0(VALU_DEP_1)
	v_cmp_gt_f32_e32 vcc_lo, v2, v3
	s_cbranch_vccnz .LBB46_94
; %bb.91:
	v_cmp_eq_f32_e32 vcc_lo, 0, v5
	s_cbranch_vccnz .LBB46_93
; %bb.92:
	v_div_scale_f32 v4, null, v3, v3, v2
	v_div_scale_f32 v7, vcc_lo, v2, v3, v2
	s_delay_alu instid0(VALU_DEP_2) | instskip(SKIP_2) | instid1(VALU_DEP_1)
	v_rcp_f32_e32 v5, v4
	s_waitcnt_depctr 0xfff
	v_fma_f32 v6, -v4, v5, 1.0
	v_fmac_f32_e32 v5, v6, v5
	s_delay_alu instid0(VALU_DEP_1) | instskip(NEXT) | instid1(VALU_DEP_1)
	v_mul_f32_e32 v6, v7, v5
	v_fma_f32 v13, -v4, v6, v7
	s_delay_alu instid0(VALU_DEP_1) | instskip(NEXT) | instid1(VALU_DEP_1)
	v_fmac_f32_e32 v6, v13, v5
	v_fma_f32 v4, -v4, v6, v7
	s_delay_alu instid0(VALU_DEP_1) | instskip(NEXT) | instid1(VALU_DEP_1)
	v_div_fmas_f32 v4, v4, v5, v6
	v_div_fixup_f32 v4, v4, v3, v2
	s_delay_alu instid0(VALU_DEP_1) | instskip(NEXT) | instid1(VALU_DEP_1)
	v_fma_f32 v4, v4, v4, 1.0
	v_mul_f32_e32 v5, 0x4f800000, v4
	v_cmp_gt_f32_e32 vcc_lo, 0xf800000, v4
	s_delay_alu instid0(VALU_DEP_2) | instskip(NEXT) | instid1(VALU_DEP_1)
	v_cndmask_b32_e32 v4, v4, v5, vcc_lo
	v_sqrt_f32_e32 v5, v4
	s_waitcnt_depctr 0xfff
	v_add_nc_u32_e32 v6, -1, v5
	v_add_nc_u32_e32 v7, 1, v5
	s_delay_alu instid0(VALU_DEP_2) | instskip(NEXT) | instid1(VALU_DEP_2)
	v_fma_f32 v13, -v6, v5, v4
	v_fma_f32 v14, -v7, v5, v4
	s_delay_alu instid0(VALU_DEP_2) | instskip(NEXT) | instid1(VALU_DEP_1)
	v_cmp_ge_f32_e64 s1, 0, v13
	v_cndmask_b32_e64 v5, v5, v6, s1
	s_delay_alu instid0(VALU_DEP_3) | instskip(NEXT) | instid1(VALU_DEP_1)
	v_cmp_lt_f32_e64 s1, 0, v14
	v_cndmask_b32_e64 v5, v5, v7, s1
	s_delay_alu instid0(VALU_DEP_1) | instskip(NEXT) | instid1(VALU_DEP_1)
	v_mul_f32_e32 v6, 0x37800000, v5
	v_cndmask_b32_e32 v5, v5, v6, vcc_lo
	v_cmp_class_f32_e64 vcc_lo, v4, 0x260
	s_delay_alu instid0(VALU_DEP_2) | instskip(NEXT) | instid1(VALU_DEP_1)
	v_cndmask_b32_e32 v4, v5, v4, vcc_lo
	v_mul_f32_e32 v4, v3, v4
.LBB46_93:
	s_cbranch_execz .LBB46_95
	s_branch .LBB46_96
.LBB46_94:
                                        ; implicit-def: $vgpr4
.LBB46_95:
	v_div_scale_f32 v4, null, v2, v2, v3
	v_div_scale_f32 v7, vcc_lo, v3, v2, v3
	s_delay_alu instid0(VALU_DEP_2) | instskip(SKIP_2) | instid1(VALU_DEP_1)
	v_rcp_f32_e32 v5, v4
	s_waitcnt_depctr 0xfff
	v_fma_f32 v6, -v4, v5, 1.0
	v_fmac_f32_e32 v5, v6, v5
	s_delay_alu instid0(VALU_DEP_1) | instskip(NEXT) | instid1(VALU_DEP_1)
	v_mul_f32_e32 v6, v7, v5
	v_fma_f32 v13, -v4, v6, v7
	s_delay_alu instid0(VALU_DEP_1) | instskip(NEXT) | instid1(VALU_DEP_1)
	v_fmac_f32_e32 v6, v13, v5
	v_fma_f32 v4, -v4, v6, v7
	s_delay_alu instid0(VALU_DEP_1) | instskip(NEXT) | instid1(VALU_DEP_1)
	v_div_fmas_f32 v4, v4, v5, v6
	v_div_fixup_f32 v3, v4, v2, v3
	s_delay_alu instid0(VALU_DEP_1) | instskip(NEXT) | instid1(VALU_DEP_1)
	v_fma_f32 v3, v3, v3, 1.0
	v_mul_f32_e32 v4, 0x4f800000, v3
	v_cmp_gt_f32_e32 vcc_lo, 0xf800000, v3
	s_delay_alu instid0(VALU_DEP_2) | instskip(NEXT) | instid1(VALU_DEP_1)
	v_cndmask_b32_e32 v3, v3, v4, vcc_lo
	v_sqrt_f32_e32 v4, v3
	s_waitcnt_depctr 0xfff
	v_add_nc_u32_e32 v5, -1, v4
	v_add_nc_u32_e32 v6, 1, v4
	s_delay_alu instid0(VALU_DEP_2) | instskip(NEXT) | instid1(VALU_DEP_2)
	v_fma_f32 v7, -v5, v4, v3
	v_fma_f32 v13, -v6, v4, v3
	s_delay_alu instid0(VALU_DEP_2) | instskip(NEXT) | instid1(VALU_DEP_1)
	v_cmp_ge_f32_e64 s1, 0, v7
	v_cndmask_b32_e64 v4, v4, v5, s1
	s_delay_alu instid0(VALU_DEP_3) | instskip(NEXT) | instid1(VALU_DEP_1)
	v_cmp_lt_f32_e64 s1, 0, v13
	v_cndmask_b32_e64 v4, v4, v6, s1
	s_delay_alu instid0(VALU_DEP_1) | instskip(NEXT) | instid1(VALU_DEP_1)
	v_mul_f32_e32 v5, 0x37800000, v4
	v_cndmask_b32_e32 v4, v4, v5, vcc_lo
	v_cmp_class_f32_e64 vcc_lo, v3, 0x260
	s_delay_alu instid0(VALU_DEP_2) | instskip(NEXT) | instid1(VALU_DEP_1)
	v_cndmask_b32_e32 v3, v4, v3, vcc_lo
	v_mul_f32_e32 v4, v2, v3
.LBB46_96:
	s_delay_alu instid0(VALU_DEP_1) | instskip(SKIP_1) | instid1(VALU_DEP_2)
	v_mul_f32_e32 v2, 0x4f800000, v4
	v_cmp_gt_f32_e32 vcc_lo, 0xf800000, v4
	v_cndmask_b32_e32 v2, v4, v2, vcc_lo
	s_delay_alu instid0(VALU_DEP_1) | instskip(SKIP_3) | instid1(VALU_DEP_2)
	v_sqrt_f32_e32 v3, v2
	s_waitcnt_depctr 0xfff
	v_add_nc_u32_e32 v4, -1, v3
	v_add_nc_u32_e32 v5, 1, v3
	v_fma_f32 v6, -v4, v3, v2
	s_delay_alu instid0(VALU_DEP_2) | instskip(NEXT) | instid1(VALU_DEP_2)
	v_fma_f32 v7, -v5, v3, v2
	v_cmp_ge_f32_e64 s1, 0, v6
	s_delay_alu instid0(VALU_DEP_1) | instskip(NEXT) | instid1(VALU_DEP_3)
	v_cndmask_b32_e64 v3, v3, v4, s1
	v_cmp_lt_f32_e64 s1, 0, v7
	s_delay_alu instid0(VALU_DEP_1) | instskip(NEXT) | instid1(VALU_DEP_1)
	v_cndmask_b32_e64 v3, v3, v5, s1
	v_mul_f32_e32 v4, 0x37800000, v3
	s_delay_alu instid0(VALU_DEP_1) | instskip(SKIP_1) | instid1(VALU_DEP_2)
	v_cndmask_b32_e32 v3, v3, v4, vcc_lo
	v_cmp_class_f32_e64 vcc_lo, v2, 0x260
	v_dual_cndmask_b32 v2, v3, v2 :: v_dual_mov_b32 v3, 0
	ds_store_b64 v3, v[2:3] offset:1040
.LBB46_97:
	s_or_b32 exec_lo, exec_lo, s5
	v_mov_b32_e32 v2, 0
	s_waitcnt lgkmcnt(0)
	buffer_gl0_inv
	ds_load_b64 v[2:3], v2 offset:1040
	s_waitcnt lgkmcnt(0)
	v_cmp_neq_f32_e32 vcc_lo, 0, v2
	v_cmp_neq_f32_e64 s1, 0, v3
	s_delay_alu instid0(VALU_DEP_1) | instskip(SKIP_2) | instid1(SALU_CYCLE_1)
	s_or_b32 vcc_lo, vcc_lo, s1
	v_dual_cndmask_b32 v3, 0, v3 :: v_dual_cndmask_b32 v2, 1.0, v2
	s_or_b32 s1, vcc_lo, s0
	s_xor_b32 s5, s1, -1
	s_delay_alu instid0(SALU_CYCLE_1)
	s_and_saveexec_b32 s1, s5
	s_cbranch_execz .LBB46_101
; %bb.98:
	v_mbcnt_lo_u32_b32 v2, exec_lo, 0
	s_mov_b32 s5, exec_lo
	s_delay_alu instid0(VALU_DEP_1)
	v_cmpx_eq_u32_e32 0, v2
	s_cbranch_execz .LBB46_100
; %bb.99:
	v_dual_mov_b32 v2, 0 :: v_dual_mov_b32 v3, s2
	global_atomic_min_i32 v2, v3, s[10:11]
.LBB46_100:
	s_or_b32 exec_lo, exec_lo, s5
	v_dual_mov_b32 v2, 1.0 :: v_dual_mov_b32 v3, 0
.LBB46_101:
	s_or_b32 exec_lo, exec_lo, s1
	s_delay_alu instid0(SALU_CYCLE_1)
	s_mov_b32 s1, exec_lo
	v_cmpx_lt_u32_e32 2, v9
	s_cbranch_execz .LBB46_103
; %bb.102:
	v_dual_mul_f32 v13, v3, v3 :: v_dual_lshlrev_b32 v16, 6, v9
	ds_load_2addr_b64 v[4:7], v16 offset0:114 offset1:170
	s_waitcnt lgkmcnt(0)
	v_dual_sub_f32 v5, v5, v7 :: v_dual_sub_f32 v4, v4, v6
	s_delay_alu instid0(VALU_DEP_1) | instskip(NEXT) | instid1(VALU_DEP_2)
	v_dual_fmac_f32 v13, v2, v2 :: v_dual_mul_f32 v6, v3, v5
	v_mul_f32_e64 v3, v3, -v4
	s_delay_alu instid0(VALU_DEP_2) | instskip(SKIP_1) | instid1(VALU_DEP_3)
	v_div_scale_f32 v14, null, v13, v13, 1.0
	v_div_scale_f32 v18, vcc_lo, 1.0, v13, 1.0
	v_fmac_f32_e32 v3, v5, v2
	s_delay_alu instid0(VALU_DEP_3) | instskip(SKIP_3) | instid1(VALU_DEP_1)
	v_rcp_f32_e32 v15, v14
	v_fmac_f32_e32 v6, v4, v2
	s_waitcnt_depctr 0xfff
	v_fma_f32 v17, -v14, v15, 1.0
	v_fmac_f32_e32 v15, v17, v15
	s_delay_alu instid0(VALU_DEP_1) | instskip(NEXT) | instid1(VALU_DEP_1)
	v_mul_f32_e32 v17, v18, v15
	v_fma_f32 v19, -v14, v17, v18
	s_delay_alu instid0(VALU_DEP_1) | instskip(NEXT) | instid1(VALU_DEP_1)
	v_fmac_f32_e32 v17, v19, v15
	v_fma_f32 v7, -v14, v17, v18
	s_delay_alu instid0(VALU_DEP_1) | instskip(NEXT) | instid1(VALU_DEP_1)
	v_div_fmas_f32 v7, v7, v15, v17
	v_div_fixup_f32 v4, v7, v13, 1.0
	s_delay_alu instid0(VALU_DEP_1)
	v_mul_f32_e32 v2, v4, v6
	v_dual_mul_f32 v3, v4, v3 :: v_dual_lshlrev_b32 v4, 6, v8
	ds_store_b64 v16, v[2:3] offset:912
	s_waitcnt lgkmcnt(0)
	s_waitcnt_vscnt null, 0x0
	buffer_gl0_inv
	ds_load_b64 v[4:5], v4 offset:912
	ds_load_b64 v[6:7], v12
	s_waitcnt lgkmcnt(0)
	v_fma_f32 v6, v2, v4, v6
	v_fmac_f32_e32 v7, v3, v4
	s_delay_alu instid0(VALU_DEP_2) | instskip(NEXT) | instid1(VALU_DEP_2)
	v_fmac_f32_e32 v6, v3, v5
	v_fma_f32 v7, v2, -v5, v7
	ds_store_b64 v12, v[6:7]
.LBB46_103:
	s_or_b32 exec_lo, exec_lo, s1
	s_delay_alu instid0(SALU_CYCLE_1)
	s_mov_b32 s5, exec_lo
	s_waitcnt lgkmcnt(0)
	s_waitcnt_vscnt null, 0x0
	buffer_gl0_inv
	v_cmpx_eq_u32_e32 3, v9
	s_cbranch_execz .LBB46_111
; %bb.104:
	v_mov_b32_e32 v4, 0
	ds_load_2addr_b64 v[13:16], v4 offset0:139 offset1:195
	s_waitcnt lgkmcnt(0)
	v_dual_sub_f32 v5, v14, v16 :: v_dual_sub_f32 v2, v13, v15
	s_delay_alu instid0(VALU_DEP_1) | instskip(SKIP_1) | instid1(VALU_DEP_3)
	v_cmp_gt_f32_e32 vcc_lo, 0, v2
	v_cndmask_b32_e64 v2, v2, -v2, vcc_lo
	v_cmp_gt_f32_e32 vcc_lo, 0, v5
	v_cndmask_b32_e64 v3, v5, -v5, vcc_lo
	s_delay_alu instid0(VALU_DEP_1)
	v_cmp_gt_f32_e32 vcc_lo, v2, v3
	s_cbranch_vccnz .LBB46_108
; %bb.105:
	v_cmp_eq_f32_e32 vcc_lo, 0, v5
	s_cbranch_vccnz .LBB46_107
; %bb.106:
	v_div_scale_f32 v4, null, v3, v3, v2
	v_div_scale_f32 v7, vcc_lo, v2, v3, v2
	s_delay_alu instid0(VALU_DEP_2) | instskip(SKIP_2) | instid1(VALU_DEP_1)
	v_rcp_f32_e32 v5, v4
	s_waitcnt_depctr 0xfff
	v_fma_f32 v6, -v4, v5, 1.0
	v_fmac_f32_e32 v5, v6, v5
	s_delay_alu instid0(VALU_DEP_1) | instskip(NEXT) | instid1(VALU_DEP_1)
	v_mul_f32_e32 v6, v7, v5
	v_fma_f32 v13, -v4, v6, v7
	s_delay_alu instid0(VALU_DEP_1) | instskip(NEXT) | instid1(VALU_DEP_1)
	v_fmac_f32_e32 v6, v13, v5
	v_fma_f32 v4, -v4, v6, v7
	s_delay_alu instid0(VALU_DEP_1) | instskip(NEXT) | instid1(VALU_DEP_1)
	v_div_fmas_f32 v4, v4, v5, v6
	v_div_fixup_f32 v4, v4, v3, v2
	s_delay_alu instid0(VALU_DEP_1) | instskip(NEXT) | instid1(VALU_DEP_1)
	v_fma_f32 v4, v4, v4, 1.0
	v_mul_f32_e32 v5, 0x4f800000, v4
	v_cmp_gt_f32_e32 vcc_lo, 0xf800000, v4
	s_delay_alu instid0(VALU_DEP_2) | instskip(NEXT) | instid1(VALU_DEP_1)
	v_cndmask_b32_e32 v4, v4, v5, vcc_lo
	v_sqrt_f32_e32 v5, v4
	s_waitcnt_depctr 0xfff
	v_add_nc_u32_e32 v6, -1, v5
	v_add_nc_u32_e32 v7, 1, v5
	s_delay_alu instid0(VALU_DEP_2) | instskip(NEXT) | instid1(VALU_DEP_2)
	v_fma_f32 v13, -v6, v5, v4
	v_fma_f32 v14, -v7, v5, v4
	s_delay_alu instid0(VALU_DEP_2) | instskip(NEXT) | instid1(VALU_DEP_1)
	v_cmp_ge_f32_e64 s1, 0, v13
	v_cndmask_b32_e64 v5, v5, v6, s1
	s_delay_alu instid0(VALU_DEP_3) | instskip(NEXT) | instid1(VALU_DEP_1)
	v_cmp_lt_f32_e64 s1, 0, v14
	v_cndmask_b32_e64 v5, v5, v7, s1
	s_delay_alu instid0(VALU_DEP_1) | instskip(NEXT) | instid1(VALU_DEP_1)
	v_mul_f32_e32 v6, 0x37800000, v5
	v_cndmask_b32_e32 v5, v5, v6, vcc_lo
	v_cmp_class_f32_e64 vcc_lo, v4, 0x260
	s_delay_alu instid0(VALU_DEP_2) | instskip(NEXT) | instid1(VALU_DEP_1)
	v_cndmask_b32_e32 v4, v5, v4, vcc_lo
	v_mul_f32_e32 v4, v3, v4
.LBB46_107:
	s_cbranch_execz .LBB46_109
	s_branch .LBB46_110
.LBB46_108:
                                        ; implicit-def: $vgpr4
.LBB46_109:
	v_div_scale_f32 v4, null, v2, v2, v3
	v_div_scale_f32 v7, vcc_lo, v3, v2, v3
	s_delay_alu instid0(VALU_DEP_2) | instskip(SKIP_2) | instid1(VALU_DEP_1)
	v_rcp_f32_e32 v5, v4
	s_waitcnt_depctr 0xfff
	v_fma_f32 v6, -v4, v5, 1.0
	v_fmac_f32_e32 v5, v6, v5
	s_delay_alu instid0(VALU_DEP_1) | instskip(NEXT) | instid1(VALU_DEP_1)
	v_mul_f32_e32 v6, v7, v5
	v_fma_f32 v13, -v4, v6, v7
	s_delay_alu instid0(VALU_DEP_1) | instskip(NEXT) | instid1(VALU_DEP_1)
	v_fmac_f32_e32 v6, v13, v5
	v_fma_f32 v4, -v4, v6, v7
	s_delay_alu instid0(VALU_DEP_1) | instskip(NEXT) | instid1(VALU_DEP_1)
	v_div_fmas_f32 v4, v4, v5, v6
	v_div_fixup_f32 v3, v4, v2, v3
	s_delay_alu instid0(VALU_DEP_1) | instskip(NEXT) | instid1(VALU_DEP_1)
	v_fma_f32 v3, v3, v3, 1.0
	v_mul_f32_e32 v4, 0x4f800000, v3
	v_cmp_gt_f32_e32 vcc_lo, 0xf800000, v3
	s_delay_alu instid0(VALU_DEP_2) | instskip(NEXT) | instid1(VALU_DEP_1)
	v_cndmask_b32_e32 v3, v3, v4, vcc_lo
	v_sqrt_f32_e32 v4, v3
	s_waitcnt_depctr 0xfff
	v_add_nc_u32_e32 v5, -1, v4
	v_add_nc_u32_e32 v6, 1, v4
	s_delay_alu instid0(VALU_DEP_2) | instskip(NEXT) | instid1(VALU_DEP_2)
	v_fma_f32 v7, -v5, v4, v3
	v_fma_f32 v13, -v6, v4, v3
	s_delay_alu instid0(VALU_DEP_2) | instskip(NEXT) | instid1(VALU_DEP_1)
	v_cmp_ge_f32_e64 s1, 0, v7
	v_cndmask_b32_e64 v4, v4, v5, s1
	s_delay_alu instid0(VALU_DEP_3) | instskip(NEXT) | instid1(VALU_DEP_1)
	v_cmp_lt_f32_e64 s1, 0, v13
	v_cndmask_b32_e64 v4, v4, v6, s1
	s_delay_alu instid0(VALU_DEP_1) | instskip(NEXT) | instid1(VALU_DEP_1)
	v_mul_f32_e32 v5, 0x37800000, v4
	v_cndmask_b32_e32 v4, v4, v5, vcc_lo
	v_cmp_class_f32_e64 vcc_lo, v3, 0x260
	s_delay_alu instid0(VALU_DEP_2) | instskip(NEXT) | instid1(VALU_DEP_1)
	v_cndmask_b32_e32 v3, v4, v3, vcc_lo
	v_mul_f32_e32 v4, v2, v3
.LBB46_110:
	s_delay_alu instid0(VALU_DEP_1) | instskip(SKIP_1) | instid1(VALU_DEP_2)
	v_mul_f32_e32 v2, 0x4f800000, v4
	v_cmp_gt_f32_e32 vcc_lo, 0xf800000, v4
	v_cndmask_b32_e32 v2, v4, v2, vcc_lo
	s_delay_alu instid0(VALU_DEP_1) | instskip(SKIP_3) | instid1(VALU_DEP_2)
	v_sqrt_f32_e32 v3, v2
	s_waitcnt_depctr 0xfff
	v_add_nc_u32_e32 v4, -1, v3
	v_add_nc_u32_e32 v5, 1, v3
	v_fma_f32 v6, -v4, v3, v2
	s_delay_alu instid0(VALU_DEP_2) | instskip(NEXT) | instid1(VALU_DEP_2)
	v_fma_f32 v7, -v5, v3, v2
	v_cmp_ge_f32_e64 s1, 0, v6
	s_delay_alu instid0(VALU_DEP_1) | instskip(NEXT) | instid1(VALU_DEP_3)
	v_cndmask_b32_e64 v3, v3, v4, s1
	v_cmp_lt_f32_e64 s1, 0, v7
	s_delay_alu instid0(VALU_DEP_1) | instskip(NEXT) | instid1(VALU_DEP_1)
	v_cndmask_b32_e64 v3, v3, v5, s1
	v_mul_f32_e32 v4, 0x37800000, v3
	s_delay_alu instid0(VALU_DEP_1) | instskip(SKIP_1) | instid1(VALU_DEP_2)
	v_cndmask_b32_e32 v3, v3, v4, vcc_lo
	v_cmp_class_f32_e64 vcc_lo, v2, 0x260
	v_dual_cndmask_b32 v2, v3, v2 :: v_dual_mov_b32 v3, 0
	ds_store_b64 v3, v[2:3] offset:1112
.LBB46_111:
	s_or_b32 exec_lo, exec_lo, s5
	v_mov_b32_e32 v2, 0
	s_waitcnt lgkmcnt(0)
	buffer_gl0_inv
	ds_load_b64 v[2:3], v2 offset:1112
	s_waitcnt lgkmcnt(0)
	v_cmp_neq_f32_e32 vcc_lo, 0, v2
	v_cmp_neq_f32_e64 s1, 0, v3
	s_delay_alu instid0(VALU_DEP_1) | instskip(SKIP_2) | instid1(SALU_CYCLE_1)
	s_or_b32 vcc_lo, vcc_lo, s1
	v_dual_cndmask_b32 v3, 0, v3 :: v_dual_cndmask_b32 v2, 1.0, v2
	s_or_b32 s1, vcc_lo, s0
	s_xor_b32 s5, s1, -1
	s_delay_alu instid0(SALU_CYCLE_1)
	s_and_saveexec_b32 s1, s5
	s_cbranch_execz .LBB46_115
; %bb.112:
	v_mbcnt_lo_u32_b32 v2, exec_lo, 0
	s_mov_b32 s5, exec_lo
	s_delay_alu instid0(VALU_DEP_1)
	v_cmpx_eq_u32_e32 0, v2
	s_cbranch_execz .LBB46_114
; %bb.113:
	v_dual_mov_b32 v2, 0 :: v_dual_mov_b32 v3, s2
	global_atomic_min_i32 v2, v3, s[10:11]
.LBB46_114:
	s_or_b32 exec_lo, exec_lo, s5
	v_dual_mov_b32 v2, 1.0 :: v_dual_mov_b32 v3, 0
.LBB46_115:
	s_or_b32 exec_lo, exec_lo, s1
	s_delay_alu instid0(SALU_CYCLE_1)
	s_mov_b32 s1, exec_lo
	v_cmpx_lt_u32_e32 3, v9
	s_cbranch_execz .LBB46_117
; %bb.116:
	v_dual_mul_f32 v13, v3, v3 :: v_dual_lshlrev_b32 v16, 6, v9
	ds_load_2addr_b64 v[4:7], v16 offset0:115 offset1:171
	s_waitcnt lgkmcnt(0)
	v_dual_sub_f32 v5, v5, v7 :: v_dual_sub_f32 v4, v4, v6
	s_delay_alu instid0(VALU_DEP_1) | instskip(NEXT) | instid1(VALU_DEP_2)
	v_dual_fmac_f32 v13, v2, v2 :: v_dual_mul_f32 v6, v3, v5
	v_mul_f32_e64 v3, v3, -v4
	s_delay_alu instid0(VALU_DEP_2) | instskip(SKIP_1) | instid1(VALU_DEP_3)
	v_div_scale_f32 v14, null, v13, v13, 1.0
	v_div_scale_f32 v18, vcc_lo, 1.0, v13, 1.0
	v_fmac_f32_e32 v3, v5, v2
	s_delay_alu instid0(VALU_DEP_3) | instskip(SKIP_3) | instid1(VALU_DEP_1)
	v_rcp_f32_e32 v15, v14
	v_fmac_f32_e32 v6, v4, v2
	s_waitcnt_depctr 0xfff
	v_fma_f32 v17, -v14, v15, 1.0
	v_fmac_f32_e32 v15, v17, v15
	s_delay_alu instid0(VALU_DEP_1) | instskip(NEXT) | instid1(VALU_DEP_1)
	v_mul_f32_e32 v17, v18, v15
	v_fma_f32 v19, -v14, v17, v18
	s_delay_alu instid0(VALU_DEP_1) | instskip(NEXT) | instid1(VALU_DEP_1)
	v_fmac_f32_e32 v17, v19, v15
	v_fma_f32 v7, -v14, v17, v18
	s_delay_alu instid0(VALU_DEP_1) | instskip(NEXT) | instid1(VALU_DEP_1)
	v_div_fmas_f32 v7, v7, v15, v17
	v_div_fixup_f32 v4, v7, v13, 1.0
	s_delay_alu instid0(VALU_DEP_1)
	v_mul_f32_e32 v2, v4, v6
	v_dual_mul_f32 v3, v4, v3 :: v_dual_lshlrev_b32 v4, 6, v8
	ds_store_b64 v16, v[2:3] offset:920
	s_waitcnt lgkmcnt(0)
	s_waitcnt_vscnt null, 0x0
	buffer_gl0_inv
	ds_load_b64 v[4:5], v4 offset:920
	ds_load_b64 v[6:7], v12
	s_waitcnt lgkmcnt(0)
	v_fma_f32 v6, v2, v4, v6
	v_fmac_f32_e32 v7, v3, v4
	s_delay_alu instid0(VALU_DEP_2) | instskip(NEXT) | instid1(VALU_DEP_2)
	v_fmac_f32_e32 v6, v3, v5
	v_fma_f32 v7, v2, -v5, v7
	ds_store_b64 v12, v[6:7]
.LBB46_117:
	s_or_b32 exec_lo, exec_lo, s1
	s_delay_alu instid0(SALU_CYCLE_1)
	s_mov_b32 s5, exec_lo
	s_waitcnt lgkmcnt(0)
	s_waitcnt_vscnt null, 0x0
	buffer_gl0_inv
	v_cmpx_eq_u32_e32 4, v9
	s_cbranch_execz .LBB46_125
; %bb.118:
	v_mov_b32_e32 v4, 0
	ds_load_2addr_b64 v[13:16], v4 offset0:148 offset1:204
	s_waitcnt lgkmcnt(0)
	v_dual_sub_f32 v5, v14, v16 :: v_dual_sub_f32 v2, v13, v15
	s_delay_alu instid0(VALU_DEP_1) | instskip(SKIP_1) | instid1(VALU_DEP_3)
	v_cmp_gt_f32_e32 vcc_lo, 0, v2
	v_cndmask_b32_e64 v2, v2, -v2, vcc_lo
	v_cmp_gt_f32_e32 vcc_lo, 0, v5
	v_cndmask_b32_e64 v3, v5, -v5, vcc_lo
	s_delay_alu instid0(VALU_DEP_1)
	v_cmp_gt_f32_e32 vcc_lo, v2, v3
	s_cbranch_vccnz .LBB46_122
; %bb.119:
	v_cmp_eq_f32_e32 vcc_lo, 0, v5
	s_cbranch_vccnz .LBB46_121
; %bb.120:
	v_div_scale_f32 v4, null, v3, v3, v2
	v_div_scale_f32 v7, vcc_lo, v2, v3, v2
	s_delay_alu instid0(VALU_DEP_2) | instskip(SKIP_2) | instid1(VALU_DEP_1)
	v_rcp_f32_e32 v5, v4
	s_waitcnt_depctr 0xfff
	v_fma_f32 v6, -v4, v5, 1.0
	v_fmac_f32_e32 v5, v6, v5
	s_delay_alu instid0(VALU_DEP_1) | instskip(NEXT) | instid1(VALU_DEP_1)
	v_mul_f32_e32 v6, v7, v5
	v_fma_f32 v13, -v4, v6, v7
	s_delay_alu instid0(VALU_DEP_1) | instskip(NEXT) | instid1(VALU_DEP_1)
	v_fmac_f32_e32 v6, v13, v5
	v_fma_f32 v4, -v4, v6, v7
	s_delay_alu instid0(VALU_DEP_1) | instskip(NEXT) | instid1(VALU_DEP_1)
	v_div_fmas_f32 v4, v4, v5, v6
	v_div_fixup_f32 v4, v4, v3, v2
	s_delay_alu instid0(VALU_DEP_1) | instskip(NEXT) | instid1(VALU_DEP_1)
	v_fma_f32 v4, v4, v4, 1.0
	v_mul_f32_e32 v5, 0x4f800000, v4
	v_cmp_gt_f32_e32 vcc_lo, 0xf800000, v4
	s_delay_alu instid0(VALU_DEP_2) | instskip(NEXT) | instid1(VALU_DEP_1)
	v_cndmask_b32_e32 v4, v4, v5, vcc_lo
	v_sqrt_f32_e32 v5, v4
	s_waitcnt_depctr 0xfff
	v_add_nc_u32_e32 v6, -1, v5
	v_add_nc_u32_e32 v7, 1, v5
	s_delay_alu instid0(VALU_DEP_2) | instskip(NEXT) | instid1(VALU_DEP_2)
	v_fma_f32 v13, -v6, v5, v4
	v_fma_f32 v14, -v7, v5, v4
	s_delay_alu instid0(VALU_DEP_2) | instskip(NEXT) | instid1(VALU_DEP_1)
	v_cmp_ge_f32_e64 s1, 0, v13
	v_cndmask_b32_e64 v5, v5, v6, s1
	s_delay_alu instid0(VALU_DEP_3) | instskip(NEXT) | instid1(VALU_DEP_1)
	v_cmp_lt_f32_e64 s1, 0, v14
	v_cndmask_b32_e64 v5, v5, v7, s1
	s_delay_alu instid0(VALU_DEP_1) | instskip(NEXT) | instid1(VALU_DEP_1)
	v_mul_f32_e32 v6, 0x37800000, v5
	v_cndmask_b32_e32 v5, v5, v6, vcc_lo
	v_cmp_class_f32_e64 vcc_lo, v4, 0x260
	s_delay_alu instid0(VALU_DEP_2) | instskip(NEXT) | instid1(VALU_DEP_1)
	v_cndmask_b32_e32 v4, v5, v4, vcc_lo
	v_mul_f32_e32 v4, v3, v4
.LBB46_121:
	s_cbranch_execz .LBB46_123
	s_branch .LBB46_124
.LBB46_122:
                                        ; implicit-def: $vgpr4
.LBB46_123:
	v_div_scale_f32 v4, null, v2, v2, v3
	v_div_scale_f32 v7, vcc_lo, v3, v2, v3
	s_delay_alu instid0(VALU_DEP_2) | instskip(SKIP_2) | instid1(VALU_DEP_1)
	v_rcp_f32_e32 v5, v4
	s_waitcnt_depctr 0xfff
	v_fma_f32 v6, -v4, v5, 1.0
	v_fmac_f32_e32 v5, v6, v5
	s_delay_alu instid0(VALU_DEP_1) | instskip(NEXT) | instid1(VALU_DEP_1)
	v_mul_f32_e32 v6, v7, v5
	v_fma_f32 v13, -v4, v6, v7
	s_delay_alu instid0(VALU_DEP_1) | instskip(NEXT) | instid1(VALU_DEP_1)
	v_fmac_f32_e32 v6, v13, v5
	v_fma_f32 v4, -v4, v6, v7
	s_delay_alu instid0(VALU_DEP_1) | instskip(NEXT) | instid1(VALU_DEP_1)
	v_div_fmas_f32 v4, v4, v5, v6
	v_div_fixup_f32 v3, v4, v2, v3
	s_delay_alu instid0(VALU_DEP_1) | instskip(NEXT) | instid1(VALU_DEP_1)
	v_fma_f32 v3, v3, v3, 1.0
	v_mul_f32_e32 v4, 0x4f800000, v3
	v_cmp_gt_f32_e32 vcc_lo, 0xf800000, v3
	s_delay_alu instid0(VALU_DEP_2) | instskip(NEXT) | instid1(VALU_DEP_1)
	v_cndmask_b32_e32 v3, v3, v4, vcc_lo
	v_sqrt_f32_e32 v4, v3
	s_waitcnt_depctr 0xfff
	v_add_nc_u32_e32 v5, -1, v4
	v_add_nc_u32_e32 v6, 1, v4
	s_delay_alu instid0(VALU_DEP_2) | instskip(NEXT) | instid1(VALU_DEP_2)
	v_fma_f32 v7, -v5, v4, v3
	v_fma_f32 v13, -v6, v4, v3
	s_delay_alu instid0(VALU_DEP_2) | instskip(NEXT) | instid1(VALU_DEP_1)
	v_cmp_ge_f32_e64 s1, 0, v7
	v_cndmask_b32_e64 v4, v4, v5, s1
	s_delay_alu instid0(VALU_DEP_3) | instskip(NEXT) | instid1(VALU_DEP_1)
	v_cmp_lt_f32_e64 s1, 0, v13
	v_cndmask_b32_e64 v4, v4, v6, s1
	s_delay_alu instid0(VALU_DEP_1) | instskip(NEXT) | instid1(VALU_DEP_1)
	v_mul_f32_e32 v5, 0x37800000, v4
	v_cndmask_b32_e32 v4, v4, v5, vcc_lo
	v_cmp_class_f32_e64 vcc_lo, v3, 0x260
	s_delay_alu instid0(VALU_DEP_2) | instskip(NEXT) | instid1(VALU_DEP_1)
	v_cndmask_b32_e32 v3, v4, v3, vcc_lo
	v_mul_f32_e32 v4, v2, v3
.LBB46_124:
	s_delay_alu instid0(VALU_DEP_1) | instskip(SKIP_1) | instid1(VALU_DEP_2)
	v_mul_f32_e32 v2, 0x4f800000, v4
	v_cmp_gt_f32_e32 vcc_lo, 0xf800000, v4
	v_cndmask_b32_e32 v2, v4, v2, vcc_lo
	s_delay_alu instid0(VALU_DEP_1) | instskip(SKIP_3) | instid1(VALU_DEP_2)
	v_sqrt_f32_e32 v3, v2
	s_waitcnt_depctr 0xfff
	v_add_nc_u32_e32 v4, -1, v3
	v_add_nc_u32_e32 v5, 1, v3
	v_fma_f32 v6, -v4, v3, v2
	s_delay_alu instid0(VALU_DEP_2) | instskip(NEXT) | instid1(VALU_DEP_2)
	v_fma_f32 v7, -v5, v3, v2
	v_cmp_ge_f32_e64 s1, 0, v6
	s_delay_alu instid0(VALU_DEP_1) | instskip(NEXT) | instid1(VALU_DEP_3)
	v_cndmask_b32_e64 v3, v3, v4, s1
	v_cmp_lt_f32_e64 s1, 0, v7
	s_delay_alu instid0(VALU_DEP_1) | instskip(NEXT) | instid1(VALU_DEP_1)
	v_cndmask_b32_e64 v3, v3, v5, s1
	v_mul_f32_e32 v4, 0x37800000, v3
	s_delay_alu instid0(VALU_DEP_1) | instskip(SKIP_1) | instid1(VALU_DEP_2)
	v_cndmask_b32_e32 v3, v3, v4, vcc_lo
	v_cmp_class_f32_e64 vcc_lo, v2, 0x260
	v_dual_cndmask_b32 v2, v3, v2 :: v_dual_mov_b32 v3, 0
	ds_store_b64 v3, v[2:3] offset:1184
.LBB46_125:
	s_or_b32 exec_lo, exec_lo, s5
	v_mov_b32_e32 v2, 0
	s_waitcnt lgkmcnt(0)
	buffer_gl0_inv
	ds_load_b64 v[2:3], v2 offset:1184
	s_waitcnt lgkmcnt(0)
	v_cmp_neq_f32_e32 vcc_lo, 0, v2
	v_cmp_neq_f32_e64 s1, 0, v3
	s_delay_alu instid0(VALU_DEP_1) | instskip(SKIP_2) | instid1(SALU_CYCLE_1)
	s_or_b32 vcc_lo, vcc_lo, s1
	v_dual_cndmask_b32 v3, 0, v3 :: v_dual_cndmask_b32 v2, 1.0, v2
	s_or_b32 s1, vcc_lo, s0
	s_xor_b32 s5, s1, -1
	s_delay_alu instid0(SALU_CYCLE_1)
	s_and_saveexec_b32 s1, s5
	s_cbranch_execz .LBB46_129
; %bb.126:
	v_mbcnt_lo_u32_b32 v2, exec_lo, 0
	s_mov_b32 s5, exec_lo
	s_delay_alu instid0(VALU_DEP_1)
	v_cmpx_eq_u32_e32 0, v2
	s_cbranch_execz .LBB46_128
; %bb.127:
	v_dual_mov_b32 v2, 0 :: v_dual_mov_b32 v3, s2
	global_atomic_min_i32 v2, v3, s[10:11]
.LBB46_128:
	s_or_b32 exec_lo, exec_lo, s5
	v_dual_mov_b32 v2, 1.0 :: v_dual_mov_b32 v3, 0
.LBB46_129:
	s_or_b32 exec_lo, exec_lo, s1
	s_delay_alu instid0(SALU_CYCLE_1)
	s_mov_b32 s1, exec_lo
	v_cmpx_lt_u32_e32 4, v9
	s_cbranch_execz .LBB46_131
; %bb.130:
	v_dual_mul_f32 v13, v3, v3 :: v_dual_lshlrev_b32 v16, 6, v9
	ds_load_2addr_b64 v[4:7], v16 offset0:116 offset1:172
	s_waitcnt lgkmcnt(0)
	v_dual_sub_f32 v5, v5, v7 :: v_dual_sub_f32 v4, v4, v6
	s_delay_alu instid0(VALU_DEP_1) | instskip(NEXT) | instid1(VALU_DEP_2)
	v_dual_fmac_f32 v13, v2, v2 :: v_dual_mul_f32 v6, v3, v5
	v_mul_f32_e64 v3, v3, -v4
	s_delay_alu instid0(VALU_DEP_2) | instskip(SKIP_1) | instid1(VALU_DEP_3)
	v_div_scale_f32 v14, null, v13, v13, 1.0
	v_div_scale_f32 v18, vcc_lo, 1.0, v13, 1.0
	v_fmac_f32_e32 v3, v5, v2
	s_delay_alu instid0(VALU_DEP_3) | instskip(SKIP_3) | instid1(VALU_DEP_1)
	v_rcp_f32_e32 v15, v14
	v_fmac_f32_e32 v6, v4, v2
	s_waitcnt_depctr 0xfff
	v_fma_f32 v17, -v14, v15, 1.0
	v_fmac_f32_e32 v15, v17, v15
	s_delay_alu instid0(VALU_DEP_1) | instskip(NEXT) | instid1(VALU_DEP_1)
	v_mul_f32_e32 v17, v18, v15
	v_fma_f32 v19, -v14, v17, v18
	s_delay_alu instid0(VALU_DEP_1) | instskip(NEXT) | instid1(VALU_DEP_1)
	v_fmac_f32_e32 v17, v19, v15
	v_fma_f32 v7, -v14, v17, v18
	s_delay_alu instid0(VALU_DEP_1) | instskip(NEXT) | instid1(VALU_DEP_1)
	v_div_fmas_f32 v7, v7, v15, v17
	v_div_fixup_f32 v4, v7, v13, 1.0
	s_delay_alu instid0(VALU_DEP_1)
	v_mul_f32_e32 v2, v4, v6
	v_dual_mul_f32 v3, v4, v3 :: v_dual_lshlrev_b32 v4, 6, v8
	ds_store_b64 v16, v[2:3] offset:928
	s_waitcnt lgkmcnt(0)
	s_waitcnt_vscnt null, 0x0
	buffer_gl0_inv
	ds_load_b64 v[4:5], v4 offset:928
	ds_load_b64 v[6:7], v12
	s_waitcnt lgkmcnt(0)
	v_fma_f32 v6, v2, v4, v6
	v_fmac_f32_e32 v7, v3, v4
	s_delay_alu instid0(VALU_DEP_2) | instskip(NEXT) | instid1(VALU_DEP_2)
	v_fmac_f32_e32 v6, v3, v5
	v_fma_f32 v7, v2, -v5, v7
	ds_store_b64 v12, v[6:7]
.LBB46_131:
	s_or_b32 exec_lo, exec_lo, s1
	s_delay_alu instid0(SALU_CYCLE_1)
	s_mov_b32 s5, exec_lo
	s_waitcnt lgkmcnt(0)
	s_waitcnt_vscnt null, 0x0
	buffer_gl0_inv
	v_cmpx_eq_u32_e32 5, v9
	s_cbranch_execz .LBB46_139
; %bb.132:
	v_mov_b32_e32 v4, 0
	ds_load_2addr_b64 v[13:16], v4 offset0:157 offset1:213
	s_waitcnt lgkmcnt(0)
	v_dual_sub_f32 v5, v14, v16 :: v_dual_sub_f32 v2, v13, v15
	s_delay_alu instid0(VALU_DEP_1) | instskip(SKIP_1) | instid1(VALU_DEP_3)
	v_cmp_gt_f32_e32 vcc_lo, 0, v2
	v_cndmask_b32_e64 v2, v2, -v2, vcc_lo
	v_cmp_gt_f32_e32 vcc_lo, 0, v5
	v_cndmask_b32_e64 v3, v5, -v5, vcc_lo
	s_delay_alu instid0(VALU_DEP_1)
	v_cmp_gt_f32_e32 vcc_lo, v2, v3
	s_cbranch_vccnz .LBB46_136
; %bb.133:
	v_cmp_eq_f32_e32 vcc_lo, 0, v5
	s_cbranch_vccnz .LBB46_135
; %bb.134:
	v_div_scale_f32 v4, null, v3, v3, v2
	v_div_scale_f32 v7, vcc_lo, v2, v3, v2
	s_delay_alu instid0(VALU_DEP_2) | instskip(SKIP_2) | instid1(VALU_DEP_1)
	v_rcp_f32_e32 v5, v4
	s_waitcnt_depctr 0xfff
	v_fma_f32 v6, -v4, v5, 1.0
	v_fmac_f32_e32 v5, v6, v5
	s_delay_alu instid0(VALU_DEP_1) | instskip(NEXT) | instid1(VALU_DEP_1)
	v_mul_f32_e32 v6, v7, v5
	v_fma_f32 v13, -v4, v6, v7
	s_delay_alu instid0(VALU_DEP_1) | instskip(NEXT) | instid1(VALU_DEP_1)
	v_fmac_f32_e32 v6, v13, v5
	v_fma_f32 v4, -v4, v6, v7
	s_delay_alu instid0(VALU_DEP_1) | instskip(NEXT) | instid1(VALU_DEP_1)
	v_div_fmas_f32 v4, v4, v5, v6
	v_div_fixup_f32 v4, v4, v3, v2
	s_delay_alu instid0(VALU_DEP_1) | instskip(NEXT) | instid1(VALU_DEP_1)
	v_fma_f32 v4, v4, v4, 1.0
	v_mul_f32_e32 v5, 0x4f800000, v4
	v_cmp_gt_f32_e32 vcc_lo, 0xf800000, v4
	s_delay_alu instid0(VALU_DEP_2) | instskip(NEXT) | instid1(VALU_DEP_1)
	v_cndmask_b32_e32 v4, v4, v5, vcc_lo
	v_sqrt_f32_e32 v5, v4
	s_waitcnt_depctr 0xfff
	v_add_nc_u32_e32 v6, -1, v5
	v_add_nc_u32_e32 v7, 1, v5
	s_delay_alu instid0(VALU_DEP_2) | instskip(NEXT) | instid1(VALU_DEP_2)
	v_fma_f32 v13, -v6, v5, v4
	v_fma_f32 v14, -v7, v5, v4
	s_delay_alu instid0(VALU_DEP_2) | instskip(NEXT) | instid1(VALU_DEP_1)
	v_cmp_ge_f32_e64 s1, 0, v13
	v_cndmask_b32_e64 v5, v5, v6, s1
	s_delay_alu instid0(VALU_DEP_3) | instskip(NEXT) | instid1(VALU_DEP_1)
	v_cmp_lt_f32_e64 s1, 0, v14
	v_cndmask_b32_e64 v5, v5, v7, s1
	s_delay_alu instid0(VALU_DEP_1) | instskip(NEXT) | instid1(VALU_DEP_1)
	v_mul_f32_e32 v6, 0x37800000, v5
	v_cndmask_b32_e32 v5, v5, v6, vcc_lo
	v_cmp_class_f32_e64 vcc_lo, v4, 0x260
	s_delay_alu instid0(VALU_DEP_2) | instskip(NEXT) | instid1(VALU_DEP_1)
	v_cndmask_b32_e32 v4, v5, v4, vcc_lo
	v_mul_f32_e32 v4, v3, v4
.LBB46_135:
	s_cbranch_execz .LBB46_137
	s_branch .LBB46_138
.LBB46_136:
                                        ; implicit-def: $vgpr4
.LBB46_137:
	v_div_scale_f32 v4, null, v2, v2, v3
	v_div_scale_f32 v7, vcc_lo, v3, v2, v3
	s_delay_alu instid0(VALU_DEP_2) | instskip(SKIP_2) | instid1(VALU_DEP_1)
	v_rcp_f32_e32 v5, v4
	s_waitcnt_depctr 0xfff
	v_fma_f32 v6, -v4, v5, 1.0
	v_fmac_f32_e32 v5, v6, v5
	s_delay_alu instid0(VALU_DEP_1) | instskip(NEXT) | instid1(VALU_DEP_1)
	v_mul_f32_e32 v6, v7, v5
	v_fma_f32 v13, -v4, v6, v7
	s_delay_alu instid0(VALU_DEP_1) | instskip(NEXT) | instid1(VALU_DEP_1)
	v_fmac_f32_e32 v6, v13, v5
	v_fma_f32 v4, -v4, v6, v7
	s_delay_alu instid0(VALU_DEP_1) | instskip(NEXT) | instid1(VALU_DEP_1)
	v_div_fmas_f32 v4, v4, v5, v6
	v_div_fixup_f32 v3, v4, v2, v3
	s_delay_alu instid0(VALU_DEP_1) | instskip(NEXT) | instid1(VALU_DEP_1)
	v_fma_f32 v3, v3, v3, 1.0
	v_mul_f32_e32 v4, 0x4f800000, v3
	v_cmp_gt_f32_e32 vcc_lo, 0xf800000, v3
	s_delay_alu instid0(VALU_DEP_2) | instskip(NEXT) | instid1(VALU_DEP_1)
	v_cndmask_b32_e32 v3, v3, v4, vcc_lo
	v_sqrt_f32_e32 v4, v3
	s_waitcnt_depctr 0xfff
	v_add_nc_u32_e32 v5, -1, v4
	v_add_nc_u32_e32 v6, 1, v4
	s_delay_alu instid0(VALU_DEP_2) | instskip(NEXT) | instid1(VALU_DEP_2)
	v_fma_f32 v7, -v5, v4, v3
	v_fma_f32 v13, -v6, v4, v3
	s_delay_alu instid0(VALU_DEP_2) | instskip(NEXT) | instid1(VALU_DEP_1)
	v_cmp_ge_f32_e64 s1, 0, v7
	v_cndmask_b32_e64 v4, v4, v5, s1
	s_delay_alu instid0(VALU_DEP_3) | instskip(NEXT) | instid1(VALU_DEP_1)
	v_cmp_lt_f32_e64 s1, 0, v13
	v_cndmask_b32_e64 v4, v4, v6, s1
	s_delay_alu instid0(VALU_DEP_1) | instskip(NEXT) | instid1(VALU_DEP_1)
	v_mul_f32_e32 v5, 0x37800000, v4
	v_cndmask_b32_e32 v4, v4, v5, vcc_lo
	v_cmp_class_f32_e64 vcc_lo, v3, 0x260
	s_delay_alu instid0(VALU_DEP_2) | instskip(NEXT) | instid1(VALU_DEP_1)
	v_cndmask_b32_e32 v3, v4, v3, vcc_lo
	v_mul_f32_e32 v4, v2, v3
.LBB46_138:
	s_delay_alu instid0(VALU_DEP_1) | instskip(SKIP_1) | instid1(VALU_DEP_2)
	v_mul_f32_e32 v2, 0x4f800000, v4
	v_cmp_gt_f32_e32 vcc_lo, 0xf800000, v4
	v_cndmask_b32_e32 v2, v4, v2, vcc_lo
	s_delay_alu instid0(VALU_DEP_1) | instskip(SKIP_3) | instid1(VALU_DEP_2)
	v_sqrt_f32_e32 v3, v2
	s_waitcnt_depctr 0xfff
	v_add_nc_u32_e32 v4, -1, v3
	v_add_nc_u32_e32 v5, 1, v3
	v_fma_f32 v6, -v4, v3, v2
	s_delay_alu instid0(VALU_DEP_2) | instskip(NEXT) | instid1(VALU_DEP_2)
	v_fma_f32 v7, -v5, v3, v2
	v_cmp_ge_f32_e64 s1, 0, v6
	s_delay_alu instid0(VALU_DEP_1) | instskip(NEXT) | instid1(VALU_DEP_3)
	v_cndmask_b32_e64 v3, v3, v4, s1
	v_cmp_lt_f32_e64 s1, 0, v7
	s_delay_alu instid0(VALU_DEP_1) | instskip(NEXT) | instid1(VALU_DEP_1)
	v_cndmask_b32_e64 v3, v3, v5, s1
	v_mul_f32_e32 v4, 0x37800000, v3
	s_delay_alu instid0(VALU_DEP_1) | instskip(SKIP_1) | instid1(VALU_DEP_2)
	v_cndmask_b32_e32 v3, v3, v4, vcc_lo
	v_cmp_class_f32_e64 vcc_lo, v2, 0x260
	v_dual_cndmask_b32 v2, v3, v2 :: v_dual_mov_b32 v3, 0
	ds_store_b64 v3, v[2:3] offset:1256
.LBB46_139:
	s_or_b32 exec_lo, exec_lo, s5
	v_mov_b32_e32 v2, 0
	s_waitcnt lgkmcnt(0)
	buffer_gl0_inv
	ds_load_b64 v[2:3], v2 offset:1256
	s_waitcnt lgkmcnt(0)
	v_cmp_neq_f32_e32 vcc_lo, 0, v2
	v_cmp_neq_f32_e64 s1, 0, v3
	s_delay_alu instid0(VALU_DEP_1) | instskip(SKIP_2) | instid1(SALU_CYCLE_1)
	s_or_b32 vcc_lo, vcc_lo, s1
	v_dual_cndmask_b32 v3, 0, v3 :: v_dual_cndmask_b32 v2, 1.0, v2
	s_or_b32 s1, vcc_lo, s0
	s_xor_b32 s5, s1, -1
	s_delay_alu instid0(SALU_CYCLE_1)
	s_and_saveexec_b32 s1, s5
	s_cbranch_execz .LBB46_143
; %bb.140:
	v_mbcnt_lo_u32_b32 v2, exec_lo, 0
	s_mov_b32 s5, exec_lo
	s_delay_alu instid0(VALU_DEP_1)
	v_cmpx_eq_u32_e32 0, v2
	s_cbranch_execz .LBB46_142
; %bb.141:
	v_dual_mov_b32 v2, 0 :: v_dual_mov_b32 v3, s2
	global_atomic_min_i32 v2, v3, s[10:11]
.LBB46_142:
	s_or_b32 exec_lo, exec_lo, s5
	v_dual_mov_b32 v2, 1.0 :: v_dual_mov_b32 v3, 0
.LBB46_143:
	s_or_b32 exec_lo, exec_lo, s1
	s_delay_alu instid0(SALU_CYCLE_1)
	s_mov_b32 s1, exec_lo
	v_cmpx_lt_u32_e32 5, v9
	s_cbranch_execz .LBB46_145
; %bb.144:
	v_dual_mul_f32 v13, v3, v3 :: v_dual_lshlrev_b32 v16, 6, v9
	ds_load_2addr_b64 v[4:7], v16 offset0:117 offset1:173
	s_waitcnt lgkmcnt(0)
	v_dual_sub_f32 v5, v5, v7 :: v_dual_sub_f32 v4, v4, v6
	s_delay_alu instid0(VALU_DEP_1) | instskip(NEXT) | instid1(VALU_DEP_2)
	v_dual_fmac_f32 v13, v2, v2 :: v_dual_mul_f32 v6, v3, v5
	v_mul_f32_e64 v3, v3, -v4
	s_delay_alu instid0(VALU_DEP_2) | instskip(SKIP_1) | instid1(VALU_DEP_3)
	v_div_scale_f32 v14, null, v13, v13, 1.0
	v_div_scale_f32 v18, vcc_lo, 1.0, v13, 1.0
	v_fmac_f32_e32 v3, v5, v2
	s_delay_alu instid0(VALU_DEP_3) | instskip(SKIP_3) | instid1(VALU_DEP_1)
	v_rcp_f32_e32 v15, v14
	v_fmac_f32_e32 v6, v4, v2
	s_waitcnt_depctr 0xfff
	v_fma_f32 v17, -v14, v15, 1.0
	v_fmac_f32_e32 v15, v17, v15
	s_delay_alu instid0(VALU_DEP_1) | instskip(NEXT) | instid1(VALU_DEP_1)
	v_mul_f32_e32 v17, v18, v15
	v_fma_f32 v19, -v14, v17, v18
	s_delay_alu instid0(VALU_DEP_1) | instskip(NEXT) | instid1(VALU_DEP_1)
	v_fmac_f32_e32 v17, v19, v15
	v_fma_f32 v7, -v14, v17, v18
	s_delay_alu instid0(VALU_DEP_1) | instskip(NEXT) | instid1(VALU_DEP_1)
	v_div_fmas_f32 v7, v7, v15, v17
	v_div_fixup_f32 v4, v7, v13, 1.0
	s_delay_alu instid0(VALU_DEP_1)
	v_mul_f32_e32 v2, v4, v6
	v_dual_mul_f32 v3, v4, v3 :: v_dual_lshlrev_b32 v4, 6, v8
	ds_store_b64 v16, v[2:3] offset:936
	s_waitcnt lgkmcnt(0)
	s_waitcnt_vscnt null, 0x0
	buffer_gl0_inv
	ds_load_b64 v[4:5], v4 offset:936
	ds_load_b64 v[6:7], v12
	s_waitcnt lgkmcnt(0)
	v_fma_f32 v6, v2, v4, v6
	v_fmac_f32_e32 v7, v3, v4
	s_delay_alu instid0(VALU_DEP_2) | instskip(NEXT) | instid1(VALU_DEP_2)
	v_fmac_f32_e32 v6, v3, v5
	v_fma_f32 v7, v2, -v5, v7
	ds_store_b64 v12, v[6:7]
.LBB46_145:
	s_or_b32 exec_lo, exec_lo, s1
	s_delay_alu instid0(SALU_CYCLE_1)
	s_mov_b32 s5, exec_lo
	s_waitcnt lgkmcnt(0)
	s_waitcnt_vscnt null, 0x0
	buffer_gl0_inv
	v_cmpx_eq_u32_e32 6, v9
	s_cbranch_execz .LBB46_153
; %bb.146:
	v_mov_b32_e32 v4, 0
	ds_load_2addr_b64 v[13:16], v4 offset0:166 offset1:222
	s_waitcnt lgkmcnt(0)
	v_dual_sub_f32 v5, v14, v16 :: v_dual_sub_f32 v2, v13, v15
	s_delay_alu instid0(VALU_DEP_1) | instskip(SKIP_1) | instid1(VALU_DEP_3)
	v_cmp_gt_f32_e32 vcc_lo, 0, v2
	v_cndmask_b32_e64 v2, v2, -v2, vcc_lo
	v_cmp_gt_f32_e32 vcc_lo, 0, v5
	v_cndmask_b32_e64 v3, v5, -v5, vcc_lo
	s_delay_alu instid0(VALU_DEP_1)
	v_cmp_gt_f32_e32 vcc_lo, v2, v3
	s_cbranch_vccnz .LBB46_150
; %bb.147:
	v_cmp_eq_f32_e32 vcc_lo, 0, v5
	s_cbranch_vccnz .LBB46_149
; %bb.148:
	v_div_scale_f32 v4, null, v3, v3, v2
	v_div_scale_f32 v7, vcc_lo, v2, v3, v2
	s_delay_alu instid0(VALU_DEP_2) | instskip(SKIP_2) | instid1(VALU_DEP_1)
	v_rcp_f32_e32 v5, v4
	s_waitcnt_depctr 0xfff
	v_fma_f32 v6, -v4, v5, 1.0
	v_fmac_f32_e32 v5, v6, v5
	s_delay_alu instid0(VALU_DEP_1) | instskip(NEXT) | instid1(VALU_DEP_1)
	v_mul_f32_e32 v6, v7, v5
	v_fma_f32 v13, -v4, v6, v7
	s_delay_alu instid0(VALU_DEP_1) | instskip(NEXT) | instid1(VALU_DEP_1)
	v_fmac_f32_e32 v6, v13, v5
	v_fma_f32 v4, -v4, v6, v7
	s_delay_alu instid0(VALU_DEP_1) | instskip(NEXT) | instid1(VALU_DEP_1)
	v_div_fmas_f32 v4, v4, v5, v6
	v_div_fixup_f32 v4, v4, v3, v2
	s_delay_alu instid0(VALU_DEP_1) | instskip(NEXT) | instid1(VALU_DEP_1)
	v_fma_f32 v4, v4, v4, 1.0
	v_mul_f32_e32 v5, 0x4f800000, v4
	v_cmp_gt_f32_e32 vcc_lo, 0xf800000, v4
	s_delay_alu instid0(VALU_DEP_2) | instskip(NEXT) | instid1(VALU_DEP_1)
	v_cndmask_b32_e32 v4, v4, v5, vcc_lo
	v_sqrt_f32_e32 v5, v4
	s_waitcnt_depctr 0xfff
	v_add_nc_u32_e32 v6, -1, v5
	v_add_nc_u32_e32 v7, 1, v5
	s_delay_alu instid0(VALU_DEP_2) | instskip(NEXT) | instid1(VALU_DEP_2)
	v_fma_f32 v13, -v6, v5, v4
	v_fma_f32 v14, -v7, v5, v4
	s_delay_alu instid0(VALU_DEP_2) | instskip(NEXT) | instid1(VALU_DEP_1)
	v_cmp_ge_f32_e64 s1, 0, v13
	v_cndmask_b32_e64 v5, v5, v6, s1
	s_delay_alu instid0(VALU_DEP_3) | instskip(NEXT) | instid1(VALU_DEP_1)
	v_cmp_lt_f32_e64 s1, 0, v14
	v_cndmask_b32_e64 v5, v5, v7, s1
	s_delay_alu instid0(VALU_DEP_1) | instskip(NEXT) | instid1(VALU_DEP_1)
	v_mul_f32_e32 v6, 0x37800000, v5
	v_cndmask_b32_e32 v5, v5, v6, vcc_lo
	v_cmp_class_f32_e64 vcc_lo, v4, 0x260
	s_delay_alu instid0(VALU_DEP_2) | instskip(NEXT) | instid1(VALU_DEP_1)
	v_cndmask_b32_e32 v4, v5, v4, vcc_lo
	v_mul_f32_e32 v4, v3, v4
.LBB46_149:
	s_cbranch_execz .LBB46_151
	s_branch .LBB46_152
.LBB46_150:
                                        ; implicit-def: $vgpr4
.LBB46_151:
	v_div_scale_f32 v4, null, v2, v2, v3
	v_div_scale_f32 v7, vcc_lo, v3, v2, v3
	s_delay_alu instid0(VALU_DEP_2) | instskip(SKIP_2) | instid1(VALU_DEP_1)
	v_rcp_f32_e32 v5, v4
	s_waitcnt_depctr 0xfff
	v_fma_f32 v6, -v4, v5, 1.0
	v_fmac_f32_e32 v5, v6, v5
	s_delay_alu instid0(VALU_DEP_1) | instskip(NEXT) | instid1(VALU_DEP_1)
	v_mul_f32_e32 v6, v7, v5
	v_fma_f32 v13, -v4, v6, v7
	s_delay_alu instid0(VALU_DEP_1) | instskip(NEXT) | instid1(VALU_DEP_1)
	v_fmac_f32_e32 v6, v13, v5
	v_fma_f32 v4, -v4, v6, v7
	s_delay_alu instid0(VALU_DEP_1) | instskip(NEXT) | instid1(VALU_DEP_1)
	v_div_fmas_f32 v4, v4, v5, v6
	v_div_fixup_f32 v3, v4, v2, v3
	s_delay_alu instid0(VALU_DEP_1) | instskip(NEXT) | instid1(VALU_DEP_1)
	v_fma_f32 v3, v3, v3, 1.0
	v_mul_f32_e32 v4, 0x4f800000, v3
	v_cmp_gt_f32_e32 vcc_lo, 0xf800000, v3
	s_delay_alu instid0(VALU_DEP_2) | instskip(NEXT) | instid1(VALU_DEP_1)
	v_cndmask_b32_e32 v3, v3, v4, vcc_lo
	v_sqrt_f32_e32 v4, v3
	s_waitcnt_depctr 0xfff
	v_add_nc_u32_e32 v5, -1, v4
	v_add_nc_u32_e32 v6, 1, v4
	s_delay_alu instid0(VALU_DEP_2) | instskip(NEXT) | instid1(VALU_DEP_2)
	v_fma_f32 v7, -v5, v4, v3
	v_fma_f32 v13, -v6, v4, v3
	s_delay_alu instid0(VALU_DEP_2) | instskip(NEXT) | instid1(VALU_DEP_1)
	v_cmp_ge_f32_e64 s1, 0, v7
	v_cndmask_b32_e64 v4, v4, v5, s1
	s_delay_alu instid0(VALU_DEP_3) | instskip(NEXT) | instid1(VALU_DEP_1)
	v_cmp_lt_f32_e64 s1, 0, v13
	v_cndmask_b32_e64 v4, v4, v6, s1
	s_delay_alu instid0(VALU_DEP_1) | instskip(NEXT) | instid1(VALU_DEP_1)
	v_mul_f32_e32 v5, 0x37800000, v4
	v_cndmask_b32_e32 v4, v4, v5, vcc_lo
	v_cmp_class_f32_e64 vcc_lo, v3, 0x260
	s_delay_alu instid0(VALU_DEP_2) | instskip(NEXT) | instid1(VALU_DEP_1)
	v_cndmask_b32_e32 v3, v4, v3, vcc_lo
	v_mul_f32_e32 v4, v2, v3
.LBB46_152:
	s_delay_alu instid0(VALU_DEP_1) | instskip(SKIP_1) | instid1(VALU_DEP_2)
	v_mul_f32_e32 v2, 0x4f800000, v4
	v_cmp_gt_f32_e32 vcc_lo, 0xf800000, v4
	v_cndmask_b32_e32 v2, v4, v2, vcc_lo
	s_delay_alu instid0(VALU_DEP_1) | instskip(SKIP_3) | instid1(VALU_DEP_2)
	v_sqrt_f32_e32 v3, v2
	s_waitcnt_depctr 0xfff
	v_add_nc_u32_e32 v4, -1, v3
	v_add_nc_u32_e32 v5, 1, v3
	v_fma_f32 v6, -v4, v3, v2
	s_delay_alu instid0(VALU_DEP_2) | instskip(NEXT) | instid1(VALU_DEP_2)
	v_fma_f32 v7, -v5, v3, v2
	v_cmp_ge_f32_e64 s1, 0, v6
	s_delay_alu instid0(VALU_DEP_1) | instskip(NEXT) | instid1(VALU_DEP_3)
	v_cndmask_b32_e64 v3, v3, v4, s1
	v_cmp_lt_f32_e64 s1, 0, v7
	s_delay_alu instid0(VALU_DEP_1) | instskip(NEXT) | instid1(VALU_DEP_1)
	v_cndmask_b32_e64 v3, v3, v5, s1
	v_mul_f32_e32 v4, 0x37800000, v3
	s_delay_alu instid0(VALU_DEP_1) | instskip(SKIP_1) | instid1(VALU_DEP_2)
	v_cndmask_b32_e32 v3, v3, v4, vcc_lo
	v_cmp_class_f32_e64 vcc_lo, v2, 0x260
	v_dual_cndmask_b32 v2, v3, v2 :: v_dual_mov_b32 v3, 0
	ds_store_b64 v3, v[2:3] offset:1328
.LBB46_153:
	s_or_b32 exec_lo, exec_lo, s5
	v_mov_b32_e32 v2, 0
	s_waitcnt lgkmcnt(0)
	buffer_gl0_inv
	ds_load_b64 v[2:3], v2 offset:1328
	s_waitcnt lgkmcnt(0)
	v_cmp_neq_f32_e32 vcc_lo, 0, v2
	v_cmp_neq_f32_e64 s1, 0, v3
	s_delay_alu instid0(VALU_DEP_1) | instskip(SKIP_2) | instid1(SALU_CYCLE_1)
	s_or_b32 vcc_lo, vcc_lo, s1
	v_dual_cndmask_b32 v3, 0, v3 :: v_dual_cndmask_b32 v2, 1.0, v2
	s_or_b32 s0, vcc_lo, s0
	s_xor_b32 s1, s0, -1
	s_delay_alu instid0(SALU_CYCLE_1)
	s_and_saveexec_b32 s0, s1
	s_cbranch_execz .LBB46_157
; %bb.154:
	v_mbcnt_lo_u32_b32 v2, exec_lo, 0
	s_mov_b32 s1, exec_lo
	s_delay_alu instid0(VALU_DEP_1)
	v_cmpx_eq_u32_e32 0, v2
	s_cbranch_execz .LBB46_156
; %bb.155:
	v_dual_mov_b32 v2, 0 :: v_dual_mov_b32 v3, s2
	global_atomic_min_i32 v2, v3, s[10:11]
.LBB46_156:
	s_or_b32 exec_lo, exec_lo, s1
	v_dual_mov_b32 v2, 1.0 :: v_dual_mov_b32 v3, 0
.LBB46_157:
	s_or_b32 exec_lo, exec_lo, s0
	s_delay_alu instid0(SALU_CYCLE_1)
	s_mov_b32 s0, exec_lo
	v_cmpx_lt_u32_e32 6, v9
	s_cbranch_execz .LBB46_159
; %bb.158:
	v_dual_mul_f32 v13, v3, v3 :: v_dual_lshlrev_b32 v16, 6, v9
	ds_load_2addr_b64 v[4:7], v16 offset0:118 offset1:174
	s_waitcnt lgkmcnt(0)
	v_dual_sub_f32 v5, v5, v7 :: v_dual_sub_f32 v4, v4, v6
	s_delay_alu instid0(VALU_DEP_1) | instskip(NEXT) | instid1(VALU_DEP_2)
	v_dual_fmac_f32 v13, v2, v2 :: v_dual_mul_f32 v6, v3, v5
	v_mul_f32_e64 v3, v3, -v4
	s_delay_alu instid0(VALU_DEP_2) | instskip(SKIP_1) | instid1(VALU_DEP_3)
	v_div_scale_f32 v14, null, v13, v13, 1.0
	v_div_scale_f32 v18, vcc_lo, 1.0, v13, 1.0
	v_fmac_f32_e32 v3, v5, v2
	s_delay_alu instid0(VALU_DEP_3) | instskip(SKIP_3) | instid1(VALU_DEP_1)
	v_rcp_f32_e32 v15, v14
	v_fmac_f32_e32 v6, v4, v2
	s_waitcnt_depctr 0xfff
	v_fma_f32 v17, -v14, v15, 1.0
	v_fmac_f32_e32 v15, v17, v15
	s_delay_alu instid0(VALU_DEP_1) | instskip(NEXT) | instid1(VALU_DEP_1)
	v_mul_f32_e32 v17, v18, v15
	v_fma_f32 v19, -v14, v17, v18
	s_delay_alu instid0(VALU_DEP_1) | instskip(NEXT) | instid1(VALU_DEP_1)
	v_fmac_f32_e32 v17, v19, v15
	v_fma_f32 v7, -v14, v17, v18
	s_delay_alu instid0(VALU_DEP_1) | instskip(NEXT) | instid1(VALU_DEP_1)
	v_div_fmas_f32 v7, v7, v15, v17
	v_div_fixup_f32 v4, v7, v13, 1.0
	s_delay_alu instid0(VALU_DEP_1)
	v_mul_f32_e32 v2, v4, v6
	v_dual_mul_f32 v3, v4, v3 :: v_dual_lshlrev_b32 v4, 6, v8
	ds_store_b64 v16, v[2:3] offset:944
	s_waitcnt lgkmcnt(0)
	s_waitcnt_vscnt null, 0x0
	buffer_gl0_inv
	ds_load_b64 v[4:5], v4 offset:944
	ds_load_b64 v[6:7], v12
	s_waitcnt lgkmcnt(0)
	v_fma_f32 v6, v2, v4, v6
	v_fmac_f32_e32 v7, v3, v4
	s_delay_alu instid0(VALU_DEP_2) | instskip(NEXT) | instid1(VALU_DEP_2)
	v_fmac_f32_e32 v6, v3, v5
	v_fma_f32 v7, v2, -v5, v7
	ds_store_b64 v12, v[6:7]
.LBB46_159:
	s_or_b32 exec_lo, exec_lo, s0
	s_delay_alu instid0(SALU_CYCLE_1)
	s_and_not1_b32 vcc_lo, exec_lo, s4
	s_waitcnt lgkmcnt(0)
	s_waitcnt_vscnt null, 0x0
	buffer_gl0_inv
	s_cbranch_vccnz .LBB46_161
; %bb.160:
	v_mov_b32_e32 v10, v11
.LBB46_161:
	s_delay_alu instid0(VALU_DEP_1) | instskip(SKIP_3) | instid1(VALU_DEP_1)
	v_add_nc_u32_e32 v2, s3, v10
	ds_load_b64 v[4:5], v0
	v_cmp_eq_u32_e64 s3, 0, v1
	v_ashrrev_i32_e32 v3, 31, v2
	v_lshlrev_b64 v[2:3], 3, v[2:3]
	s_delay_alu instid0(VALU_DEP_1) | instskip(NEXT) | instid1(VALU_DEP_2)
	v_add_co_u32 v2, vcc_lo, s18, v2
	v_add_co_ci_u32_e32 v3, vcc_lo, s19, v3, vcc_lo
	s_waitcnt lgkmcnt(0)
	global_store_b64 v[2:3], v[4:5], off
	s_branch .LBB46_167
.LBB46_162:
	v_or_b32_e32 v0, v8, v9
	s_mov_b32 s0, exec_lo
	s_delay_alu instid0(VALU_DEP_1)
	v_cmpx_eq_u32_e32 0, v0
	s_cbranch_execz .LBB46_166
; %bb.163:
	v_mbcnt_lo_u32_b32 v0, exec_lo, 0
	s_mov_b32 s1, exec_lo
	s_delay_alu instid0(VALU_DEP_1)
	v_cmpx_eq_u32_e32 0, v0
	s_cbranch_execz .LBB46_165
; %bb.164:
	s_add_i32 s2, s16, s17
	s_delay_alu instid0(SALU_CYCLE_1)
	v_dual_mov_b32 v0, 0 :: v_dual_mov_b32 v1, s2
	global_atomic_min_i32 v0, v1, s[10:11]
.LBB46_165:
	s_or_b32 exec_lo, exec_lo, s1
	s_delay_alu instid0(SALU_CYCLE_1)
	s_or_b32 s3, s3, exec_lo
.LBB46_166:
	s_or_b32 exec_lo, exec_lo, s0
.LBB46_167:
	s_and_saveexec_b32 s0, s3
	s_cbranch_execnz .LBB46_169
; %bb.168:
	s_nop 0
	s_sendmsg sendmsg(MSG_DEALLOC_VGPRS)
	s_endpgm
.LBB46_169:
	v_dual_mov_b32 v0, 0 :: v_dual_mov_b32 v1, 1
	s_add_u32 s0, s6, s8
	s_addc_u32 s1, s7, s9
	s_waitcnt_vscnt null, 0x0
	global_store_b32 v0, v1, s[0:1]
	s_nop 0
	s_sendmsg sendmsg(MSG_DEALLOC_VGPRS)
	s_endpgm
	.section	.rodata,"a",@progbits
	.p2align	6, 0x0
	.amdhsa_kernel _ZN9rocsparseL26bsric0_2_8_unrolled_kernelILi49ELi32ELi7E21rocsparse_complex_numIfEEEv20rocsparse_direction_iiPKiS5_PT2_S5_PiS5_S8_21rocsparse_index_base_
		.amdhsa_group_segment_fixed_size 2176
		.amdhsa_private_segment_fixed_size 0
		.amdhsa_kernarg_size 76
		.amdhsa_user_sgpr_count 15
		.amdhsa_user_sgpr_dispatch_ptr 0
		.amdhsa_user_sgpr_queue_ptr 0
		.amdhsa_user_sgpr_kernarg_segment_ptr 1
		.amdhsa_user_sgpr_dispatch_id 0
		.amdhsa_user_sgpr_private_segment_size 0
		.amdhsa_wavefront_size32 1
		.amdhsa_uses_dynamic_stack 0
		.amdhsa_enable_private_segment 0
		.amdhsa_system_sgpr_workgroup_id_x 1
		.amdhsa_system_sgpr_workgroup_id_y 0
		.amdhsa_system_sgpr_workgroup_id_z 0
		.amdhsa_system_sgpr_workgroup_info 0
		.amdhsa_system_vgpr_workitem_id 1
		.amdhsa_next_free_vgpr 54
		.amdhsa_next_free_sgpr 37
		.amdhsa_reserve_vcc 1
		.amdhsa_float_round_mode_32 0
		.amdhsa_float_round_mode_16_64 0
		.amdhsa_float_denorm_mode_32 3
		.amdhsa_float_denorm_mode_16_64 3
		.amdhsa_dx10_clamp 1
		.amdhsa_ieee_mode 1
		.amdhsa_fp16_overflow 0
		.amdhsa_workgroup_processor_mode 1
		.amdhsa_memory_ordered 1
		.amdhsa_forward_progress 0
		.amdhsa_shared_vgpr_count 0
		.amdhsa_exception_fp_ieee_invalid_op 0
		.amdhsa_exception_fp_denorm_src 0
		.amdhsa_exception_fp_ieee_div_zero 0
		.amdhsa_exception_fp_ieee_overflow 0
		.amdhsa_exception_fp_ieee_underflow 0
		.amdhsa_exception_fp_ieee_inexact 0
		.amdhsa_exception_int_div_zero 0
	.end_amdhsa_kernel
	.section	.text._ZN9rocsparseL26bsric0_2_8_unrolled_kernelILi49ELi32ELi7E21rocsparse_complex_numIfEEEv20rocsparse_direction_iiPKiS5_PT2_S5_PiS5_S8_21rocsparse_index_base_,"axG",@progbits,_ZN9rocsparseL26bsric0_2_8_unrolled_kernelILi49ELi32ELi7E21rocsparse_complex_numIfEEEv20rocsparse_direction_iiPKiS5_PT2_S5_PiS5_S8_21rocsparse_index_base_,comdat
.Lfunc_end46:
	.size	_ZN9rocsparseL26bsric0_2_8_unrolled_kernelILi49ELi32ELi7E21rocsparse_complex_numIfEEEv20rocsparse_direction_iiPKiS5_PT2_S5_PiS5_S8_21rocsparse_index_base_, .Lfunc_end46-_ZN9rocsparseL26bsric0_2_8_unrolled_kernelILi49ELi32ELi7E21rocsparse_complex_numIfEEEv20rocsparse_direction_iiPKiS5_PT2_S5_PiS5_S8_21rocsparse_index_base_
                                        ; -- End function
	.section	.AMDGPU.csdata,"",@progbits
; Kernel info:
; codeLenInByte = 14260
; NumSgprs: 39
; NumVgprs: 54
; ScratchSize: 0
; MemoryBound: 0
; FloatMode: 240
; IeeeMode: 1
; LDSByteSize: 2176 bytes/workgroup (compile time only)
; SGPRBlocks: 4
; VGPRBlocks: 6
; NumSGPRsForWavesPerEU: 39
; NumVGPRsForWavesPerEU: 54
; Occupancy: 16
; WaveLimiterHint : 1
; COMPUTE_PGM_RSRC2:SCRATCH_EN: 0
; COMPUTE_PGM_RSRC2:USER_SGPR: 15
; COMPUTE_PGM_RSRC2:TRAP_HANDLER: 0
; COMPUTE_PGM_RSRC2:TGID_X_EN: 1
; COMPUTE_PGM_RSRC2:TGID_Y_EN: 0
; COMPUTE_PGM_RSRC2:TGID_Z_EN: 0
; COMPUTE_PGM_RSRC2:TIDIG_COMP_CNT: 1
	.section	.text._ZN9rocsparseL26bsric0_2_8_unrolled_kernelILi64ELi32ELi8E21rocsparse_complex_numIfEEEv20rocsparse_direction_iiPKiS5_PT2_S5_PiS5_S8_21rocsparse_index_base_,"axG",@progbits,_ZN9rocsparseL26bsric0_2_8_unrolled_kernelILi64ELi32ELi8E21rocsparse_complex_numIfEEEv20rocsparse_direction_iiPKiS5_PT2_S5_PiS5_S8_21rocsparse_index_base_,comdat
	.globl	_ZN9rocsparseL26bsric0_2_8_unrolled_kernelILi64ELi32ELi8E21rocsparse_complex_numIfEEEv20rocsparse_direction_iiPKiS5_PT2_S5_PiS5_S8_21rocsparse_index_base_ ; -- Begin function _ZN9rocsparseL26bsric0_2_8_unrolled_kernelILi64ELi32ELi8E21rocsparse_complex_numIfEEEv20rocsparse_direction_iiPKiS5_PT2_S5_PiS5_S8_21rocsparse_index_base_
	.p2align	8
	.type	_ZN9rocsparseL26bsric0_2_8_unrolled_kernelILi64ELi32ELi8E21rocsparse_complex_numIfEEEv20rocsparse_direction_iiPKiS5_PT2_S5_PiS5_S8_21rocsparse_index_base_,@function
_ZN9rocsparseL26bsric0_2_8_unrolled_kernelILi64ELi32ELi8E21rocsparse_complex_numIfEEEv20rocsparse_direction_iiPKiS5_PT2_S5_PiS5_S8_21rocsparse_index_base_: ; @_ZN9rocsparseL26bsric0_2_8_unrolled_kernelILi64ELi32ELi8E21rocsparse_complex_numIfEEEv20rocsparse_direction_iiPKiS5_PT2_S5_PiS5_S8_21rocsparse_index_base_
; %bb.0:
	s_load_b256 s[4:11], s[0:1], 0x28
	s_mov_b32 s2, s15
	s_mov_b32 s3, 0
	v_and_b32_e32 v6, 0x3ff, v0
	s_lshl_b64 s[12:13], s[2:3], 2
	v_bfe_u32 v7, v0, 10, 10
	s_waitcnt lgkmcnt(0)
	s_add_u32 s8, s8, s12
	s_addc_u32 s9, s9, s13
	s_load_b32 s16, s[8:9], 0x0
	s_waitcnt lgkmcnt(0)
	s_ashr_i32 s17, s16, 31
	s_delay_alu instid0(SALU_CYCLE_1) | instskip(NEXT) | instid1(SALU_CYCLE_1)
	s_lshl_b64 s[8:9], s[16:17], 2
	s_add_u32 s12, s4, s8
	s_addc_u32 s13, s5, s9
	s_load_b32 s26, s[12:13], 0x0
	s_load_b32 s17, s[0:1], 0x48
	s_waitcnt lgkmcnt(0)
	s_cmp_lg_u32 s26, -1
	s_cbranch_scc0 .LBB47_6
; %bb.1:
	s_clause 0x1
	s_load_b128 s[12:15], s[0:1], 0x10
	s_load_b64 s[18:19], s[0:1], 0x20
	v_lshlrev_b32_e32 v12, 3, v7
	s_delay_alu instid0(VALU_DEP_1)
	v_add_nc_u32_e32 v11, v12, v6
	s_waitcnt lgkmcnt(0)
	s_add_u32 s2, s12, s8
	s_addc_u32 s3, s13, s9
	s_load_b32 s2, s[2:3], 0x0
	s_mov_b32 s3, exec_lo
	s_waitcnt lgkmcnt(0)
	s_sub_i32 s27, s2, s17
	s_delay_alu instid0(SALU_CYCLE_1) | instskip(NEXT) | instid1(VALU_DEP_1)
	v_add_nc_u32_e32 v0, s27, v11
	v_cmpx_ge_i32_e64 s26, v0
	s_cbranch_execz .LBB47_4
; %bb.2:
	v_ashrrev_i32_e32 v1, 31, v0
	v_lshlrev_b32_e32 v3, 5, v7
	v_lshlrev_b32_e32 v4, 2, v6
	s_mov_b32 s20, 0
	s_delay_alu instid0(VALU_DEP_3) | instskip(NEXT) | instid1(VALU_DEP_2)
	v_lshlrev_b64 v[1:2], 2, v[0:1]
	v_add3_u32 v3, v3, v4, 0xa00
	s_delay_alu instid0(VALU_DEP_2) | instskip(NEXT) | instid1(VALU_DEP_3)
	v_add_co_u32 v1, vcc_lo, s14, v1
	v_add_co_ci_u32_e32 v2, vcc_lo, s15, v2, vcc_lo
	.p2align	6
.LBB47_3:                               ; =>This Inner Loop Header: Depth=1
	global_load_b32 v4, v[1:2], off
	v_add_nc_u32_e32 v0, 64, v0
	v_add_co_u32 v1, vcc_lo, 0x100, v1
	v_add_co_ci_u32_e32 v2, vcc_lo, 0, v2, vcc_lo
	s_delay_alu instid0(VALU_DEP_3) | instskip(NEXT) | instid1(VALU_DEP_1)
	v_cmp_lt_i32_e64 s2, s26, v0
	s_or_b32 s20, s2, s20
	s_waitcnt vmcnt(0)
	v_subrev_nc_u32_e32 v4, s17, v4
	ds_store_b32 v3, v4
	v_add_nc_u32_e32 v3, 0x100, v3
	s_and_not1_b32 exec_lo, exec_lo, s20
	s_cbranch_execnz .LBB47_3
.LBB47_4:
	s_or_b32 exec_lo, exec_lo, s3
	v_dual_mov_b32 v0, 0 :: v_dual_lshlrev_b32 v13, 3, v6
	s_mov_b32 s2, 0
	s_cmp_lt_i32 s27, s26
	s_delay_alu instid0(VALU_DEP_1) | instskip(NEXT) | instid1(VALU_DEP_2)
	v_mad_u32_u24 v10, 0x48, v7, v13
	v_mov_b32_e32 v1, v0
	ds_store_b64 v10, v[0:1] offset:1728
	s_waitcnt lgkmcnt(0)
	buffer_gl0_inv
	s_cbranch_scc1 .LBB47_7
; %bb.5:
	v_lshl_add_u32 v14, v6, 3, v7
	v_or_b32_e32 v8, v6, v7
	s_load_b32 s28, s[0:1], 0x0
	v_add_nc_u32_e32 v9, 0x6c0, v10
	s_and_not1_b32 vcc_lo, exec_lo, s2
	s_cbranch_vccz .LBB47_8
	s_branch .LBB47_65
.LBB47_6:
	s_cbranch_execnz .LBB47_178
	s_branch .LBB47_183
.LBB47_7:
                                        ; implicit-def: $vgpr14
                                        ; implicit-def: $vgpr8
	s_load_b32 s28, s[0:1], 0x0
	v_add_nc_u32_e32 v9, 0x6c0, v10
.LBB47_8:
	s_movk_i32 s1, 0x48
	s_movk_i32 s0, 0x240
	v_dual_mov_b32 v21, 0 :: v_dual_add_nc_u32 v14, v13, v7
	v_mad_u32_u24 v15, v7, s1, 0x480
	v_mad_u32_u24 v16, 0x48, v7, s0
	v_or_b32_e32 v8, v6, v7
	s_waitcnt lgkmcnt(0)
	s_cmp_eq_u32 s28, 0
	v_mad_u32_u24 v19, v6, s1, 0x480
	s_cselect_b32 vcc_lo, -1, 0
	v_dual_cndmask_b32 v20, v14, v11 :: v_dual_add_nc_u32 v17, v15, v13
	v_add_nc_u32_e32 v18, v16, v13
	v_cmp_ne_u32_e64 s0, 0, v8
	s_cmp_lg_u32 s28, 0
	s_mov_b32 s2, s27
	s_cselect_b32 s29, -1, 0
	s_branch .LBB47_12
.LBB47_9:                               ;   in Loop: Header=BB47_12 Depth=1
	s_or_b32 exec_lo, exec_lo, s20
	v_dual_mov_b32 v4, 1.0 :: v_dual_mov_b32 v5, 0
.LBB47_10:                              ;   in Loop: Header=BB47_12 Depth=1
	s_or_b32 exec_lo, exec_lo, s1
	ds_load_2addr_b64 v[22:25], v15 offset1:1
	ds_load_2addr_b64 v[26:29], v21 offset0:63 offset1:64
	ds_load_b64 v[38:39], v16 offset:56
	ds_load_2addr_b64 v[30:33], v15 offset0:2 offset1:3
	ds_load_2addr_b64 v[34:37], v21 offset0:65 offset1:66
	s_add_i32 s2, s2, 1
	s_delay_alu instid0(SALU_CYCLE_1) | instskip(SKIP_4) | instid1(VALU_DEP_2)
	s_cmp_ge_i32 s2, s26
	s_cselect_b32 s23, -1, 0
	s_waitcnt lgkmcnt(2)
	v_fma_f32 v39, v27, v22, v39
	v_fmac_f32_e32 v38, v26, v22
	v_fma_f32 v22, v26, -v23, v39
	s_delay_alu instid0(VALU_DEP_2) | instskip(NEXT) | instid1(VALU_DEP_2)
	v_fmac_f32_e32 v38, v27, v23
	v_fmac_f32_e32 v22, v29, v24
	s_delay_alu instid0(VALU_DEP_2) | instskip(NEXT) | instid1(VALU_DEP_2)
	v_fmac_f32_e32 v38, v28, v24
	v_fma_f32 v39, v28, -v25, v22
	s_delay_alu instid0(VALU_DEP_2)
	v_fmac_f32_e32 v38, v29, v25
	ds_load_2addr_b64 v[22:25], v21 offset0:67 offset1:68
	ds_load_2addr_b64 v[26:29], v15 offset0:4 offset1:5
	s_waitcnt lgkmcnt(2)
	v_fmac_f32_e32 v39, v35, v30
	v_fmac_f32_e32 v38, v34, v30
	s_delay_alu instid0(VALU_DEP_2) | instskip(NEXT) | instid1(VALU_DEP_2)
	v_fma_f32 v30, v34, -v31, v39
	v_fmac_f32_e32 v38, v35, v31
	s_delay_alu instid0(VALU_DEP_2) | instskip(NEXT) | instid1(VALU_DEP_2)
	v_fmac_f32_e32 v30, v37, v32
	v_fmac_f32_e32 v38, v36, v32
	s_delay_alu instid0(VALU_DEP_2) | instskip(NEXT) | instid1(VALU_DEP_2)
	v_fma_f32 v36, v36, -v33, v30
	v_fmac_f32_e32 v38, v37, v33
	ds_load_b64 v[30:31], v15 offset:48
	ds_load_b64 v[32:33], v21 offset:552
	s_waitcnt lgkmcnt(2)
	v_fmac_f32_e32 v36, v23, v26
	v_fmac_f32_e32 v38, v22, v26
	s_delay_alu instid0(VALU_DEP_2) | instskip(NEXT) | instid1(VALU_DEP_2)
	v_fma_f32 v22, v22, -v27, v36
	v_fmac_f32_e32 v38, v23, v27
	s_delay_alu instid0(VALU_DEP_2) | instskip(NEXT) | instid1(VALU_DEP_2)
	v_fmac_f32_e32 v22, v25, v28
	v_fmac_f32_e32 v38, v24, v28
	s_delay_alu instid0(VALU_DEP_2) | instskip(NEXT) | instid1(VALU_DEP_2)
	v_fma_f32 v22, v24, -v29, v22
	v_fmac_f32_e32 v38, v25, v29
	s_waitcnt lgkmcnt(0)
	s_delay_alu instid0(VALU_DEP_2) | instskip(NEXT) | instid1(VALU_DEP_2)
	v_fmac_f32_e32 v22, v33, v30
	v_fmac_f32_e32 v38, v32, v30
	s_delay_alu instid0(VALU_DEP_2) | instskip(NEXT) | instid1(VALU_DEP_1)
	v_fma_f32 v22, v32, -v31, v22
	v_dual_fmac_f32 v38, v33, v31 :: v_dual_sub_f32 v3, v3, v22
	v_mul_f32_e32 v40, v5, v5
	s_delay_alu instid0(VALU_DEP_2) | instskip(NEXT) | instid1(VALU_DEP_2)
	v_sub_f32_e32 v2, v2, v38
	v_fmac_f32_e32 v40, v4, v4
	s_delay_alu instid0(VALU_DEP_1) | instskip(SKIP_1) | instid1(VALU_DEP_2)
	v_div_scale_f32 v34, null, v40, v40, 1.0
	v_div_scale_f32 v23, vcc_lo, 1.0, v40, 1.0
	v_rcp_f32_e32 v35, v34
	s_waitcnt_depctr 0xfff
	v_fma_f32 v26, -v34, v35, 1.0
	s_delay_alu instid0(VALU_DEP_1) | instskip(NEXT) | instid1(VALU_DEP_1)
	v_fmac_f32_e32 v35, v26, v35
	v_mul_f32_e32 v26, v23, v35
	s_delay_alu instid0(VALU_DEP_1) | instskip(NEXT) | instid1(VALU_DEP_1)
	v_fma_f32 v24, -v34, v26, v23
	v_fmac_f32_e32 v26, v24, v35
	s_delay_alu instid0(VALU_DEP_1) | instskip(NEXT) | instid1(VALU_DEP_1)
	v_fma_f32 v23, -v34, v26, v23
	v_div_fmas_f32 v22, v23, v35, v26
	v_mul_f32_e32 v23, v5, v3
	v_mul_f32_e64 v5, v5, -v2
	s_delay_alu instid0(VALU_DEP_3) | instskip(NEXT) | instid1(VALU_DEP_3)
	v_div_fixup_f32 v22, v22, v40, 1.0
	v_fmac_f32_e32 v23, v2, v4
	s_delay_alu instid0(VALU_DEP_1) | instskip(NEXT) | instid1(VALU_DEP_1)
	v_dual_fmac_f32 v5, v3, v4 :: v_dual_mul_f32 v2, v22, v23
	v_mul_f32_e32 v3, v22, v5
	ds_store_b64 v15, v[2:3] offset:56
	s_waitcnt lgkmcnt(0)
	s_waitcnt_vscnt null, 0x0
	buffer_gl0_inv
	ds_load_b64 v[4:5], v19 offset:56
	ds_load_b64 v[22:23], v9
	s_waitcnt lgkmcnt(0)
	v_fma_f32 v22, v2, v4, v22
	v_fmac_f32_e32 v23, v3, v4
	s_delay_alu instid0(VALU_DEP_2) | instskip(NEXT) | instid1(VALU_DEP_2)
	v_fmac_f32_e32 v22, v3, v5
	v_fma_f32 v23, v2, -v5, v23
	ds_store_b64 v9, v[22:23]
	s_waitcnt lgkmcnt(0)
	buffer_gl0_inv
	ds_load_b64 v[2:3], v17
	s_waitcnt lgkmcnt(0)
	global_store_b64 v[0:1], v[2:3], off
	s_waitcnt_vscnt null, 0x0
	buffer_gl1_inv
	buffer_gl0_inv
.LBB47_11:                              ;   in Loop: Header=BB47_12 Depth=1
	s_and_b32 vcc_lo, exec_lo, s23
	s_cbranch_vccnz .LBB47_65
.LBB47_12:                              ; =>This Loop Header: Depth=1
                                        ;     Child Loop BB47_15 Depth 2
                                        ;     Child Loop BB47_26 Depth 2
	s_ashr_i32 s3, s2, 31
	s_delay_alu instid0(SALU_CYCLE_1) | instskip(NEXT) | instid1(SALU_CYCLE_1)
	s_lshl_b64 s[20:21], s[2:3], 2
	s_add_u32 s20, s14, s20
	s_addc_u32 s21, s15, s21
	s_load_b32 s3, s[20:21], 0x0
	s_waitcnt lgkmcnt(0)
	s_sub_i32 s22, s3, s17
	s_delay_alu instid0(SALU_CYCLE_1) | instskip(NEXT) | instid1(SALU_CYCLE_1)
	s_ashr_i32 s23, s22, 31
	s_lshl_b64 s[20:21], s[22:23], 2
	s_mov_b32 s23, -1
	s_add_u32 s24, s4, s20
	s_addc_u32 s25, s5, s21
	s_load_b32 s1, s[24:25], 0x0
	s_waitcnt lgkmcnt(0)
	s_cmp_eq_u32 s1, -1
	s_cbranch_scc1 .LBB47_11
; %bb.13:                               ;   in Loop: Header=BB47_12 Depth=1
	v_lshl_add_u32 v0, s2, 6, v20
	s_add_u32 s24, s12, s20
	s_addc_u32 s25, s13, s21
	ds_load_b32 v4, v21 offset:2560
	s_load_b32 s23, s[24:25], 0x0
	v_ashrrev_i32_e32 v1, 31, v0
	s_delay_alu instid0(VALU_DEP_1) | instskip(NEXT) | instid1(VALU_DEP_1)
	v_lshlrev_b64 v[0:1], 3, v[0:1]
	v_add_co_u32 v0, vcc_lo, s18, v0
	s_delay_alu instid0(VALU_DEP_2) | instskip(SKIP_4) | instid1(SALU_CYCLE_1)
	v_add_co_ci_u32_e32 v1, vcc_lo, s19, v1, vcc_lo
	s_waitcnt lgkmcnt(0)
	v_cmp_ge_i32_e32 vcc_lo, s22, v4
	global_load_b64 v[2:3], v[0:1], off
	s_sub_i32 s24, s23, s17
	s_cmp_le_i32 s24, s1
	s_cselect_b32 s23, -1, 0
	s_delay_alu instid0(SALU_CYCLE_1) | instskip(NEXT) | instid1(SALU_CYCLE_1)
	s_and_b32 s23, s23, vcc_lo
	s_and_not1_b32 vcc_lo, exec_lo, s23
	s_mov_b32 s23, 0
	s_waitcnt vmcnt(0)
	ds_store_b64 v17, v[2:3]
	s_cbranch_vccnz .LBB47_25
; %bb.14:                               ;   in Loop: Header=BB47_12 Depth=1
	s_mov_b32 s30, 0
	s_mov_b32 s31, 0
.LBB47_15:                              ;   Parent Loop BB47_12 Depth=1
                                        ; =>  This Inner Loop Header: Depth=2
	s_ashr_i32 s25, s24, 31
                                        ; implicit-def: $sgpr33
	s_delay_alu instid0(SALU_CYCLE_1) | instskip(NEXT) | instid1(SALU_CYCLE_1)
	s_lshl_b64 s[34:35], s[24:25], 2
	s_add_u32 s34, s14, s34
	s_addc_u32 s35, s15, s35
	s_lshl_b32 s23, s31, 2
	s_delay_alu instid0(SALU_CYCLE_1)
	v_mov_b32_e32 v2, s23
	s_load_b32 s23, s[34:35], 0x0
	s_mov_b32 s35, -1
                                        ; implicit-def: $sgpr34
	ds_load_b32 v2, v2 offset:2560
	s_waitcnt lgkmcnt(0)
	s_sub_i32 s36, s23, s17
                                        ; implicit-def: $sgpr23
	s_delay_alu instid0(SALU_CYCLE_1)
	v_cmp_ge_i32_e32 vcc_lo, s36, v2
	v_readfirstlane_b32 s25, v2
	s_cbranch_vccz .LBB47_21
; %bb.16:                               ;   in Loop: Header=BB47_15 Depth=2
	s_delay_alu instid0(VALU_DEP_1)
	s_cmp_le_i32 s36, s25
                                        ; implicit-def: $sgpr23
                                        ; implicit-def: $sgpr34
                                        ; implicit-def: $sgpr33
	s_cbranch_scc0 .LBB47_18
; %bb.17:                               ;   in Loop: Header=BB47_15 Depth=2
	s_add_i32 s23, s31, s27
	s_lshl_b32 s33, s30, 2
	s_lshl_b32 s23, s23, 6
	;; [unrolled: 1-line block ×3, first 2 shown]
	s_delay_alu instid0(SALU_CYCLE_1)
	v_dual_mov_b32 v2, s23 :: v_dual_mov_b32 v3, s34
	v_add_nc_u32_e64 v4, 0x800, s33
	s_add_i32 s33, s31, 1
	s_add_i32 s34, s24, 1
	;; [unrolled: 1-line block ×3, first 2 shown]
	s_mov_b32 s35, 0
	ds_store_2addr_b32 v4, v3, v2 offset0:64 offset1:96
.LBB47_18:                              ;   in Loop: Header=BB47_15 Depth=2
	s_and_not1_b32 vcc_lo, exec_lo, s35
	s_cbranch_vccnz .LBB47_20
; %bb.19:                               ;   in Loop: Header=BB47_15 Depth=2
	s_add_i32 s33, s31, 1
	s_mov_b32 s23, s30
	s_mov_b32 s34, s24
.LBB47_20:                              ;   in Loop: Header=BB47_15 Depth=2
	s_mov_b32 s35, 0
.LBB47_21:                              ;   in Loop: Header=BB47_15 Depth=2
	s_delay_alu instid0(SALU_CYCLE_1)
	s_and_not1_b32 vcc_lo, exec_lo, s35
	s_cbranch_vccnz .LBB47_23
; %bb.22:                               ;   in Loop: Header=BB47_15 Depth=2
	s_add_i32 s34, s24, 1
	s_mov_b32 s33, s31
	s_mov_b32 s23, s30
.LBB47_23:                              ;   in Loop: Header=BB47_15 Depth=2
	s_cmp_le_i32 s34, s1
	s_cselect_b32 s24, -1, 0
	s_cmp_le_i32 s25, s22
	s_cselect_b32 s25, -1, 0
	s_delay_alu instid0(SALU_CYCLE_1) | instskip(NEXT) | instid1(SALU_CYCLE_1)
	s_and_b32 s24, s24, s25
	s_and_b32 vcc_lo, exec_lo, s24
	s_cbranch_vccz .LBB47_25
; %bb.24:                               ;   in Loop: Header=BB47_15 Depth=2
	s_mov_b32 s30, s23
	s_mov_b32 s24, s34
	;; [unrolled: 1-line block ×3, first 2 shown]
	s_branch .LBB47_15
.LBB47_25:                              ;   in Loop: Header=BB47_12 Depth=1
	s_add_u32 s20, s6, s20
	s_addc_u32 s21, s7, s21
	s_waitcnt lgkmcnt(0)
	buffer_gl0_inv
.LBB47_26:                              ;   Parent Loop BB47_12 Depth=1
                                        ; =>  This Inner Loop Header: Depth=2
	global_load_b32 v2, v21, s[20:21] glc
	s_waitcnt vmcnt(0)
	v_cmp_eq_u32_e32 vcc_lo, 0, v2
	s_cbranch_vccnz .LBB47_26
; %bb.27:                               ;   in Loop: Header=BB47_12 Depth=1
	v_lshl_add_u32 v2, s1, 6, v20
	buffer_gl1_inv
	buffer_gl0_inv
	v_dual_mov_b32 v5, 0 :: v_dual_mov_b32 v4, 0
	s_cmp_lt_i32 s23, 2
	v_ashrrev_i32_e32 v3, 31, v2
	s_delay_alu instid0(VALU_DEP_1) | instskip(NEXT) | instid1(VALU_DEP_1)
	v_lshlrev_b64 v[2:3], 3, v[2:3]
	v_add_co_u32 v2, vcc_lo, s18, v2
	s_delay_alu instid0(VALU_DEP_2)
	v_add_co_ci_u32_e32 v3, vcc_lo, s19, v3, vcc_lo
	global_load_b64 v[2:3], v[2:3], off
	s_waitcnt vmcnt(0)
	ds_store_b64 v10, v[2:3]
	s_waitcnt lgkmcnt(0)
	buffer_gl0_inv
	s_cbranch_scc1 .LBB47_34
; %bb.28:                               ;   in Loop: Header=BB47_12 Depth=1
	v_dual_mov_b32 v23, 0 :: v_dual_mov_b32 v22, 0
	s_add_i32 s1, s23, -1
	s_movk_i32 s20, 0x900
	s_delay_alu instid0(SALU_CYCLE_1)
	v_mov_b32_e32 v2, s20
	s_and_b32 vcc_lo, exec_lo, s29
	ds_load_2addr_b32 v[2:3], v2 offset1:32
	s_cbranch_vccz .LBB47_30
.LBB47_29:                              ;   in Loop: Header=BB47_12 Depth=1
	s_waitcnt lgkmcnt(0)
	v_add_nc_u32_e32 v4, v2, v6
	v_add_nc_u32_e32 v24, v3, v7
	s_delay_alu instid0(VALU_DEP_2) | instskip(SKIP_1) | instid1(VALU_DEP_3)
	v_ashrrev_i32_e32 v5, 31, v4
	v_add_nc_u32_e32 v26, 8, v4
	v_ashrrev_i32_e32 v25, 31, v24
	v_add_nc_u32_e32 v28, 8, v24
	v_add_nc_u32_e32 v34, 16, v4
	v_lshlrev_b64 v[30:31], 3, v[4:5]
	v_ashrrev_i32_e32 v27, 31, v26
	v_lshlrev_b64 v[32:33], 3, v[24:25]
	v_ashrrev_i32_e32 v29, 31, v28
	v_ashrrev_i32_e32 v35, 31, v34
	v_add_nc_u32_e32 v36, 16, v24
	v_lshlrev_b64 v[25:26], 3, v[26:27]
	v_add_co_u32 v30, vcc_lo, s18, v30
	v_add_co_ci_u32_e32 v31, vcc_lo, s19, v31, vcc_lo
	v_add_co_u32 v32, vcc_lo, s18, v32
	v_lshlrev_b64 v[27:28], 3, v[28:29]
	v_add_co_ci_u32_e32 v33, vcc_lo, s19, v33, vcc_lo
	v_add_co_u32 v25, vcc_lo, s18, v25
	v_add_co_ci_u32_e32 v26, vcc_lo, s19, v26, vcc_lo
	s_delay_alu instid0(VALU_DEP_4)
	v_add_co_u32 v27, vcc_lo, s18, v27
	v_add_co_ci_u32_e32 v28, vcc_lo, s19, v28, vcc_lo
	s_clause 0x3
	global_load_b64 v[38:39], v[30:31], off
	global_load_b64 v[31:32], v[32:33], off
	;; [unrolled: 1-line block ×4, first 2 shown]
	v_add_nc_u32_e32 v29, 24, v4
	v_lshlrev_b64 v[34:35], 3, v[34:35]
	v_ashrrev_i32_e32 v37, 31, v36
	v_add_nc_u32_e32 v33, 24, v24
	v_add_nc_u32_e32 v42, 32, v4
	v_ashrrev_i32_e32 v30, 31, v29
	v_add_nc_u32_e32 v44, 32, v24
	v_lshlrev_b64 v[36:37], 3, v[36:37]
	v_add_co_u32 v40, vcc_lo, s18, v34
	v_ashrrev_i32_e32 v34, 31, v33
	v_lshlrev_b64 v[29:30], 3, v[29:30]
	v_add_co_ci_u32_e32 v41, vcc_lo, s19, v35, vcc_lo
	v_add_co_u32 v35, vcc_lo, s18, v36
	s_delay_alu instid0(VALU_DEP_4)
	v_lshlrev_b64 v[33:34], 3, v[33:34]
	v_add_co_ci_u32_e32 v36, vcc_lo, s19, v37, vcc_lo
	v_add_co_u32 v29, vcc_lo, s18, v29
	v_add_co_ci_u32_e32 v30, vcc_lo, s19, v30, vcc_lo
	v_ashrrev_i32_e32 v43, 31, v42
	v_add_co_u32 v33, vcc_lo, s18, v33
	v_add_nc_u32_e32 v46, 40, v4
	v_add_co_ci_u32_e32 v34, vcc_lo, s19, v34, vcc_lo
	v_ashrrev_i32_e32 v45, 31, v44
	s_clause 0x3
	global_load_b64 v[40:41], v[40:41], off
	global_load_b64 v[35:36], v[35:36], off
	;; [unrolled: 1-line block ×4, first 2 shown]
	v_add_nc_u32_e32 v48, 40, v24
	v_lshlrev_b64 v[42:43], 3, v[42:43]
	v_ashrrev_i32_e32 v47, 31, v46
	v_lshlrev_b64 v[44:45], 3, v[44:45]
	v_add_nc_u32_e32 v50, 48, v4
	v_ashrrev_i32_e32 v49, 31, v48
	v_add_nc_u32_e32 v52, 48, v24
	v_add_co_u32 v42, vcc_lo, s18, v42
	v_lshlrev_b64 v[46:47], 3, v[46:47]
	v_add_co_ci_u32_e32 v43, vcc_lo, s19, v43, vcc_lo
	v_add_co_u32 v44, vcc_lo, s18, v44
	v_lshlrev_b64 v[48:49], 3, v[48:49]
	v_add_co_ci_u32_e32 v45, vcc_lo, s19, v45, vcc_lo
	v_add_co_u32 v46, vcc_lo, s18, v46
	v_add_co_ci_u32_e32 v47, vcc_lo, s19, v47, vcc_lo
	s_delay_alu instid0(VALU_DEP_4)
	v_add_co_u32 v48, vcc_lo, s18, v48
	v_add_co_ci_u32_e32 v49, vcc_lo, s19, v49, vcc_lo
	s_clause 0x3
	global_load_b64 v[42:43], v[42:43], off
	global_load_b64 v[44:45], v[44:45], off
	;; [unrolled: 1-line block ×4, first 2 shown]
	v_ashrrev_i32_e32 v51, 31, v50
	v_ashrrev_i32_e32 v53, 31, v52
	v_add_nc_u32_e32 v4, 56, v4
	v_add_nc_u32_e32 v54, 56, v24
	s_delay_alu instid0(VALU_DEP_4) | instskip(NEXT) | instid1(VALU_DEP_4)
	v_lshlrev_b64 v[50:51], 3, v[50:51]
	v_lshlrev_b64 v[52:53], 3, v[52:53]
	s_delay_alu instid0(VALU_DEP_4) | instskip(NEXT) | instid1(VALU_DEP_4)
	v_ashrrev_i32_e32 v5, 31, v4
	v_ashrrev_i32_e32 v55, 31, v54
	s_delay_alu instid0(VALU_DEP_4)
	v_add_co_u32 v50, vcc_lo, s18, v50
	v_add_co_ci_u32_e32 v51, vcc_lo, s19, v51, vcc_lo
	v_add_co_u32 v52, vcc_lo, s18, v52
	v_lshlrev_b64 v[4:5], 3, v[4:5]
	v_add_co_ci_u32_e32 v53, vcc_lo, s19, v53, vcc_lo
	v_lshlrev_b64 v[54:55], 3, v[54:55]
	s_clause 0x1
	global_load_b64 v[50:51], v[50:51], off
	global_load_b64 v[52:53], v[52:53], off
	v_add_co_u32 v4, vcc_lo, s18, v4
	v_add_co_ci_u32_e32 v5, vcc_lo, s19, v5, vcc_lo
	v_add_co_u32 v54, vcc_lo, s18, v54
	v_add_co_ci_u32_e32 v55, vcc_lo, s19, v55, vcc_lo
	s_clause 0x1
	global_load_b64 v[56:57], v[4:5], off
	global_load_b64 v[54:55], v[54:55], off
	s_waitcnt vmcnt(14)
	v_fma_f32 v5, v39, v31, v23
	v_fma_f32 v4, v38, v31, v22
	s_delay_alu instid0(VALU_DEP_2) | instskip(SKIP_1) | instid1(VALU_DEP_1)
	v_fma_f32 v5, v38, -v32, v5
	s_waitcnt vmcnt(12)
	v_dual_fmac_f32 v4, v39, v32 :: v_dual_fmac_f32 v5, v26, v27
	s_delay_alu instid0(VALU_DEP_1) | instskip(NEXT) | instid1(VALU_DEP_2)
	v_fmac_f32_e32 v4, v25, v27
	v_fma_f32 v5, v25, -v28, v5
	s_delay_alu instid0(VALU_DEP_2) | instskip(SKIP_1) | instid1(VALU_DEP_1)
	v_fmac_f32_e32 v4, v26, v28
	s_waitcnt vmcnt(10)
	v_fmac_f32_e32 v4, v40, v35
	s_delay_alu instid0(VALU_DEP_3) | instskip(NEXT) | instid1(VALU_DEP_2)
	v_fmac_f32_e32 v5, v41, v35
	v_fmac_f32_e32 v4, v41, v36
	s_delay_alu instid0(VALU_DEP_2) | instskip(SKIP_1) | instid1(VALU_DEP_1)
	v_fma_f32 v5, v40, -v36, v5
	s_waitcnt vmcnt(8)
	v_fmac_f32_e32 v5, v30, v33
	s_delay_alu instid0(VALU_DEP_1) | instskip(SKIP_1) | instid1(VALU_DEP_1)
	v_fma_f32 v5, v29, -v34, v5
	s_waitcnt vmcnt(6)
	v_dual_fmac_f32 v4, v29, v33 :: v_dual_fmac_f32 v5, v43, v44
	s_delay_alu instid0(VALU_DEP_1) | instskip(SKIP_1) | instid1(VALU_DEP_1)
	v_fma_f32 v5, v42, -v45, v5
	s_waitcnt vmcnt(4)
	v_dual_fmac_f32 v4, v30, v34 :: v_dual_fmac_f32 v5, v47, v48
	s_delay_alu instid0(VALU_DEP_1) | instskip(NEXT) | instid1(VALU_DEP_2)
	v_fmac_f32_e32 v4, v42, v44
	v_fma_f32 v5, v46, -v49, v5
	s_delay_alu instid0(VALU_DEP_2) | instskip(NEXT) | instid1(VALU_DEP_1)
	v_fmac_f32_e32 v4, v43, v45
	v_fmac_f32_e32 v4, v46, v48
	s_delay_alu instid0(VALU_DEP_1) | instskip(SKIP_1) | instid1(VALU_DEP_1)
	v_fmac_f32_e32 v4, v47, v49
	s_waitcnt vmcnt(2)
	v_fmac_f32_e32 v4, v50, v52
	s_delay_alu instid0(VALU_DEP_1) | instskip(SKIP_1) | instid1(VALU_DEP_1)
	v_fmac_f32_e32 v4, v51, v53
	s_waitcnt vmcnt(0)
	v_dual_fmac_f32 v5, v51, v52 :: v_dual_fmac_f32 v4, v56, v54
	s_delay_alu instid0(VALU_DEP_1) | instskip(NEXT) | instid1(VALU_DEP_2)
	v_fma_f32 v5, v50, -v53, v5
	v_fmac_f32_e32 v4, v57, v55
	s_delay_alu instid0(VALU_DEP_2) | instskip(NEXT) | instid1(VALU_DEP_1)
	v_fmac_f32_e32 v5, v57, v54
	v_fma_f32 v5, v56, -v55, v5
	s_cbranch_execz .LBB47_31
	s_branch .LBB47_32
.LBB47_30:                              ;   in Loop: Header=BB47_12 Depth=1
                                        ; implicit-def: $vgpr5
.LBB47_31:                              ;   in Loop: Header=BB47_12 Depth=1
	s_waitcnt lgkmcnt(0)
	v_add_nc_u32_e32 v2, v2, v13
	v_add_nc_u32_e32 v4, v3, v12
	s_delay_alu instid0(VALU_DEP_2) | instskip(NEXT) | instid1(VALU_DEP_2)
	v_ashrrev_i32_e32 v3, 31, v2
	v_ashrrev_i32_e32 v5, 31, v4
	s_delay_alu instid0(VALU_DEP_2) | instskip(NEXT) | instid1(VALU_DEP_2)
	v_lshlrev_b64 v[2:3], 3, v[2:3]
	v_lshlrev_b64 v[4:5], 3, v[4:5]
	s_delay_alu instid0(VALU_DEP_2) | instskip(NEXT) | instid1(VALU_DEP_3)
	v_add_co_u32 v44, vcc_lo, s18, v2
	v_add_co_ci_u32_e32 v45, vcc_lo, s19, v3, vcc_lo
	s_delay_alu instid0(VALU_DEP_3) | instskip(NEXT) | instid1(VALU_DEP_4)
	v_add_co_u32 v48, vcc_lo, s18, v4
	v_add_co_ci_u32_e32 v49, vcc_lo, s19, v5, vcc_lo
	s_clause 0x7
	global_load_b128 v[2:5], v[44:45], off
	global_load_b128 v[24:27], v[48:49], off
	global_load_b128 v[28:31], v[44:45], off offset:16
	global_load_b128 v[32:35], v[48:49], off offset:16
	;; [unrolled: 1-line block ×6, first 2 shown]
	s_waitcnt vmcnt(6)
	v_fmac_f32_e32 v23, v3, v24
	v_fmac_f32_e32 v22, v2, v24
	s_delay_alu instid0(VALU_DEP_2) | instskip(NEXT) | instid1(VALU_DEP_2)
	v_fma_f32 v2, v2, -v25, v23
	v_fmac_f32_e32 v22, v3, v25
	s_delay_alu instid0(VALU_DEP_2) | instskip(NEXT) | instid1(VALU_DEP_2)
	v_fmac_f32_e32 v2, v5, v26
	v_fmac_f32_e32 v22, v4, v26
	s_delay_alu instid0(VALU_DEP_2) | instskip(NEXT) | instid1(VALU_DEP_2)
	v_fma_f32 v2, v4, -v27, v2
	v_fmac_f32_e32 v22, v5, v27
	s_waitcnt vmcnt(4)
	s_delay_alu instid0(VALU_DEP_2) | instskip(NEXT) | instid1(VALU_DEP_2)
	v_fmac_f32_e32 v2, v29, v32
	v_fmac_f32_e32 v22, v28, v32
	s_delay_alu instid0(VALU_DEP_2) | instskip(NEXT) | instid1(VALU_DEP_2)
	v_fma_f32 v2, v28, -v33, v2
	v_fmac_f32_e32 v22, v29, v33
	s_delay_alu instid0(VALU_DEP_2) | instskip(NEXT) | instid1(VALU_DEP_2)
	v_fmac_f32_e32 v2, v31, v34
	v_fmac_f32_e32 v22, v30, v34
	s_delay_alu instid0(VALU_DEP_2) | instskip(NEXT) | instid1(VALU_DEP_2)
	v_fma_f32 v2, v30, -v35, v2
	v_fmac_f32_e32 v22, v31, v35
	s_waitcnt vmcnt(2)
	s_delay_alu instid0(VALU_DEP_2) | instskip(NEXT) | instid1(VALU_DEP_2)
	;; [unrolled: 13-line block ×3, first 2 shown]
	v_fmac_f32_e32 v2, v45, v48
	v_fmac_f32_e32 v22, v44, v48
	s_delay_alu instid0(VALU_DEP_2) | instskip(NEXT) | instid1(VALU_DEP_2)
	v_fma_f32 v2, v44, -v49, v2
	v_fmac_f32_e32 v22, v45, v49
	s_delay_alu instid0(VALU_DEP_2) | instskip(NEXT) | instid1(VALU_DEP_2)
	v_fmac_f32_e32 v2, v47, v50
	v_fmac_f32_e32 v22, v46, v50
	s_delay_alu instid0(VALU_DEP_2) | instskip(NEXT) | instid1(VALU_DEP_2)
	v_fma_f32 v5, v46, -v51, v2
	v_fmac_f32_e32 v22, v47, v51
	s_delay_alu instid0(VALU_DEP_1)
	v_mov_b32_e32 v4, v22
.LBB47_32:                              ;   in Loop: Header=BB47_12 Depth=1
	s_add_i32 s1, s1, -1
	s_add_i32 s20, s20, 4
	s_cmp_eq_u32 s1, 0
	s_cbranch_scc1 .LBB47_34
; %bb.33:                               ;   in Loop: Header=BB47_12 Depth=1
	v_dual_mov_b32 v23, v5 :: v_dual_mov_b32 v22, v4
	s_waitcnt lgkmcnt(0)
	v_mov_b32_e32 v2, s20
	s_and_b32 vcc_lo, exec_lo, s29
	ds_load_2addr_b32 v[2:3], v2 offset1:32
	s_cbranch_vccz .LBB47_30
	s_branch .LBB47_29
.LBB47_34:                              ;   in Loop: Header=BB47_12 Depth=1
	ds_store_b64 v18, v[4:5]
	s_waitcnt lgkmcnt(0)
	buffer_gl0_inv
	ds_load_b64 v[4:5], v21
	ds_load_b64 v[2:3], v15
	s_waitcnt lgkmcnt(1)
	v_cmp_neq_f32_e32 vcc_lo, 0, v4
	v_cmp_neq_f32_e64 s1, 0, v5
	s_delay_alu instid0(VALU_DEP_1) | instskip(SKIP_2) | instid1(SALU_CYCLE_1)
	s_or_b32 vcc_lo, vcc_lo, s1
	v_dual_cndmask_b32 v4, 1.0, v4 :: v_dual_cndmask_b32 v5, 0, v5
	s_or_b32 s1, vcc_lo, s0
	s_xor_b32 s20, s1, -1
	s_delay_alu instid0(SALU_CYCLE_1)
	s_and_saveexec_b32 s1, s20
	s_cbranch_execz .LBB47_38
; %bb.35:                               ;   in Loop: Header=BB47_12 Depth=1
	v_mbcnt_lo_u32_b32 v4, exec_lo, 0
	s_mov_b32 s20, exec_lo
	s_delay_alu instid0(VALU_DEP_1)
	v_cmpx_eq_u32_e32 0, v4
	s_cbranch_execz .LBB47_37
; %bb.36:                               ;   in Loop: Header=BB47_12 Depth=1
	v_mov_b32_e32 v4, s3
	global_atomic_min_i32 v21, v4, s[10:11]
.LBB47_37:                              ;   in Loop: Header=BB47_12 Depth=1
	s_or_b32 exec_lo, exec_lo, s20
	v_dual_mov_b32 v4, 1.0 :: v_dual_mov_b32 v5, 0
.LBB47_38:                              ;   in Loop: Header=BB47_12 Depth=1
	s_or_b32 exec_lo, exec_lo, s1
	s_delay_alu instid0(VALU_DEP_1) | instskip(SKIP_2) | instid1(VALU_DEP_1)
	v_mul_f32_e32 v24, v5, v5
	ds_load_b64 v[22:23], v16
	v_fmac_f32_e32 v24, v4, v4
	v_div_scale_f32 v25, null, v24, v24, 1.0
	v_div_scale_f32 v28, vcc_lo, 1.0, v24, 1.0
	s_delay_alu instid0(VALU_DEP_2)
	v_rcp_f32_e32 v26, v25
	s_waitcnt lgkmcnt(0)
	v_dual_sub_f32 v3, v3, v23 :: v_dual_sub_f32 v2, v2, v22
	s_waitcnt_depctr 0xfff
	v_fma_f32 v27, -v25, v26, 1.0
	v_mul_f32_e32 v22, v5, v3
	v_mul_f32_e64 v5, v5, -v2
	s_delay_alu instid0(VALU_DEP_3) | instskip(NEXT) | instid1(VALU_DEP_2)
	v_fmac_f32_e32 v26, v27, v26
	v_fmac_f32_e32 v5, v3, v4
	s_delay_alu instid0(VALU_DEP_2) | instskip(NEXT) | instid1(VALU_DEP_1)
	v_mul_f32_e32 v27, v28, v26
	v_fma_f32 v29, -v25, v27, v28
	s_delay_alu instid0(VALU_DEP_1) | instskip(NEXT) | instid1(VALU_DEP_1)
	v_fmac_f32_e32 v27, v29, v26
	v_fma_f32 v23, -v25, v27, v28
	s_delay_alu instid0(VALU_DEP_1) | instskip(NEXT) | instid1(VALU_DEP_1)
	v_div_fmas_f32 v23, v23, v26, v27
	v_div_fixup_f32 v23, v23, v24, 1.0
	s_delay_alu instid0(VALU_DEP_1) | instskip(NEXT) | instid1(VALU_DEP_1)
	v_dual_fmac_f32 v22, v2, v4 :: v_dual_mul_f32 v3, v23, v5
	v_mul_f32_e32 v2, v23, v22
	ds_store_b64 v15, v[2:3]
	s_waitcnt lgkmcnt(0)
	s_waitcnt_vscnt null, 0x0
	buffer_gl0_inv
	ds_load_b64 v[4:5], v19
	ds_load_b64 v[22:23], v9
	s_waitcnt lgkmcnt(0)
	v_fma_f32 v22, v2, v4, v22
	v_fmac_f32_e32 v23, v3, v4
	s_delay_alu instid0(VALU_DEP_2) | instskip(NEXT) | instid1(VALU_DEP_2)
	v_fmac_f32_e32 v22, v3, v5
	v_fma_f32 v23, v2, -v5, v23
	ds_store_b64 v9, v[22:23]
	s_waitcnt lgkmcnt(0)
	buffer_gl0_inv
	ds_load_b64 v[4:5], v21 offset:80
	ds_load_b64 v[2:3], v15 offset:8
	s_waitcnt lgkmcnt(1)
	v_cmp_neq_f32_e32 vcc_lo, 0, v4
	v_cmp_neq_f32_e64 s1, 0, v5
	s_delay_alu instid0(VALU_DEP_1) | instskip(SKIP_2) | instid1(SALU_CYCLE_1)
	s_or_b32 vcc_lo, vcc_lo, s1
	v_dual_cndmask_b32 v4, 1.0, v4 :: v_dual_cndmask_b32 v5, 0, v5
	s_or_b32 s1, vcc_lo, s0
	s_xor_b32 s20, s1, -1
	s_delay_alu instid0(SALU_CYCLE_1)
	s_and_saveexec_b32 s1, s20
	s_cbranch_execz .LBB47_42
; %bb.39:                               ;   in Loop: Header=BB47_12 Depth=1
	v_mbcnt_lo_u32_b32 v4, exec_lo, 0
	s_mov_b32 s20, exec_lo
	s_delay_alu instid0(VALU_DEP_1)
	v_cmpx_eq_u32_e32 0, v4
	s_cbranch_execz .LBB47_41
; %bb.40:                               ;   in Loop: Header=BB47_12 Depth=1
	v_mov_b32_e32 v4, s3
	global_atomic_min_i32 v21, v4, s[10:11]
.LBB47_41:                              ;   in Loop: Header=BB47_12 Depth=1
	s_or_b32 exec_lo, exec_lo, s20
	v_dual_mov_b32 v4, 1.0 :: v_dual_mov_b32 v5, 0
.LBB47_42:                              ;   in Loop: Header=BB47_12 Depth=1
	s_or_b32 exec_lo, exec_lo, s1
	s_delay_alu instid0(VALU_DEP_1) | instskip(SKIP_4) | instid1(VALU_DEP_1)
	v_mul_f32_e32 v28, v5, v5
	ds_load_b64 v[22:23], v15
	ds_load_b64 v[24:25], v21 offset:72
	ds_load_b64 v[26:27], v16 offset:8
	v_fmac_f32_e32 v28, v4, v4
	v_div_scale_f32 v29, null, v28, v28, 1.0
	v_div_scale_f32 v32, vcc_lo, 1.0, v28, 1.0
	s_delay_alu instid0(VALU_DEP_2)
	v_rcp_f32_e32 v30, v29
	s_waitcnt lgkmcnt(0)
	v_fma_f32 v27, v25, v22, v27
	v_fmac_f32_e32 v26, v24, v22
	s_waitcnt_depctr 0xfff
	v_fma_f32 v31, -v29, v30, 1.0
	v_fma_f32 v22, v24, -v23, v27
	s_delay_alu instid0(VALU_DEP_1) | instskip(NEXT) | instid1(VALU_DEP_3)
	v_dual_fmac_f32 v26, v25, v23 :: v_dual_sub_f32 v3, v3, v22
	v_fmac_f32_e32 v30, v31, v30
	s_delay_alu instid0(VALU_DEP_2) | instskip(NEXT) | instid1(VALU_DEP_2)
	v_dual_sub_f32 v2, v2, v26 :: v_dual_mul_f32 v23, v5, v3
	v_mul_f32_e32 v31, v32, v30
	s_delay_alu instid0(VALU_DEP_2) | instskip(NEXT) | instid1(VALU_DEP_2)
	v_mul_f32_e64 v5, v5, -v2
	v_fma_f32 v33, -v29, v31, v32
	s_delay_alu instid0(VALU_DEP_2) | instskip(SKIP_1) | instid1(VALU_DEP_3)
	v_fmac_f32_e32 v5, v3, v4
	v_fmac_f32_e32 v23, v2, v4
	;; [unrolled: 1-line block ×3, first 2 shown]
	s_delay_alu instid0(VALU_DEP_1) | instskip(NEXT) | instid1(VALU_DEP_1)
	v_fma_f32 v22, -v29, v31, v32
	v_div_fmas_f32 v22, v22, v30, v31
	s_delay_alu instid0(VALU_DEP_1) | instskip(NEXT) | instid1(VALU_DEP_1)
	v_div_fixup_f32 v22, v22, v28, 1.0
	v_mul_f32_e32 v3, v22, v5
	v_mul_f32_e32 v2, v22, v23
	ds_store_b64 v15, v[2:3] offset:8
	s_waitcnt lgkmcnt(0)
	s_waitcnt_vscnt null, 0x0
	buffer_gl0_inv
	ds_load_b64 v[4:5], v19 offset:8
	ds_load_b64 v[22:23], v9
	s_waitcnt lgkmcnt(0)
	v_fmac_f32_e32 v23, v3, v4
	v_fma_f32 v22, v2, v4, v22
	s_delay_alu instid0(VALU_DEP_2) | instskip(NEXT) | instid1(VALU_DEP_2)
	v_fma_f32 v23, v2, -v5, v23
	v_fmac_f32_e32 v22, v3, v5
	ds_store_b64 v9, v[22:23]
	s_waitcnt lgkmcnt(0)
	buffer_gl0_inv
	ds_load_b64 v[4:5], v21 offset:160
	ds_load_b64 v[2:3], v15 offset:16
	s_waitcnt lgkmcnt(1)
	v_cmp_neq_f32_e32 vcc_lo, 0, v4
	v_cmp_neq_f32_e64 s1, 0, v5
	s_delay_alu instid0(VALU_DEP_1) | instskip(SKIP_2) | instid1(SALU_CYCLE_1)
	s_or_b32 vcc_lo, vcc_lo, s1
	v_dual_cndmask_b32 v4, 1.0, v4 :: v_dual_cndmask_b32 v5, 0, v5
	s_or_b32 s1, vcc_lo, s0
	s_xor_b32 s20, s1, -1
	s_delay_alu instid0(SALU_CYCLE_1)
	s_and_saveexec_b32 s1, s20
	s_cbranch_execz .LBB47_46
; %bb.43:                               ;   in Loop: Header=BB47_12 Depth=1
	v_mbcnt_lo_u32_b32 v4, exec_lo, 0
	s_mov_b32 s20, exec_lo
	s_delay_alu instid0(VALU_DEP_1)
	v_cmpx_eq_u32_e32 0, v4
	s_cbranch_execz .LBB47_45
; %bb.44:                               ;   in Loop: Header=BB47_12 Depth=1
	v_mov_b32_e32 v4, s3
	global_atomic_min_i32 v21, v4, s[10:11]
.LBB47_45:                              ;   in Loop: Header=BB47_12 Depth=1
	s_or_b32 exec_lo, exec_lo, s20
	v_dual_mov_b32 v4, 1.0 :: v_dual_mov_b32 v5, 0
.LBB47_46:                              ;   in Loop: Header=BB47_12 Depth=1
	s_or_b32 exec_lo, exec_lo, s1
	ds_load_b128 v[22:25], v21 offset:144
	ds_load_2addr_b64 v[26:29], v15 offset1:1
	ds_load_b64 v[30:31], v16 offset:16
	s_waitcnt lgkmcnt(0)
	v_fma_f32 v31, v23, v26, v31
	v_fmac_f32_e32 v30, v22, v26
	s_delay_alu instid0(VALU_DEP_2) | instskip(NEXT) | instid1(VALU_DEP_2)
	v_fma_f32 v22, v22, -v27, v31
	v_fmac_f32_e32 v30, v23, v27
	s_delay_alu instid0(VALU_DEP_2) | instskip(NEXT) | instid1(VALU_DEP_2)
	v_fmac_f32_e32 v22, v25, v28
	v_fmac_f32_e32 v30, v24, v28
	s_delay_alu instid0(VALU_DEP_2) | instskip(SKIP_1) | instid1(VALU_DEP_2)
	v_fma_f32 v22, v24, -v29, v22
	v_mul_f32_e32 v32, v5, v5
	v_dual_fmac_f32 v30, v25, v29 :: v_dual_sub_f32 v3, v3, v22
	s_delay_alu instid0(VALU_DEP_2) | instskip(NEXT) | instid1(VALU_DEP_2)
	v_fmac_f32_e32 v32, v4, v4
	v_sub_f32_e32 v2, v2, v30
	s_delay_alu instid0(VALU_DEP_2) | instskip(SKIP_1) | instid1(VALU_DEP_2)
	v_div_scale_f32 v33, null, v32, v32, 1.0
	v_div_scale_f32 v36, vcc_lo, 1.0, v32, 1.0
	v_rcp_f32_e32 v34, v33
	s_waitcnt_depctr 0xfff
	v_fma_f32 v35, -v33, v34, 1.0
	s_delay_alu instid0(VALU_DEP_1) | instskip(NEXT) | instid1(VALU_DEP_1)
	v_fmac_f32_e32 v34, v35, v34
	v_mul_f32_e32 v26, v36, v34
	s_delay_alu instid0(VALU_DEP_1) | instskip(NEXT) | instid1(VALU_DEP_1)
	v_fma_f32 v23, -v33, v26, v36
	v_dual_fmac_f32 v26, v23, v34 :: v_dual_mul_f32 v23, v5, v3
	v_mul_f32_e64 v5, v5, -v2
	s_delay_alu instid0(VALU_DEP_2) | instskip(NEXT) | instid1(VALU_DEP_3)
	v_fma_f32 v22, -v33, v26, v36
	v_fmac_f32_e32 v23, v2, v4
	s_delay_alu instid0(VALU_DEP_3) | instskip(NEXT) | instid1(VALU_DEP_3)
	v_fmac_f32_e32 v5, v3, v4
	v_div_fmas_f32 v22, v22, v34, v26
	s_delay_alu instid0(VALU_DEP_1) | instskip(NEXT) | instid1(VALU_DEP_1)
	v_div_fixup_f32 v22, v22, v32, 1.0
	v_mul_f32_e32 v3, v22, v5
	v_mul_f32_e32 v2, v22, v23
	ds_store_b64 v15, v[2:3] offset:16
	s_waitcnt lgkmcnt(0)
	s_waitcnt_vscnt null, 0x0
	buffer_gl0_inv
	ds_load_b64 v[4:5], v19 offset:16
	ds_load_b64 v[22:23], v9
	s_waitcnt lgkmcnt(0)
	v_fma_f32 v22, v2, v4, v22
	v_fmac_f32_e32 v23, v3, v4
	s_delay_alu instid0(VALU_DEP_2) | instskip(NEXT) | instid1(VALU_DEP_2)
	v_fmac_f32_e32 v22, v3, v5
	v_fma_f32 v23, v2, -v5, v23
	ds_store_b64 v9, v[22:23]
	s_waitcnt lgkmcnt(0)
	buffer_gl0_inv
	ds_load_b64 v[4:5], v21 offset:240
	ds_load_b64 v[2:3], v15 offset:24
	s_waitcnt lgkmcnt(1)
	v_cmp_neq_f32_e32 vcc_lo, 0, v4
	v_cmp_neq_f32_e64 s1, 0, v5
	s_delay_alu instid0(VALU_DEP_1) | instskip(SKIP_2) | instid1(SALU_CYCLE_1)
	s_or_b32 vcc_lo, vcc_lo, s1
	v_dual_cndmask_b32 v4, 1.0, v4 :: v_dual_cndmask_b32 v5, 0, v5
	s_or_b32 s1, vcc_lo, s0
	s_xor_b32 s20, s1, -1
	s_delay_alu instid0(SALU_CYCLE_1)
	s_and_saveexec_b32 s1, s20
	s_cbranch_execz .LBB47_50
; %bb.47:                               ;   in Loop: Header=BB47_12 Depth=1
	v_mbcnt_lo_u32_b32 v4, exec_lo, 0
	s_mov_b32 s20, exec_lo
	s_delay_alu instid0(VALU_DEP_1)
	v_cmpx_eq_u32_e32 0, v4
	s_cbranch_execz .LBB47_49
; %bb.48:                               ;   in Loop: Header=BB47_12 Depth=1
	v_mov_b32_e32 v4, s3
	global_atomic_min_i32 v21, v4, s[10:11]
.LBB47_49:                              ;   in Loop: Header=BB47_12 Depth=1
	s_or_b32 exec_lo, exec_lo, s20
	v_dual_mov_b32 v4, 1.0 :: v_dual_mov_b32 v5, 0
.LBB47_50:                              ;   in Loop: Header=BB47_12 Depth=1
	s_or_b32 exec_lo, exec_lo, s1
	ds_load_2addr_b64 v[22:25], v15 offset1:1
	ds_load_2addr_b64 v[26:29], v21 offset0:27 offset1:28
	ds_load_b64 v[30:31], v16 offset:24
	ds_load_b64 v[32:33], v15 offset:16
	ds_load_b64 v[34:35], v21 offset:232
	s_waitcnt lgkmcnt(2)
	v_fma_f32 v31, v27, v22, v31
	v_fmac_f32_e32 v30, v26, v22
	s_delay_alu instid0(VALU_DEP_2) | instskip(NEXT) | instid1(VALU_DEP_2)
	v_fma_f32 v26, v26, -v23, v31
	v_fmac_f32_e32 v30, v27, v23
	s_delay_alu instid0(VALU_DEP_2) | instskip(NEXT) | instid1(VALU_DEP_2)
	v_fmac_f32_e32 v26, v29, v24
	v_fmac_f32_e32 v30, v28, v24
	s_delay_alu instid0(VALU_DEP_2) | instskip(NEXT) | instid1(VALU_DEP_2)
	v_fma_f32 v24, v28, -v25, v26
	v_fmac_f32_e32 v30, v29, v25
	s_waitcnt lgkmcnt(0)
	s_delay_alu instid0(VALU_DEP_2) | instskip(NEXT) | instid1(VALU_DEP_2)
	v_fmac_f32_e32 v24, v35, v32
	v_fmac_f32_e32 v30, v34, v32
	s_delay_alu instid0(VALU_DEP_2) | instskip(SKIP_1) | instid1(VALU_DEP_3)
	v_fma_f32 v24, v34, -v33, v24
	v_mul_f32_e32 v36, v5, v5
	v_fmac_f32_e32 v30, v35, v33
	s_delay_alu instid0(VALU_DEP_3) | instskip(NEXT) | instid1(VALU_DEP_3)
	v_sub_f32_e32 v3, v3, v24
	v_fmac_f32_e32 v36, v4, v4
	s_delay_alu instid0(VALU_DEP_3) | instskip(NEXT) | instid1(VALU_DEP_2)
	v_sub_f32_e32 v2, v2, v30
	v_div_scale_f32 v37, null, v36, v36, 1.0
	v_div_scale_f32 v23, vcc_lo, 1.0, v36, 1.0
	s_delay_alu instid0(VALU_DEP_2) | instskip(SKIP_2) | instid1(VALU_DEP_1)
	v_rcp_f32_e32 v38, v37
	s_waitcnt_depctr 0xfff
	v_fma_f32 v22, -v37, v38, 1.0
	v_fmac_f32_e32 v38, v22, v38
	s_delay_alu instid0(VALU_DEP_1) | instskip(NEXT) | instid1(VALU_DEP_1)
	v_mul_f32_e32 v22, v23, v38
	v_fma_f32 v25, -v37, v22, v23
	s_delay_alu instid0(VALU_DEP_1) | instskip(NEXT) | instid1(VALU_DEP_1)
	v_fmac_f32_e32 v22, v25, v38
	v_fma_f32 v23, -v37, v22, v23
	s_delay_alu instid0(VALU_DEP_1) | instskip(SKIP_2) | instid1(VALU_DEP_3)
	v_div_fmas_f32 v22, v23, v38, v22
	v_mul_f32_e32 v23, v5, v3
	v_mul_f32_e64 v5, v5, -v2
	v_div_fixup_f32 v22, v22, v36, 1.0
	s_delay_alu instid0(VALU_DEP_3) | instskip(NEXT) | instid1(VALU_DEP_1)
	v_fmac_f32_e32 v23, v2, v4
	v_dual_fmac_f32 v5, v3, v4 :: v_dual_mul_f32 v2, v22, v23
	s_delay_alu instid0(VALU_DEP_1)
	v_mul_f32_e32 v3, v22, v5
	ds_store_b64 v15, v[2:3] offset:24
	s_waitcnt lgkmcnt(0)
	s_waitcnt_vscnt null, 0x0
	buffer_gl0_inv
	ds_load_b64 v[4:5], v19 offset:24
	ds_load_b64 v[22:23], v9
	s_waitcnt lgkmcnt(0)
	v_fmac_f32_e32 v23, v3, v4
	v_fma_f32 v22, v2, v4, v22
	s_delay_alu instid0(VALU_DEP_2) | instskip(NEXT) | instid1(VALU_DEP_2)
	v_fma_f32 v23, v2, -v5, v23
	v_fmac_f32_e32 v22, v3, v5
	ds_store_b64 v9, v[22:23]
	s_waitcnt lgkmcnt(0)
	buffer_gl0_inv
	ds_load_b64 v[4:5], v21 offset:320
	ds_load_b64 v[2:3], v15 offset:32
	s_waitcnt lgkmcnt(1)
	v_cmp_neq_f32_e32 vcc_lo, 0, v4
	v_cmp_neq_f32_e64 s1, 0, v5
	s_delay_alu instid0(VALU_DEP_1) | instskip(SKIP_2) | instid1(SALU_CYCLE_1)
	s_or_b32 vcc_lo, vcc_lo, s1
	v_dual_cndmask_b32 v4, 1.0, v4 :: v_dual_cndmask_b32 v5, 0, v5
	s_or_b32 s1, vcc_lo, s0
	s_xor_b32 s20, s1, -1
	s_delay_alu instid0(SALU_CYCLE_1)
	s_and_saveexec_b32 s1, s20
	s_cbranch_execz .LBB47_54
; %bb.51:                               ;   in Loop: Header=BB47_12 Depth=1
	v_mbcnt_lo_u32_b32 v4, exec_lo, 0
	s_mov_b32 s20, exec_lo
	s_delay_alu instid0(VALU_DEP_1)
	v_cmpx_eq_u32_e32 0, v4
	s_cbranch_execz .LBB47_53
; %bb.52:                               ;   in Loop: Header=BB47_12 Depth=1
	v_mov_b32_e32 v4, s3
	global_atomic_min_i32 v21, v4, s[10:11]
.LBB47_53:                              ;   in Loop: Header=BB47_12 Depth=1
	s_or_b32 exec_lo, exec_lo, s20
	v_dual_mov_b32 v4, 1.0 :: v_dual_mov_b32 v5, 0
.LBB47_54:                              ;   in Loop: Header=BB47_12 Depth=1
	s_or_b32 exec_lo, exec_lo, s1
	ds_load_2addr_b64 v[22:25], v15 offset1:1
	ds_load_b128 v[26:29], v21 offset:288
	ds_load_b64 v[38:39], v16 offset:32
	ds_load_2addr_b64 v[30:33], v15 offset0:2 offset1:3
	ds_load_b128 v[34:37], v21 offset:304
	v_mul_f32_e32 v40, v5, v5
	s_delay_alu instid0(VALU_DEP_1) | instskip(NEXT) | instid1(VALU_DEP_1)
	v_fmac_f32_e32 v40, v4, v4
	v_div_scale_f32 v41, null, v40, v40, 1.0
	s_waitcnt lgkmcnt(2)
	v_fma_f32 v39, v27, v22, v39
	v_fmac_f32_e32 v38, v26, v22
	s_delay_alu instid0(VALU_DEP_3) | instskip(NEXT) | instid1(VALU_DEP_2)
	v_rcp_f32_e32 v22, v41
	v_fma_f32 v26, v26, -v23, v39
	s_delay_alu instid0(VALU_DEP_2) | instskip(NEXT) | instid1(VALU_DEP_2)
	v_fmac_f32_e32 v38, v27, v23
	v_fmac_f32_e32 v26, v29, v24
	s_delay_alu instid0(VALU_DEP_2) | instskip(SKIP_3) | instid1(VALU_DEP_2)
	v_fmac_f32_e32 v38, v28, v24
	s_waitcnt_depctr 0xfff
	v_fma_f32 v23, -v41, v22, 1.0
	v_fma_f32 v24, v28, -v25, v26
	v_fmac_f32_e32 v22, v23, v22
	s_waitcnt lgkmcnt(0)
	s_delay_alu instid0(VALU_DEP_2) | instskip(NEXT) | instid1(VALU_DEP_1)
	v_fmac_f32_e32 v24, v35, v30
	v_fma_f32 v24, v34, -v31, v24
	s_delay_alu instid0(VALU_DEP_1) | instskip(NEXT) | instid1(VALU_DEP_1)
	v_fmac_f32_e32 v24, v37, v32
	v_fma_f32 v24, v36, -v33, v24
	s_delay_alu instid0(VALU_DEP_1) | instskip(SKIP_1) | instid1(VALU_DEP_2)
	v_dual_sub_f32 v3, v3, v24 :: v_dual_fmac_f32 v38, v29, v25
	v_div_scale_f32 v25, vcc_lo, 1.0, v40, 1.0
	v_fmac_f32_e32 v38, v34, v30
	s_delay_alu instid0(VALU_DEP_1) | instskip(NEXT) | instid1(VALU_DEP_1)
	v_dual_mul_f32 v23, v25, v22 :: v_dual_fmac_f32 v38, v35, v31
	v_fma_f32 v26, -v41, v23, v25
	s_delay_alu instid0(VALU_DEP_1) | instskip(NEXT) | instid1(VALU_DEP_1)
	v_dual_fmac_f32 v38, v36, v32 :: v_dual_fmac_f32 v23, v26, v22
	v_fmac_f32_e32 v38, v37, v33
	s_delay_alu instid0(VALU_DEP_2) | instskip(NEXT) | instid1(VALU_DEP_2)
	v_fma_f32 v25, -v41, v23, v25
	v_sub_f32_e32 v2, v2, v38
	s_delay_alu instid0(VALU_DEP_2) | instskip(SKIP_1) | instid1(VALU_DEP_3)
	v_div_fmas_f32 v22, v25, v22, v23
	v_mul_f32_e32 v23, v5, v3
	v_mul_f32_e64 v5, v5, -v2
	s_delay_alu instid0(VALU_DEP_3) | instskip(NEXT) | instid1(VALU_DEP_3)
	v_div_fixup_f32 v22, v22, v40, 1.0
	v_fmac_f32_e32 v23, v2, v4
	s_delay_alu instid0(VALU_DEP_1) | instskip(NEXT) | instid1(VALU_DEP_1)
	v_dual_fmac_f32 v5, v3, v4 :: v_dual_mul_f32 v2, v22, v23
	v_mul_f32_e32 v3, v22, v5
	ds_store_b64 v15, v[2:3] offset:32
	s_waitcnt lgkmcnt(0)
	s_waitcnt_vscnt null, 0x0
	buffer_gl0_inv
	ds_load_b64 v[4:5], v19 offset:32
	ds_load_b64 v[22:23], v9
	s_waitcnt lgkmcnt(0)
	v_fmac_f32_e32 v23, v3, v4
	v_fma_f32 v22, v2, v4, v22
	s_delay_alu instid0(VALU_DEP_2) | instskip(NEXT) | instid1(VALU_DEP_2)
	v_fma_f32 v23, v2, -v5, v23
	v_fmac_f32_e32 v22, v3, v5
	ds_store_b64 v9, v[22:23]
	s_waitcnt lgkmcnt(0)
	buffer_gl0_inv
	ds_load_b64 v[4:5], v21 offset:400
	ds_load_b64 v[2:3], v15 offset:40
	s_waitcnt lgkmcnt(1)
	v_cmp_neq_f32_e32 vcc_lo, 0, v4
	v_cmp_neq_f32_e64 s1, 0, v5
	s_delay_alu instid0(VALU_DEP_1) | instskip(SKIP_2) | instid1(SALU_CYCLE_1)
	s_or_b32 vcc_lo, vcc_lo, s1
	v_dual_cndmask_b32 v4, 1.0, v4 :: v_dual_cndmask_b32 v5, 0, v5
	s_or_b32 s1, vcc_lo, s0
	s_xor_b32 s20, s1, -1
	s_delay_alu instid0(SALU_CYCLE_1)
	s_and_saveexec_b32 s1, s20
	s_cbranch_execz .LBB47_58
; %bb.55:                               ;   in Loop: Header=BB47_12 Depth=1
	v_mbcnt_lo_u32_b32 v4, exec_lo, 0
	s_mov_b32 s20, exec_lo
	s_delay_alu instid0(VALU_DEP_1)
	v_cmpx_eq_u32_e32 0, v4
	s_cbranch_execz .LBB47_57
; %bb.56:                               ;   in Loop: Header=BB47_12 Depth=1
	v_mov_b32_e32 v4, s3
	global_atomic_min_i32 v21, v4, s[10:11]
.LBB47_57:                              ;   in Loop: Header=BB47_12 Depth=1
	s_or_b32 exec_lo, exec_lo, s20
	v_dual_mov_b32 v4, 1.0 :: v_dual_mov_b32 v5, 0
.LBB47_58:                              ;   in Loop: Header=BB47_12 Depth=1
	s_or_b32 exec_lo, exec_lo, s1
	ds_load_2addr_b64 v[22:25], v21 offset0:45 offset1:46
	ds_load_2addr_b64 v[26:29], v15 offset1:1
	ds_load_b64 v[38:39], v16 offset:40
	ds_load_2addr_b64 v[30:33], v21 offset0:47 offset1:48
	ds_load_2addr_b64 v[34:37], v15 offset0:2 offset1:3
	v_mul_f32_e32 v40, v5, v5
	s_delay_alu instid0(VALU_DEP_1) | instskip(SKIP_3) | instid1(VALU_DEP_3)
	v_fmac_f32_e32 v40, v4, v4
	s_waitcnt lgkmcnt(2)
	v_fma_f32 v39, v23, v26, v39
	v_fmac_f32_e32 v38, v22, v26
	v_div_scale_f32 v26, null, v40, v40, 1.0
	s_delay_alu instid0(VALU_DEP_3) | instskip(NEXT) | instid1(VALU_DEP_3)
	v_fma_f32 v22, v22, -v27, v39
	v_fmac_f32_e32 v38, v23, v27
	s_delay_alu instid0(VALU_DEP_3) | instskip(NEXT) | instid1(VALU_DEP_2)
	v_rcp_f32_e32 v27, v26
	v_fmac_f32_e32 v22, v25, v28
	s_delay_alu instid0(VALU_DEP_2) | instskip(NEXT) | instid1(VALU_DEP_2)
	v_fmac_f32_e32 v38, v24, v28
	v_fma_f32 v28, v24, -v29, v22
	s_delay_alu instid0(VALU_DEP_2)
	v_fmac_f32_e32 v38, v25, v29
	ds_load_b64 v[22:23], v15 offset:32
	ds_load_b64 v[24:25], v21 offset:392
	v_fma_f32 v29, -v26, v27, 1.0
	s_waitcnt lgkmcnt(2)
	v_fmac_f32_e32 v28, v31, v34
	s_delay_alu instid0(VALU_DEP_2) | instskip(NEXT) | instid1(VALU_DEP_2)
	v_dual_fmac_f32 v38, v30, v34 :: v_dual_fmac_f32 v27, v29, v27
	v_fma_f32 v28, v30, -v35, v28
	s_delay_alu instid0(VALU_DEP_2) | instskip(SKIP_1) | instid1(VALU_DEP_3)
	v_fmac_f32_e32 v38, v31, v35
	v_div_scale_f32 v30, vcc_lo, 1.0, v40, 1.0
	v_fmac_f32_e32 v28, v33, v36
	s_delay_alu instid0(VALU_DEP_2) | instskip(NEXT) | instid1(VALU_DEP_2)
	v_dual_fmac_f32 v38, v32, v36 :: v_dual_mul_f32 v29, v30, v27
	v_fma_f32 v28, v32, -v37, v28
	s_delay_alu instid0(VALU_DEP_2) | instskip(NEXT) | instid1(VALU_DEP_3)
	v_fmac_f32_e32 v38, v33, v37
	v_fma_f32 v31, -v26, v29, v30
	s_waitcnt lgkmcnt(0)
	s_delay_alu instid0(VALU_DEP_3) | instskip(NEXT) | instid1(VALU_DEP_2)
	v_fmac_f32_e32 v28, v25, v22
	v_dual_fmac_f32 v38, v24, v22 :: v_dual_fmac_f32 v29, v31, v27
	s_delay_alu instid0(VALU_DEP_2) | instskip(NEXT) | instid1(VALU_DEP_2)
	v_fma_f32 v22, v24, -v23, v28
	v_fmac_f32_e32 v38, v25, v23
	s_delay_alu instid0(VALU_DEP_3) | instskip(NEXT) | instid1(VALU_DEP_3)
	v_fma_f32 v23, -v26, v29, v30
	v_sub_f32_e32 v3, v3, v22
	s_delay_alu instid0(VALU_DEP_3) | instskip(NEXT) | instid1(VALU_DEP_3)
	v_sub_f32_e32 v2, v2, v38
	v_div_fmas_f32 v22, v23, v27, v29
	s_delay_alu instid0(VALU_DEP_3) | instskip(NEXT) | instid1(VALU_DEP_3)
	v_mul_f32_e32 v23, v5, v3
	v_mul_f32_e64 v5, v5, -v2
	s_delay_alu instid0(VALU_DEP_3) | instskip(NEXT) | instid1(VALU_DEP_3)
	v_div_fixup_f32 v22, v22, v40, 1.0
	v_fmac_f32_e32 v23, v2, v4
	s_delay_alu instid0(VALU_DEP_1) | instskip(NEXT) | instid1(VALU_DEP_1)
	v_dual_fmac_f32 v5, v3, v4 :: v_dual_mul_f32 v2, v22, v23
	v_mul_f32_e32 v3, v22, v5
	ds_store_b64 v15, v[2:3] offset:40
	s_waitcnt lgkmcnt(0)
	s_waitcnt_vscnt null, 0x0
	buffer_gl0_inv
	ds_load_b64 v[4:5], v19 offset:40
	ds_load_b64 v[22:23], v9
	s_waitcnt lgkmcnt(0)
	v_fma_f32 v22, v2, v4, v22
	v_fmac_f32_e32 v23, v3, v4
	s_delay_alu instid0(VALU_DEP_2) | instskip(NEXT) | instid1(VALU_DEP_2)
	v_fmac_f32_e32 v22, v3, v5
	v_fma_f32 v23, v2, -v5, v23
	ds_store_b64 v9, v[22:23]
	s_waitcnt lgkmcnt(0)
	buffer_gl0_inv
	ds_load_b64 v[4:5], v21 offset:480
	ds_load_b64 v[2:3], v15 offset:48
	s_waitcnt lgkmcnt(1)
	v_cmp_neq_f32_e32 vcc_lo, 0, v4
	v_cmp_neq_f32_e64 s1, 0, v5
	s_delay_alu instid0(VALU_DEP_1) | instskip(SKIP_2) | instid1(SALU_CYCLE_1)
	s_or_b32 vcc_lo, vcc_lo, s1
	v_dual_cndmask_b32 v4, 1.0, v4 :: v_dual_cndmask_b32 v5, 0, v5
	s_or_b32 s1, vcc_lo, s0
	s_xor_b32 s20, s1, -1
	s_delay_alu instid0(SALU_CYCLE_1)
	s_and_saveexec_b32 s1, s20
	s_cbranch_execz .LBB47_62
; %bb.59:                               ;   in Loop: Header=BB47_12 Depth=1
	v_mbcnt_lo_u32_b32 v4, exec_lo, 0
	s_mov_b32 s20, exec_lo
	s_delay_alu instid0(VALU_DEP_1)
	v_cmpx_eq_u32_e32 0, v4
	s_cbranch_execz .LBB47_61
; %bb.60:                               ;   in Loop: Header=BB47_12 Depth=1
	v_mov_b32_e32 v4, s3
	global_atomic_min_i32 v21, v4, s[10:11]
.LBB47_61:                              ;   in Loop: Header=BB47_12 Depth=1
	s_or_b32 exec_lo, exec_lo, s20
	v_dual_mov_b32 v4, 1.0 :: v_dual_mov_b32 v5, 0
.LBB47_62:                              ;   in Loop: Header=BB47_12 Depth=1
	s_or_b32 exec_lo, exec_lo, s1
	ds_load_2addr_b64 v[22:25], v15 offset1:1
	ds_load_b64 v[42:43], v16 offset:48
	ds_load_b128 v[26:29], v21 offset:432
	ds_load_2addr_b64 v[30:33], v15 offset0:2 offset1:3
	ds_load_b128 v[34:37], v21 offset:448
	s_waitcnt lgkmcnt(2)
	v_fma_f32 v38, v27, v22, v43
	v_fmac_f32_e32 v42, v26, v22
	s_delay_alu instid0(VALU_DEP_2) | instskip(NEXT) | instid1(VALU_DEP_2)
	v_fma_f32 v22, v26, -v23, v38
	v_fmac_f32_e32 v42, v27, v23
	ds_load_2addr_b64 v[38:41], v15 offset0:4 offset1:5
	v_fmac_f32_e32 v22, v29, v24
	v_fmac_f32_e32 v42, v28, v24
	s_delay_alu instid0(VALU_DEP_2) | instskip(SKIP_1) | instid1(VALU_DEP_3)
	v_fma_f32 v27, v28, -v25, v22
	v_mul_f32_e32 v26, v5, v5
	v_fmac_f32_e32 v42, v29, v25
	ds_load_b128 v[22:25], v21 offset:464
	s_waitcnt lgkmcnt(2)
	v_fmac_f32_e32 v27, v35, v30
	v_fmac_f32_e32 v42, v34, v30
	s_delay_alu instid0(VALU_DEP_2) | instskip(NEXT) | instid1(VALU_DEP_1)
	v_fma_f32 v27, v34, -v31, v27
	v_dual_fmac_f32 v42, v35, v31 :: v_dual_fmac_f32 v27, v37, v32
	s_delay_alu instid0(VALU_DEP_1) | instskip(NEXT) | instid1(VALU_DEP_2)
	v_fmac_f32_e32 v42, v36, v32
	v_fma_f32 v27, v36, -v33, v27
	s_waitcnt lgkmcnt(0)
	s_delay_alu instid0(VALU_DEP_1) | instskip(NEXT) | instid1(VALU_DEP_1)
	v_dual_fmac_f32 v42, v37, v33 :: v_dual_fmac_f32 v27, v23, v38
	v_fmac_f32_e32 v42, v22, v38
	s_delay_alu instid0(VALU_DEP_2) | instskip(NEXT) | instid1(VALU_DEP_2)
	v_fma_f32 v22, v22, -v39, v27
	v_fmac_f32_e32 v42, v23, v39
	s_delay_alu instid0(VALU_DEP_2) | instskip(NEXT) | instid1(VALU_DEP_2)
	v_fmac_f32_e32 v22, v25, v40
	v_fmac_f32_e32 v42, v24, v40
	s_delay_alu instid0(VALU_DEP_2) | instskip(NEXT) | instid1(VALU_DEP_1)
	v_fma_f32 v22, v24, -v41, v22
	v_dual_fmac_f32 v42, v25, v41 :: v_dual_sub_f32 v3, v3, v22
	v_fmac_f32_e32 v26, v4, v4
	s_delay_alu instid0(VALU_DEP_2) | instskip(NEXT) | instid1(VALU_DEP_2)
	v_sub_f32_e32 v2, v2, v42
	v_div_scale_f32 v28, null, v26, v26, 1.0
	v_div_scale_f32 v31, vcc_lo, 1.0, v26, 1.0
	s_delay_alu instid0(VALU_DEP_2) | instskip(SKIP_2) | instid1(VALU_DEP_1)
	v_rcp_f32_e32 v29, v28
	s_waitcnt_depctr 0xfff
	v_fma_f32 v30, -v28, v29, 1.0
	v_fmac_f32_e32 v29, v30, v29
	s_delay_alu instid0(VALU_DEP_1) | instskip(NEXT) | instid1(VALU_DEP_1)
	v_mul_f32_e32 v30, v31, v29
	v_fma_f32 v23, -v28, v30, v31
	s_delay_alu instid0(VALU_DEP_1) | instskip(NEXT) | instid1(VALU_DEP_1)
	v_fmac_f32_e32 v30, v23, v29
	v_fma_f32 v23, -v28, v30, v31
	s_delay_alu instid0(VALU_DEP_1) | instskip(SKIP_2) | instid1(VALU_DEP_3)
	v_div_fmas_f32 v22, v23, v29, v30
	v_mul_f32_e32 v23, v5, v3
	v_mul_f32_e64 v5, v5, -v2
	v_div_fixup_f32 v22, v22, v26, 1.0
	s_delay_alu instid0(VALU_DEP_3) | instskip(NEXT) | instid1(VALU_DEP_1)
	v_fmac_f32_e32 v23, v2, v4
	v_dual_fmac_f32 v5, v3, v4 :: v_dual_mul_f32 v2, v22, v23
	s_delay_alu instid0(VALU_DEP_1)
	v_mul_f32_e32 v3, v22, v5
	ds_store_b64 v15, v[2:3] offset:48
	s_waitcnt lgkmcnt(0)
	s_waitcnt_vscnt null, 0x0
	buffer_gl0_inv
	ds_load_b64 v[4:5], v19 offset:48
	ds_load_b64 v[22:23], v9
	s_waitcnt lgkmcnt(0)
	v_fma_f32 v22, v2, v4, v22
	v_fmac_f32_e32 v23, v3, v4
	s_delay_alu instid0(VALU_DEP_2) | instskip(NEXT) | instid1(VALU_DEP_2)
	v_fmac_f32_e32 v22, v3, v5
	v_fma_f32 v23, v2, -v5, v23
	ds_store_b64 v9, v[22:23]
	s_waitcnt lgkmcnt(0)
	buffer_gl0_inv
	ds_load_b64 v[4:5], v21 offset:560
	ds_load_b64 v[2:3], v15 offset:56
	s_waitcnt lgkmcnt(1)
	v_cmp_neq_f32_e32 vcc_lo, 0, v4
	v_cmp_neq_f32_e64 s1, 0, v5
	s_delay_alu instid0(VALU_DEP_1) | instskip(SKIP_2) | instid1(SALU_CYCLE_1)
	s_or_b32 vcc_lo, vcc_lo, s1
	v_dual_cndmask_b32 v4, 1.0, v4 :: v_dual_cndmask_b32 v5, 0, v5
	s_or_b32 s1, vcc_lo, s0
	s_xor_b32 s20, s1, -1
	s_delay_alu instid0(SALU_CYCLE_1)
	s_and_saveexec_b32 s1, s20
	s_cbranch_execz .LBB47_10
; %bb.63:                               ;   in Loop: Header=BB47_12 Depth=1
	v_mbcnt_lo_u32_b32 v4, exec_lo, 0
	s_mov_b32 s20, exec_lo
	s_delay_alu instid0(VALU_DEP_1)
	v_cmpx_eq_u32_e32 0, v4
	s_cbranch_execz .LBB47_9
; %bb.64:                               ;   in Loop: Header=BB47_12 Depth=1
	v_mov_b32_e32 v4, s3
	global_atomic_min_i32 v21, v4, s[10:11]
	s_branch .LBB47_9
.LBB47_65:
	s_waitcnt lgkmcnt(0)
	s_cmp_eq_u32 s28, 0
	v_cmp_ne_u32_e64 s1, 0, v7
	s_cselect_b32 vcc_lo, -1, 0
	s_mov_b32 s2, exec_lo
	v_cndmask_b32_e32 v0, v14, v11, vcc_lo
	s_delay_alu instid0(VALU_DEP_1) | instskip(NEXT) | instid1(VALU_DEP_1)
	v_lshl_add_u32 v0, s26, 6, v0
	v_ashrrev_i32_e32 v1, 31, v0
	s_delay_alu instid0(VALU_DEP_1) | instskip(NEXT) | instid1(VALU_DEP_1)
	v_lshlrev_b64 v[0:1], 3, v[0:1]
	v_add_co_u32 v0, vcc_lo, s18, v0
	s_delay_alu instid0(VALU_DEP_2)
	v_add_co_ci_u32_e32 v1, vcc_lo, s19, v1, vcc_lo
	global_load_b64 v[2:3], v[0:1], off
	s_waitcnt vmcnt(0)
	ds_store_b64 v10, v[2:3] offset:1152
	s_waitcnt lgkmcnt(0)
	buffer_gl0_inv
	v_cmpx_eq_u32_e32 0, v7
	s_cbranch_execz .LBB47_73
; %bb.66:
	v_mov_b32_e32 v4, 0
	ds_load_2addr_b64 v[11:14], v4 offset0:144 offset1:216
	s_waitcnt lgkmcnt(0)
	v_dual_sub_f32 v5, v12, v14 :: v_dual_sub_f32 v2, v11, v13
	s_delay_alu instid0(VALU_DEP_1) | instskip(SKIP_1) | instid1(VALU_DEP_3)
	v_cmp_gt_f32_e32 vcc_lo, 0, v2
	v_cndmask_b32_e64 v2, v2, -v2, vcc_lo
	v_cmp_gt_f32_e32 vcc_lo, 0, v5
	v_cndmask_b32_e64 v3, v5, -v5, vcc_lo
	s_delay_alu instid0(VALU_DEP_1)
	v_cmp_ngt_f32_e32 vcc_lo, v2, v3
	s_cbranch_vccz .LBB47_69
; %bb.67:
	v_cmp_eq_f32_e32 vcc_lo, 0, v5
	s_mov_b32 s3, 0
	s_cbranch_vccnz .LBB47_70
; %bb.68:
	v_div_scale_f32 v4, null, v3, v3, v2
	v_div_scale_f32 v12, vcc_lo, v2, v3, v2
	s_delay_alu instid0(VALU_DEP_2) | instskip(SKIP_2) | instid1(VALU_DEP_1)
	v_rcp_f32_e32 v5, v4
	s_waitcnt_depctr 0xfff
	v_fma_f32 v11, -v4, v5, 1.0
	v_fmac_f32_e32 v5, v11, v5
	s_delay_alu instid0(VALU_DEP_1) | instskip(NEXT) | instid1(VALU_DEP_1)
	v_mul_f32_e32 v11, v12, v5
	v_fma_f32 v13, -v4, v11, v12
	s_delay_alu instid0(VALU_DEP_1) | instskip(NEXT) | instid1(VALU_DEP_1)
	v_fmac_f32_e32 v11, v13, v5
	v_fma_f32 v4, -v4, v11, v12
	s_delay_alu instid0(VALU_DEP_1) | instskip(NEXT) | instid1(VALU_DEP_1)
	v_div_fmas_f32 v4, v4, v5, v11
	v_div_fixup_f32 v4, v4, v3, v2
	s_delay_alu instid0(VALU_DEP_1) | instskip(NEXT) | instid1(VALU_DEP_1)
	v_fma_f32 v4, v4, v4, 1.0
	v_mul_f32_e32 v5, 0x4f800000, v4
	v_cmp_gt_f32_e32 vcc_lo, 0xf800000, v4
	s_delay_alu instid0(VALU_DEP_2) | instskip(NEXT) | instid1(VALU_DEP_1)
	v_cndmask_b32_e32 v4, v4, v5, vcc_lo
	v_sqrt_f32_e32 v5, v4
	s_waitcnt_depctr 0xfff
	v_add_nc_u32_e32 v11, -1, v5
	v_add_nc_u32_e32 v12, 1, v5
	s_delay_alu instid0(VALU_DEP_2) | instskip(NEXT) | instid1(VALU_DEP_2)
	v_fma_f32 v13, -v11, v5, v4
	v_fma_f32 v14, -v12, v5, v4
	s_delay_alu instid0(VALU_DEP_2) | instskip(NEXT) | instid1(VALU_DEP_1)
	v_cmp_ge_f32_e64 s0, 0, v13
	v_cndmask_b32_e64 v5, v5, v11, s0
	s_delay_alu instid0(VALU_DEP_3) | instskip(NEXT) | instid1(VALU_DEP_1)
	v_cmp_lt_f32_e64 s0, 0, v14
	v_cndmask_b32_e64 v5, v5, v12, s0
	s_delay_alu instid0(VALU_DEP_1) | instskip(NEXT) | instid1(VALU_DEP_1)
	v_mul_f32_e32 v11, 0x37800000, v5
	v_cndmask_b32_e32 v5, v5, v11, vcc_lo
	v_cmp_class_f32_e64 vcc_lo, v4, 0x260
	s_delay_alu instid0(VALU_DEP_2) | instskip(NEXT) | instid1(VALU_DEP_1)
	v_cndmask_b32_e32 v4, v5, v4, vcc_lo
	v_mul_f32_e32 v4, v3, v4
	s_branch .LBB47_70
.LBB47_69:
	s_mov_b32 s3, -1
                                        ; implicit-def: $vgpr4
.LBB47_70:
	s_delay_alu instid0(SALU_CYCLE_1)
	s_and_not1_b32 vcc_lo, exec_lo, s3
	s_cbranch_vccnz .LBB47_72
; %bb.71:
	v_div_scale_f32 v4, null, v2, v2, v3
	v_div_scale_f32 v12, vcc_lo, v3, v2, v3
	s_delay_alu instid0(VALU_DEP_2) | instskip(SKIP_2) | instid1(VALU_DEP_1)
	v_rcp_f32_e32 v5, v4
	s_waitcnt_depctr 0xfff
	v_fma_f32 v11, -v4, v5, 1.0
	v_fmac_f32_e32 v5, v11, v5
	s_delay_alu instid0(VALU_DEP_1) | instskip(NEXT) | instid1(VALU_DEP_1)
	v_mul_f32_e32 v11, v12, v5
	v_fma_f32 v13, -v4, v11, v12
	s_delay_alu instid0(VALU_DEP_1) | instskip(NEXT) | instid1(VALU_DEP_1)
	v_fmac_f32_e32 v11, v13, v5
	v_fma_f32 v4, -v4, v11, v12
	s_delay_alu instid0(VALU_DEP_1) | instskip(NEXT) | instid1(VALU_DEP_1)
	v_div_fmas_f32 v4, v4, v5, v11
	v_div_fixup_f32 v3, v4, v2, v3
	s_delay_alu instid0(VALU_DEP_1) | instskip(NEXT) | instid1(VALU_DEP_1)
	v_fma_f32 v3, v3, v3, 1.0
	v_mul_f32_e32 v4, 0x4f800000, v3
	v_cmp_gt_f32_e32 vcc_lo, 0xf800000, v3
	s_delay_alu instid0(VALU_DEP_2) | instskip(NEXT) | instid1(VALU_DEP_1)
	v_cndmask_b32_e32 v3, v3, v4, vcc_lo
	v_sqrt_f32_e32 v4, v3
	s_waitcnt_depctr 0xfff
	v_add_nc_u32_e32 v5, -1, v4
	v_add_nc_u32_e32 v11, 1, v4
	s_delay_alu instid0(VALU_DEP_2) | instskip(NEXT) | instid1(VALU_DEP_2)
	v_fma_f32 v12, -v5, v4, v3
	v_fma_f32 v13, -v11, v4, v3
	s_delay_alu instid0(VALU_DEP_2) | instskip(NEXT) | instid1(VALU_DEP_1)
	v_cmp_ge_f32_e64 s0, 0, v12
	v_cndmask_b32_e64 v4, v4, v5, s0
	s_delay_alu instid0(VALU_DEP_3) | instskip(NEXT) | instid1(VALU_DEP_1)
	v_cmp_lt_f32_e64 s0, 0, v13
	v_cndmask_b32_e64 v4, v4, v11, s0
	s_delay_alu instid0(VALU_DEP_1) | instskip(NEXT) | instid1(VALU_DEP_1)
	v_mul_f32_e32 v5, 0x37800000, v4
	v_cndmask_b32_e32 v4, v4, v5, vcc_lo
	v_cmp_class_f32_e64 vcc_lo, v3, 0x260
	s_delay_alu instid0(VALU_DEP_2) | instskip(NEXT) | instid1(VALU_DEP_1)
	v_cndmask_b32_e32 v3, v4, v3, vcc_lo
	v_mul_f32_e32 v4, v2, v3
.LBB47_72:
	s_delay_alu instid0(VALU_DEP_1) | instskip(SKIP_1) | instid1(VALU_DEP_2)
	v_mul_f32_e32 v2, 0x4f800000, v4
	v_cmp_gt_f32_e32 vcc_lo, 0xf800000, v4
	v_cndmask_b32_e32 v2, v4, v2, vcc_lo
	s_delay_alu instid0(VALU_DEP_1) | instskip(SKIP_3) | instid1(VALU_DEP_2)
	v_sqrt_f32_e32 v3, v2
	s_waitcnt_depctr 0xfff
	v_add_nc_u32_e32 v4, -1, v3
	v_add_nc_u32_e32 v5, 1, v3
	v_fma_f32 v11, -v4, v3, v2
	s_delay_alu instid0(VALU_DEP_2) | instskip(NEXT) | instid1(VALU_DEP_2)
	v_fma_f32 v12, -v5, v3, v2
	v_cmp_ge_f32_e64 s0, 0, v11
	s_delay_alu instid0(VALU_DEP_1) | instskip(NEXT) | instid1(VALU_DEP_3)
	v_cndmask_b32_e64 v3, v3, v4, s0
	v_cmp_lt_f32_e64 s0, 0, v12
	s_delay_alu instid0(VALU_DEP_1) | instskip(NEXT) | instid1(VALU_DEP_1)
	v_cndmask_b32_e64 v3, v3, v5, s0
	v_mul_f32_e32 v4, 0x37800000, v3
	s_delay_alu instid0(VALU_DEP_1) | instskip(SKIP_1) | instid1(VALU_DEP_2)
	v_cndmask_b32_e32 v3, v3, v4, vcc_lo
	v_cmp_class_f32_e64 vcc_lo, v2, 0x260
	v_dual_cndmask_b32 v2, v3, v2 :: v_dual_mov_b32 v3, 0
	ds_store_b64 v3, v[2:3] offset:1152
.LBB47_73:
	s_or_b32 exec_lo, exec_lo, s2
	v_dual_mov_b32 v3, 0 :: v_dual_add_nc_u32 v2, 0x480, v10
	s_waitcnt lgkmcnt(0)
	buffer_gl0_inv
	v_cmp_ne_u32_e64 s0, 0, v8
	ds_load_b64 v[3:4], v3 offset:1152
	s_waitcnt lgkmcnt(0)
	v_cmp_neq_f32_e32 vcc_lo, 0, v3
	v_cmp_neq_f32_e64 s2, 0, v4
	s_delay_alu instid0(VALU_DEP_1) | instskip(SKIP_3) | instid1(SALU_CYCLE_1)
	s_or_b32 vcc_lo, vcc_lo, s2
	s_add_i32 s2, s16, s17
	v_dual_cndmask_b32 v3, 1.0, v3 :: v_dual_cndmask_b32 v4, 0, v4
	s_or_b32 s3, vcc_lo, s0
	s_xor_b32 s4, s3, -1
	s_delay_alu instid0(SALU_CYCLE_1)
	s_and_saveexec_b32 s3, s4
	s_cbranch_execz .LBB47_77
; %bb.74:
	v_mbcnt_lo_u32_b32 v3, exec_lo, 0
	s_mov_b32 s4, exec_lo
	s_delay_alu instid0(VALU_DEP_1)
	v_cmpx_eq_u32_e32 0, v3
	s_cbranch_execz .LBB47_76
; %bb.75:
	v_dual_mov_b32 v3, 0 :: v_dual_mov_b32 v4, s2
	global_atomic_min_i32 v3, v4, s[10:11]
.LBB47_76:
	s_or_b32 exec_lo, exec_lo, s4
	v_dual_mov_b32 v3, 1.0 :: v_dual_mov_b32 v4, 0
.LBB47_77:
	s_or_b32 exec_lo, exec_lo, s3
	s_and_saveexec_b32 s3, s1
	s_cbranch_execz .LBB47_79
; %bb.78:
	v_mul_u32_u24_e32 v16, 0x48, v7
	ds_load_2addr_b64 v[10:13], v16 offset0:144 offset1:216
	s_waitcnt lgkmcnt(0)
	v_dual_sub_f32 v11, v11, v13 :: v_dual_sub_f32 v10, v10, v12
	s_delay_alu instid0(VALU_DEP_1) | instskip(SKIP_1) | instid1(VALU_DEP_3)
	v_mul_f32_e32 v12, v4, v11
	v_mul_f32_e32 v5, v4, v4
	v_mul_f32_e64 v4, v4, -v10
	s_delay_alu instid0(VALU_DEP_3) | instskip(NEXT) | instid1(VALU_DEP_3)
	v_fmac_f32_e32 v12, v10, v3
	v_fmac_f32_e32 v5, v3, v3
	s_delay_alu instid0(VALU_DEP_3) | instskip(NEXT) | instid1(VALU_DEP_2)
	v_fmac_f32_e32 v4, v11, v3
	v_div_scale_f32 v14, null, v5, v5, 1.0
	v_div_scale_f32 v18, vcc_lo, 1.0, v5, 1.0
	s_delay_alu instid0(VALU_DEP_2) | instskip(SKIP_2) | instid1(VALU_DEP_1)
	v_rcp_f32_e32 v15, v14
	s_waitcnt_depctr 0xfff
	v_fma_f32 v17, -v14, v15, 1.0
	v_fmac_f32_e32 v15, v17, v15
	s_delay_alu instid0(VALU_DEP_1) | instskip(NEXT) | instid1(VALU_DEP_1)
	v_mul_f32_e32 v17, v18, v15
	v_fma_f32 v19, -v14, v17, v18
	s_delay_alu instid0(VALU_DEP_1) | instskip(NEXT) | instid1(VALU_DEP_1)
	v_fmac_f32_e32 v17, v19, v15
	v_fma_f32 v13, -v14, v17, v18
	s_delay_alu instid0(VALU_DEP_1) | instskip(NEXT) | instid1(VALU_DEP_1)
	v_div_fmas_f32 v13, v13, v15, v17
	v_div_fixup_f32 v5, v13, v5, 1.0
	s_delay_alu instid0(VALU_DEP_1)
	v_mul_f32_e32 v3, v5, v12
	v_mul_f32_e32 v4, v5, v4
	v_mul_u32_u24_e32 v5, 0x48, v6
	ds_store_b64 v16, v[3:4] offset:1152
	s_waitcnt lgkmcnt(0)
	s_waitcnt_vscnt null, 0x0
	buffer_gl0_inv
	ds_load_b64 v[10:11], v5 offset:1152
	ds_load_b64 v[12:13], v9
	s_waitcnt lgkmcnt(0)
	v_fma_f32 v12, v3, v10, v12
	v_fmac_f32_e32 v13, v4, v10
	s_delay_alu instid0(VALU_DEP_2) | instskip(NEXT) | instid1(VALU_DEP_2)
	v_fmac_f32_e32 v12, v4, v11
	v_fma_f32 v13, v3, -v11, v13
	ds_store_b64 v9, v[12:13]
.LBB47_79:
	s_or_b32 exec_lo, exec_lo, s3
	s_delay_alu instid0(SALU_CYCLE_1)
	s_mov_b32 s3, exec_lo
	s_waitcnt lgkmcnt(0)
	s_waitcnt_vscnt null, 0x0
	buffer_gl0_inv
	v_cmpx_eq_u32_e32 1, v7
	s_cbranch_execz .LBB47_87
; %bb.80:
	v_mov_b32_e32 v5, 0
	ds_load_2addr_b64 v[10:13], v5 offset0:154 offset1:226
	s_waitcnt lgkmcnt(0)
	v_dual_sub_f32 v3, v10, v12 :: v_dual_sub_f32 v10, v11, v13
	s_delay_alu instid0(VALU_DEP_1) | instskip(SKIP_1) | instid1(VALU_DEP_3)
	v_cmp_gt_f32_e32 vcc_lo, 0, v3
	v_cndmask_b32_e64 v3, v3, -v3, vcc_lo
	v_cmp_gt_f32_e32 vcc_lo, 0, v10
	v_cndmask_b32_e64 v4, v10, -v10, vcc_lo
	s_delay_alu instid0(VALU_DEP_1)
	v_cmp_gt_f32_e32 vcc_lo, v3, v4
	s_cbranch_vccnz .LBB47_84
; %bb.81:
	v_cmp_eq_f32_e32 vcc_lo, 0, v10
	s_cbranch_vccnz .LBB47_83
; %bb.82:
	v_div_scale_f32 v5, null, v4, v4, v3
	v_div_scale_f32 v12, vcc_lo, v3, v4, v3
	s_delay_alu instid0(VALU_DEP_2) | instskip(SKIP_2) | instid1(VALU_DEP_1)
	v_rcp_f32_e32 v10, v5
	s_waitcnt_depctr 0xfff
	v_fma_f32 v11, -v5, v10, 1.0
	v_fmac_f32_e32 v10, v11, v10
	s_delay_alu instid0(VALU_DEP_1) | instskip(NEXT) | instid1(VALU_DEP_1)
	v_mul_f32_e32 v11, v12, v10
	v_fma_f32 v13, -v5, v11, v12
	s_delay_alu instid0(VALU_DEP_1) | instskip(NEXT) | instid1(VALU_DEP_1)
	v_fmac_f32_e32 v11, v13, v10
	v_fma_f32 v5, -v5, v11, v12
	s_delay_alu instid0(VALU_DEP_1) | instskip(NEXT) | instid1(VALU_DEP_1)
	v_div_fmas_f32 v5, v5, v10, v11
	v_div_fixup_f32 v5, v5, v4, v3
	s_delay_alu instid0(VALU_DEP_1) | instskip(NEXT) | instid1(VALU_DEP_1)
	v_fma_f32 v5, v5, v5, 1.0
	v_mul_f32_e32 v10, 0x4f800000, v5
	v_cmp_gt_f32_e32 vcc_lo, 0xf800000, v5
	s_delay_alu instid0(VALU_DEP_2) | instskip(NEXT) | instid1(VALU_DEP_1)
	v_cndmask_b32_e32 v5, v5, v10, vcc_lo
	v_sqrt_f32_e32 v10, v5
	s_waitcnt_depctr 0xfff
	v_add_nc_u32_e32 v11, -1, v10
	v_add_nc_u32_e32 v12, 1, v10
	s_delay_alu instid0(VALU_DEP_2) | instskip(NEXT) | instid1(VALU_DEP_2)
	v_fma_f32 v13, -v11, v10, v5
	v_fma_f32 v14, -v12, v10, v5
	s_delay_alu instid0(VALU_DEP_2) | instskip(NEXT) | instid1(VALU_DEP_1)
	v_cmp_ge_f32_e64 s1, 0, v13
	v_cndmask_b32_e64 v10, v10, v11, s1
	s_delay_alu instid0(VALU_DEP_3) | instskip(NEXT) | instid1(VALU_DEP_1)
	v_cmp_lt_f32_e64 s1, 0, v14
	v_cndmask_b32_e64 v10, v10, v12, s1
	s_delay_alu instid0(VALU_DEP_1) | instskip(NEXT) | instid1(VALU_DEP_1)
	v_mul_f32_e32 v11, 0x37800000, v10
	v_cndmask_b32_e32 v10, v10, v11, vcc_lo
	v_cmp_class_f32_e64 vcc_lo, v5, 0x260
	s_delay_alu instid0(VALU_DEP_2) | instskip(NEXT) | instid1(VALU_DEP_1)
	v_cndmask_b32_e32 v5, v10, v5, vcc_lo
	v_mul_f32_e32 v5, v4, v5
.LBB47_83:
	s_cbranch_execz .LBB47_85
	s_branch .LBB47_86
.LBB47_84:
                                        ; implicit-def: $vgpr5
.LBB47_85:
	v_div_scale_f32 v5, null, v3, v3, v4
	v_div_scale_f32 v12, vcc_lo, v4, v3, v4
	s_delay_alu instid0(VALU_DEP_2) | instskip(SKIP_2) | instid1(VALU_DEP_1)
	v_rcp_f32_e32 v10, v5
	s_waitcnt_depctr 0xfff
	v_fma_f32 v11, -v5, v10, 1.0
	v_fmac_f32_e32 v10, v11, v10
	s_delay_alu instid0(VALU_DEP_1) | instskip(NEXT) | instid1(VALU_DEP_1)
	v_mul_f32_e32 v11, v12, v10
	v_fma_f32 v13, -v5, v11, v12
	s_delay_alu instid0(VALU_DEP_1) | instskip(NEXT) | instid1(VALU_DEP_1)
	v_fmac_f32_e32 v11, v13, v10
	v_fma_f32 v5, -v5, v11, v12
	s_delay_alu instid0(VALU_DEP_1) | instskip(NEXT) | instid1(VALU_DEP_1)
	v_div_fmas_f32 v5, v5, v10, v11
	v_div_fixup_f32 v4, v5, v3, v4
	s_delay_alu instid0(VALU_DEP_1) | instskip(NEXT) | instid1(VALU_DEP_1)
	v_fma_f32 v4, v4, v4, 1.0
	v_mul_f32_e32 v5, 0x4f800000, v4
	v_cmp_gt_f32_e32 vcc_lo, 0xf800000, v4
	s_delay_alu instid0(VALU_DEP_2) | instskip(NEXT) | instid1(VALU_DEP_1)
	v_cndmask_b32_e32 v4, v4, v5, vcc_lo
	v_sqrt_f32_e32 v5, v4
	s_waitcnt_depctr 0xfff
	v_add_nc_u32_e32 v10, -1, v5
	v_add_nc_u32_e32 v11, 1, v5
	s_delay_alu instid0(VALU_DEP_2) | instskip(NEXT) | instid1(VALU_DEP_2)
	v_fma_f32 v12, -v10, v5, v4
	v_fma_f32 v13, -v11, v5, v4
	s_delay_alu instid0(VALU_DEP_2) | instskip(NEXT) | instid1(VALU_DEP_1)
	v_cmp_ge_f32_e64 s1, 0, v12
	v_cndmask_b32_e64 v5, v5, v10, s1
	s_delay_alu instid0(VALU_DEP_3) | instskip(NEXT) | instid1(VALU_DEP_1)
	v_cmp_lt_f32_e64 s1, 0, v13
	v_cndmask_b32_e64 v5, v5, v11, s1
	s_delay_alu instid0(VALU_DEP_1) | instskip(NEXT) | instid1(VALU_DEP_1)
	v_mul_f32_e32 v10, 0x37800000, v5
	v_cndmask_b32_e32 v5, v5, v10, vcc_lo
	v_cmp_class_f32_e64 vcc_lo, v4, 0x260
	s_delay_alu instid0(VALU_DEP_2) | instskip(NEXT) | instid1(VALU_DEP_1)
	v_cndmask_b32_e32 v4, v5, v4, vcc_lo
	v_mul_f32_e32 v5, v3, v4
.LBB47_86:
	s_delay_alu instid0(VALU_DEP_1) | instskip(SKIP_1) | instid1(VALU_DEP_2)
	v_mul_f32_e32 v3, 0x4f800000, v5
	v_cmp_gt_f32_e32 vcc_lo, 0xf800000, v5
	v_cndmask_b32_e32 v3, v5, v3, vcc_lo
	s_delay_alu instid0(VALU_DEP_1) | instskip(SKIP_3) | instid1(VALU_DEP_2)
	v_sqrt_f32_e32 v4, v3
	s_waitcnt_depctr 0xfff
	v_add_nc_u32_e32 v5, -1, v4
	v_add_nc_u32_e32 v10, 1, v4
	v_fma_f32 v11, -v5, v4, v3
	s_delay_alu instid0(VALU_DEP_2) | instskip(NEXT) | instid1(VALU_DEP_2)
	v_fma_f32 v12, -v10, v4, v3
	v_cmp_ge_f32_e64 s1, 0, v11
	s_delay_alu instid0(VALU_DEP_1) | instskip(NEXT) | instid1(VALU_DEP_3)
	v_cndmask_b32_e64 v4, v4, v5, s1
	v_cmp_lt_f32_e64 s1, 0, v12
	s_delay_alu instid0(VALU_DEP_1) | instskip(NEXT) | instid1(VALU_DEP_1)
	v_cndmask_b32_e64 v4, v4, v10, s1
	v_mul_f32_e32 v5, 0x37800000, v4
	s_delay_alu instid0(VALU_DEP_1) | instskip(SKIP_1) | instid1(VALU_DEP_2)
	v_cndmask_b32_e32 v4, v4, v5, vcc_lo
	v_cmp_class_f32_e64 vcc_lo, v3, 0x260
	v_dual_cndmask_b32 v3, v4, v3 :: v_dual_mov_b32 v4, 0
	ds_store_b64 v4, v[3:4] offset:1232
.LBB47_87:
	s_or_b32 exec_lo, exec_lo, s3
	v_mov_b32_e32 v3, 0
	s_waitcnt lgkmcnt(0)
	buffer_gl0_inv
	ds_load_b64 v[3:4], v3 offset:1232
	s_waitcnt lgkmcnt(0)
	v_cmp_neq_f32_e32 vcc_lo, 0, v3
	v_cmp_neq_f32_e64 s1, 0, v4
	s_delay_alu instid0(VALU_DEP_1) | instskip(SKIP_2) | instid1(SALU_CYCLE_1)
	s_or_b32 vcc_lo, vcc_lo, s1
	v_dual_cndmask_b32 v4, 0, v4 :: v_dual_cndmask_b32 v3, 1.0, v3
	s_or_b32 s1, vcc_lo, s0
	s_xor_b32 s3, s1, -1
	s_delay_alu instid0(SALU_CYCLE_1)
	s_and_saveexec_b32 s1, s3
	s_cbranch_execz .LBB47_91
; %bb.88:
	v_mbcnt_lo_u32_b32 v3, exec_lo, 0
	s_mov_b32 s3, exec_lo
	s_delay_alu instid0(VALU_DEP_1)
	v_cmpx_eq_u32_e32 0, v3
	s_cbranch_execz .LBB47_90
; %bb.89:
	v_dual_mov_b32 v3, 0 :: v_dual_mov_b32 v4, s2
	global_atomic_min_i32 v3, v4, s[10:11]
.LBB47_90:
	s_or_b32 exec_lo, exec_lo, s3
	v_dual_mov_b32 v3, 1.0 :: v_dual_mov_b32 v4, 0
.LBB47_91:
	s_or_b32 exec_lo, exec_lo, s1
	s_delay_alu instid0(SALU_CYCLE_1)
	s_mov_b32 s1, exec_lo
	v_cmpx_lt_u32_e32 1, v7
	s_cbranch_execz .LBB47_93
; %bb.92:
	v_mul_u32_u24_e32 v16, 0x48, v7
	ds_load_2addr_b64 v[10:13], v16 offset0:145 offset1:217
	s_waitcnt lgkmcnt(0)
	v_dual_sub_f32 v11, v11, v13 :: v_dual_sub_f32 v10, v10, v12
	s_delay_alu instid0(VALU_DEP_1) | instskip(SKIP_1) | instid1(VALU_DEP_3)
	v_mul_f32_e32 v12, v4, v11
	v_mul_f32_e32 v5, v4, v4
	v_mul_f32_e64 v4, v4, -v10
	s_delay_alu instid0(VALU_DEP_3) | instskip(NEXT) | instid1(VALU_DEP_3)
	v_fmac_f32_e32 v12, v10, v3
	v_fmac_f32_e32 v5, v3, v3
	s_delay_alu instid0(VALU_DEP_3) | instskip(NEXT) | instid1(VALU_DEP_2)
	v_fmac_f32_e32 v4, v11, v3
	v_div_scale_f32 v14, null, v5, v5, 1.0
	v_div_scale_f32 v18, vcc_lo, 1.0, v5, 1.0
	s_delay_alu instid0(VALU_DEP_2) | instskip(SKIP_2) | instid1(VALU_DEP_1)
	v_rcp_f32_e32 v15, v14
	s_waitcnt_depctr 0xfff
	v_fma_f32 v17, -v14, v15, 1.0
	v_fmac_f32_e32 v15, v17, v15
	s_delay_alu instid0(VALU_DEP_1) | instskip(NEXT) | instid1(VALU_DEP_1)
	v_mul_f32_e32 v17, v18, v15
	v_fma_f32 v19, -v14, v17, v18
	s_delay_alu instid0(VALU_DEP_1) | instskip(NEXT) | instid1(VALU_DEP_1)
	v_fmac_f32_e32 v17, v19, v15
	v_fma_f32 v13, -v14, v17, v18
	s_delay_alu instid0(VALU_DEP_1) | instskip(NEXT) | instid1(VALU_DEP_1)
	v_div_fmas_f32 v13, v13, v15, v17
	v_div_fixup_f32 v5, v13, v5, 1.0
	s_delay_alu instid0(VALU_DEP_1)
	v_mul_f32_e32 v3, v5, v12
	v_mul_f32_e32 v4, v5, v4
	v_mul_u32_u24_e32 v5, 0x48, v6
	ds_store_b64 v16, v[3:4] offset:1160
	s_waitcnt lgkmcnt(0)
	s_waitcnt_vscnt null, 0x0
	buffer_gl0_inv
	ds_load_b64 v[10:11], v5 offset:1160
	ds_load_b64 v[12:13], v9
	s_waitcnt lgkmcnt(0)
	v_fma_f32 v12, v3, v10, v12
	v_fmac_f32_e32 v13, v4, v10
	s_delay_alu instid0(VALU_DEP_2) | instskip(NEXT) | instid1(VALU_DEP_2)
	v_fmac_f32_e32 v12, v4, v11
	v_fma_f32 v13, v3, -v11, v13
	ds_store_b64 v9, v[12:13]
.LBB47_93:
	s_or_b32 exec_lo, exec_lo, s1
	s_delay_alu instid0(SALU_CYCLE_1)
	s_mov_b32 s3, exec_lo
	s_waitcnt lgkmcnt(0)
	s_waitcnt_vscnt null, 0x0
	buffer_gl0_inv
	v_cmpx_eq_u32_e32 2, v7
	s_cbranch_execz .LBB47_101
; %bb.94:
	v_mov_b32_e32 v5, 0
	ds_load_2addr_b64 v[10:13], v5 offset0:164 offset1:236
	s_waitcnt lgkmcnt(0)
	v_dual_sub_f32 v3, v10, v12 :: v_dual_sub_f32 v10, v11, v13
	s_delay_alu instid0(VALU_DEP_1) | instskip(SKIP_1) | instid1(VALU_DEP_3)
	v_cmp_gt_f32_e32 vcc_lo, 0, v3
	v_cndmask_b32_e64 v3, v3, -v3, vcc_lo
	v_cmp_gt_f32_e32 vcc_lo, 0, v10
	v_cndmask_b32_e64 v4, v10, -v10, vcc_lo
	s_delay_alu instid0(VALU_DEP_1)
	v_cmp_gt_f32_e32 vcc_lo, v3, v4
	s_cbranch_vccnz .LBB47_98
; %bb.95:
	v_cmp_eq_f32_e32 vcc_lo, 0, v10
	s_cbranch_vccnz .LBB47_97
; %bb.96:
	v_div_scale_f32 v5, null, v4, v4, v3
	v_div_scale_f32 v12, vcc_lo, v3, v4, v3
	s_delay_alu instid0(VALU_DEP_2) | instskip(SKIP_2) | instid1(VALU_DEP_1)
	v_rcp_f32_e32 v10, v5
	s_waitcnt_depctr 0xfff
	v_fma_f32 v11, -v5, v10, 1.0
	v_fmac_f32_e32 v10, v11, v10
	s_delay_alu instid0(VALU_DEP_1) | instskip(NEXT) | instid1(VALU_DEP_1)
	v_mul_f32_e32 v11, v12, v10
	v_fma_f32 v13, -v5, v11, v12
	s_delay_alu instid0(VALU_DEP_1) | instskip(NEXT) | instid1(VALU_DEP_1)
	v_fmac_f32_e32 v11, v13, v10
	v_fma_f32 v5, -v5, v11, v12
	s_delay_alu instid0(VALU_DEP_1) | instskip(NEXT) | instid1(VALU_DEP_1)
	v_div_fmas_f32 v5, v5, v10, v11
	v_div_fixup_f32 v5, v5, v4, v3
	s_delay_alu instid0(VALU_DEP_1) | instskip(NEXT) | instid1(VALU_DEP_1)
	v_fma_f32 v5, v5, v5, 1.0
	v_mul_f32_e32 v10, 0x4f800000, v5
	v_cmp_gt_f32_e32 vcc_lo, 0xf800000, v5
	s_delay_alu instid0(VALU_DEP_2) | instskip(NEXT) | instid1(VALU_DEP_1)
	v_cndmask_b32_e32 v5, v5, v10, vcc_lo
	v_sqrt_f32_e32 v10, v5
	s_waitcnt_depctr 0xfff
	v_add_nc_u32_e32 v11, -1, v10
	v_add_nc_u32_e32 v12, 1, v10
	s_delay_alu instid0(VALU_DEP_2) | instskip(NEXT) | instid1(VALU_DEP_2)
	v_fma_f32 v13, -v11, v10, v5
	v_fma_f32 v14, -v12, v10, v5
	s_delay_alu instid0(VALU_DEP_2) | instskip(NEXT) | instid1(VALU_DEP_1)
	v_cmp_ge_f32_e64 s1, 0, v13
	v_cndmask_b32_e64 v10, v10, v11, s1
	s_delay_alu instid0(VALU_DEP_3) | instskip(NEXT) | instid1(VALU_DEP_1)
	v_cmp_lt_f32_e64 s1, 0, v14
	v_cndmask_b32_e64 v10, v10, v12, s1
	s_delay_alu instid0(VALU_DEP_1) | instskip(NEXT) | instid1(VALU_DEP_1)
	v_mul_f32_e32 v11, 0x37800000, v10
	v_cndmask_b32_e32 v10, v10, v11, vcc_lo
	v_cmp_class_f32_e64 vcc_lo, v5, 0x260
	s_delay_alu instid0(VALU_DEP_2) | instskip(NEXT) | instid1(VALU_DEP_1)
	v_cndmask_b32_e32 v5, v10, v5, vcc_lo
	v_mul_f32_e32 v5, v4, v5
.LBB47_97:
	s_cbranch_execz .LBB47_99
	s_branch .LBB47_100
.LBB47_98:
                                        ; implicit-def: $vgpr5
.LBB47_99:
	v_div_scale_f32 v5, null, v3, v3, v4
	v_div_scale_f32 v12, vcc_lo, v4, v3, v4
	s_delay_alu instid0(VALU_DEP_2) | instskip(SKIP_2) | instid1(VALU_DEP_1)
	v_rcp_f32_e32 v10, v5
	s_waitcnt_depctr 0xfff
	v_fma_f32 v11, -v5, v10, 1.0
	v_fmac_f32_e32 v10, v11, v10
	s_delay_alu instid0(VALU_DEP_1) | instskip(NEXT) | instid1(VALU_DEP_1)
	v_mul_f32_e32 v11, v12, v10
	v_fma_f32 v13, -v5, v11, v12
	s_delay_alu instid0(VALU_DEP_1) | instskip(NEXT) | instid1(VALU_DEP_1)
	v_fmac_f32_e32 v11, v13, v10
	v_fma_f32 v5, -v5, v11, v12
	s_delay_alu instid0(VALU_DEP_1) | instskip(NEXT) | instid1(VALU_DEP_1)
	v_div_fmas_f32 v5, v5, v10, v11
	v_div_fixup_f32 v4, v5, v3, v4
	s_delay_alu instid0(VALU_DEP_1) | instskip(NEXT) | instid1(VALU_DEP_1)
	v_fma_f32 v4, v4, v4, 1.0
	v_mul_f32_e32 v5, 0x4f800000, v4
	v_cmp_gt_f32_e32 vcc_lo, 0xf800000, v4
	s_delay_alu instid0(VALU_DEP_2) | instskip(NEXT) | instid1(VALU_DEP_1)
	v_cndmask_b32_e32 v4, v4, v5, vcc_lo
	v_sqrt_f32_e32 v5, v4
	s_waitcnt_depctr 0xfff
	v_add_nc_u32_e32 v10, -1, v5
	v_add_nc_u32_e32 v11, 1, v5
	s_delay_alu instid0(VALU_DEP_2) | instskip(NEXT) | instid1(VALU_DEP_2)
	v_fma_f32 v12, -v10, v5, v4
	v_fma_f32 v13, -v11, v5, v4
	s_delay_alu instid0(VALU_DEP_2) | instskip(NEXT) | instid1(VALU_DEP_1)
	v_cmp_ge_f32_e64 s1, 0, v12
	v_cndmask_b32_e64 v5, v5, v10, s1
	s_delay_alu instid0(VALU_DEP_3) | instskip(NEXT) | instid1(VALU_DEP_1)
	v_cmp_lt_f32_e64 s1, 0, v13
	v_cndmask_b32_e64 v5, v5, v11, s1
	s_delay_alu instid0(VALU_DEP_1) | instskip(NEXT) | instid1(VALU_DEP_1)
	v_mul_f32_e32 v10, 0x37800000, v5
	v_cndmask_b32_e32 v5, v5, v10, vcc_lo
	v_cmp_class_f32_e64 vcc_lo, v4, 0x260
	s_delay_alu instid0(VALU_DEP_2) | instskip(NEXT) | instid1(VALU_DEP_1)
	v_cndmask_b32_e32 v4, v5, v4, vcc_lo
	v_mul_f32_e32 v5, v3, v4
.LBB47_100:
	s_delay_alu instid0(VALU_DEP_1) | instskip(SKIP_1) | instid1(VALU_DEP_2)
	v_mul_f32_e32 v3, 0x4f800000, v5
	v_cmp_gt_f32_e32 vcc_lo, 0xf800000, v5
	v_cndmask_b32_e32 v3, v5, v3, vcc_lo
	s_delay_alu instid0(VALU_DEP_1) | instskip(SKIP_3) | instid1(VALU_DEP_2)
	v_sqrt_f32_e32 v4, v3
	s_waitcnt_depctr 0xfff
	v_add_nc_u32_e32 v5, -1, v4
	v_add_nc_u32_e32 v10, 1, v4
	v_fma_f32 v11, -v5, v4, v3
	s_delay_alu instid0(VALU_DEP_2) | instskip(NEXT) | instid1(VALU_DEP_2)
	v_fma_f32 v12, -v10, v4, v3
	v_cmp_ge_f32_e64 s1, 0, v11
	s_delay_alu instid0(VALU_DEP_1) | instskip(NEXT) | instid1(VALU_DEP_3)
	v_cndmask_b32_e64 v4, v4, v5, s1
	v_cmp_lt_f32_e64 s1, 0, v12
	s_delay_alu instid0(VALU_DEP_1) | instskip(NEXT) | instid1(VALU_DEP_1)
	v_cndmask_b32_e64 v4, v4, v10, s1
	v_mul_f32_e32 v5, 0x37800000, v4
	s_delay_alu instid0(VALU_DEP_1) | instskip(SKIP_1) | instid1(VALU_DEP_2)
	v_cndmask_b32_e32 v4, v4, v5, vcc_lo
	v_cmp_class_f32_e64 vcc_lo, v3, 0x260
	v_dual_cndmask_b32 v3, v4, v3 :: v_dual_mov_b32 v4, 0
	ds_store_b64 v4, v[3:4] offset:1312
.LBB47_101:
	s_or_b32 exec_lo, exec_lo, s3
	v_mov_b32_e32 v3, 0
	s_waitcnt lgkmcnt(0)
	buffer_gl0_inv
	ds_load_b64 v[3:4], v3 offset:1312
	s_waitcnt lgkmcnt(0)
	v_cmp_neq_f32_e32 vcc_lo, 0, v3
	v_cmp_neq_f32_e64 s1, 0, v4
	s_delay_alu instid0(VALU_DEP_1) | instskip(SKIP_2) | instid1(SALU_CYCLE_1)
	s_or_b32 vcc_lo, vcc_lo, s1
	v_dual_cndmask_b32 v4, 0, v4 :: v_dual_cndmask_b32 v3, 1.0, v3
	s_or_b32 s1, vcc_lo, s0
	s_xor_b32 s3, s1, -1
	s_delay_alu instid0(SALU_CYCLE_1)
	s_and_saveexec_b32 s1, s3
	s_cbranch_execz .LBB47_105
; %bb.102:
	v_mbcnt_lo_u32_b32 v3, exec_lo, 0
	s_mov_b32 s3, exec_lo
	s_delay_alu instid0(VALU_DEP_1)
	v_cmpx_eq_u32_e32 0, v3
	s_cbranch_execz .LBB47_104
; %bb.103:
	v_dual_mov_b32 v3, 0 :: v_dual_mov_b32 v4, s2
	global_atomic_min_i32 v3, v4, s[10:11]
.LBB47_104:
	s_or_b32 exec_lo, exec_lo, s3
	v_dual_mov_b32 v3, 1.0 :: v_dual_mov_b32 v4, 0
.LBB47_105:
	s_or_b32 exec_lo, exec_lo, s1
	s_delay_alu instid0(SALU_CYCLE_1)
	s_mov_b32 s1, exec_lo
	v_cmpx_lt_u32_e32 2, v7
	s_cbranch_execz .LBB47_107
; %bb.106:
	v_mul_u32_u24_e32 v16, 0x48, v7
	ds_load_2addr_b64 v[10:13], v16 offset0:146 offset1:218
	s_waitcnt lgkmcnt(0)
	v_dual_sub_f32 v11, v11, v13 :: v_dual_sub_f32 v10, v10, v12
	s_delay_alu instid0(VALU_DEP_1) | instskip(SKIP_1) | instid1(VALU_DEP_3)
	v_mul_f32_e32 v12, v4, v11
	v_mul_f32_e32 v5, v4, v4
	v_mul_f32_e64 v4, v4, -v10
	s_delay_alu instid0(VALU_DEP_3) | instskip(NEXT) | instid1(VALU_DEP_3)
	v_fmac_f32_e32 v12, v10, v3
	v_fmac_f32_e32 v5, v3, v3
	s_delay_alu instid0(VALU_DEP_3) | instskip(NEXT) | instid1(VALU_DEP_2)
	v_fmac_f32_e32 v4, v11, v3
	v_div_scale_f32 v14, null, v5, v5, 1.0
	v_div_scale_f32 v18, vcc_lo, 1.0, v5, 1.0
	s_delay_alu instid0(VALU_DEP_2) | instskip(SKIP_2) | instid1(VALU_DEP_1)
	v_rcp_f32_e32 v15, v14
	s_waitcnt_depctr 0xfff
	v_fma_f32 v17, -v14, v15, 1.0
	v_fmac_f32_e32 v15, v17, v15
	s_delay_alu instid0(VALU_DEP_1) | instskip(NEXT) | instid1(VALU_DEP_1)
	v_mul_f32_e32 v17, v18, v15
	v_fma_f32 v19, -v14, v17, v18
	s_delay_alu instid0(VALU_DEP_1) | instskip(NEXT) | instid1(VALU_DEP_1)
	v_fmac_f32_e32 v17, v19, v15
	v_fma_f32 v13, -v14, v17, v18
	s_delay_alu instid0(VALU_DEP_1) | instskip(NEXT) | instid1(VALU_DEP_1)
	v_div_fmas_f32 v13, v13, v15, v17
	v_div_fixup_f32 v5, v13, v5, 1.0
	s_delay_alu instid0(VALU_DEP_1)
	v_mul_f32_e32 v3, v5, v12
	v_mul_f32_e32 v4, v5, v4
	v_mul_u32_u24_e32 v5, 0x48, v6
	ds_store_b64 v16, v[3:4] offset:1168
	s_waitcnt lgkmcnt(0)
	s_waitcnt_vscnt null, 0x0
	buffer_gl0_inv
	ds_load_b64 v[10:11], v5 offset:1168
	ds_load_b64 v[12:13], v9
	s_waitcnt lgkmcnt(0)
	v_fma_f32 v12, v3, v10, v12
	v_fmac_f32_e32 v13, v4, v10
	s_delay_alu instid0(VALU_DEP_2) | instskip(NEXT) | instid1(VALU_DEP_2)
	v_fmac_f32_e32 v12, v4, v11
	v_fma_f32 v13, v3, -v11, v13
	ds_store_b64 v9, v[12:13]
.LBB47_107:
	s_or_b32 exec_lo, exec_lo, s1
	s_delay_alu instid0(SALU_CYCLE_1)
	s_mov_b32 s3, exec_lo
	s_waitcnt lgkmcnt(0)
	s_waitcnt_vscnt null, 0x0
	buffer_gl0_inv
	v_cmpx_eq_u32_e32 3, v7
	s_cbranch_execz .LBB47_115
; %bb.108:
	v_mov_b32_e32 v5, 0
	ds_load_2addr_b64 v[10:13], v5 offset0:174 offset1:246
	s_waitcnt lgkmcnt(0)
	v_dual_sub_f32 v3, v10, v12 :: v_dual_sub_f32 v10, v11, v13
	s_delay_alu instid0(VALU_DEP_1) | instskip(SKIP_1) | instid1(VALU_DEP_3)
	v_cmp_gt_f32_e32 vcc_lo, 0, v3
	v_cndmask_b32_e64 v3, v3, -v3, vcc_lo
	v_cmp_gt_f32_e32 vcc_lo, 0, v10
	v_cndmask_b32_e64 v4, v10, -v10, vcc_lo
	s_delay_alu instid0(VALU_DEP_1)
	v_cmp_gt_f32_e32 vcc_lo, v3, v4
	s_cbranch_vccnz .LBB47_112
; %bb.109:
	v_cmp_eq_f32_e32 vcc_lo, 0, v10
	s_cbranch_vccnz .LBB47_111
; %bb.110:
	v_div_scale_f32 v5, null, v4, v4, v3
	v_div_scale_f32 v12, vcc_lo, v3, v4, v3
	s_delay_alu instid0(VALU_DEP_2) | instskip(SKIP_2) | instid1(VALU_DEP_1)
	v_rcp_f32_e32 v10, v5
	s_waitcnt_depctr 0xfff
	v_fma_f32 v11, -v5, v10, 1.0
	v_fmac_f32_e32 v10, v11, v10
	s_delay_alu instid0(VALU_DEP_1) | instskip(NEXT) | instid1(VALU_DEP_1)
	v_mul_f32_e32 v11, v12, v10
	v_fma_f32 v13, -v5, v11, v12
	s_delay_alu instid0(VALU_DEP_1) | instskip(NEXT) | instid1(VALU_DEP_1)
	v_fmac_f32_e32 v11, v13, v10
	v_fma_f32 v5, -v5, v11, v12
	s_delay_alu instid0(VALU_DEP_1) | instskip(NEXT) | instid1(VALU_DEP_1)
	v_div_fmas_f32 v5, v5, v10, v11
	v_div_fixup_f32 v5, v5, v4, v3
	s_delay_alu instid0(VALU_DEP_1) | instskip(NEXT) | instid1(VALU_DEP_1)
	v_fma_f32 v5, v5, v5, 1.0
	v_mul_f32_e32 v10, 0x4f800000, v5
	v_cmp_gt_f32_e32 vcc_lo, 0xf800000, v5
	s_delay_alu instid0(VALU_DEP_2) | instskip(NEXT) | instid1(VALU_DEP_1)
	v_cndmask_b32_e32 v5, v5, v10, vcc_lo
	v_sqrt_f32_e32 v10, v5
	s_waitcnt_depctr 0xfff
	v_add_nc_u32_e32 v11, -1, v10
	v_add_nc_u32_e32 v12, 1, v10
	s_delay_alu instid0(VALU_DEP_2) | instskip(NEXT) | instid1(VALU_DEP_2)
	v_fma_f32 v13, -v11, v10, v5
	v_fma_f32 v14, -v12, v10, v5
	s_delay_alu instid0(VALU_DEP_2) | instskip(NEXT) | instid1(VALU_DEP_1)
	v_cmp_ge_f32_e64 s1, 0, v13
	v_cndmask_b32_e64 v10, v10, v11, s1
	s_delay_alu instid0(VALU_DEP_3) | instskip(NEXT) | instid1(VALU_DEP_1)
	v_cmp_lt_f32_e64 s1, 0, v14
	v_cndmask_b32_e64 v10, v10, v12, s1
	s_delay_alu instid0(VALU_DEP_1) | instskip(NEXT) | instid1(VALU_DEP_1)
	v_mul_f32_e32 v11, 0x37800000, v10
	v_cndmask_b32_e32 v10, v10, v11, vcc_lo
	v_cmp_class_f32_e64 vcc_lo, v5, 0x260
	s_delay_alu instid0(VALU_DEP_2) | instskip(NEXT) | instid1(VALU_DEP_1)
	v_cndmask_b32_e32 v5, v10, v5, vcc_lo
	v_mul_f32_e32 v5, v4, v5
.LBB47_111:
	s_cbranch_execz .LBB47_113
	s_branch .LBB47_114
.LBB47_112:
                                        ; implicit-def: $vgpr5
.LBB47_113:
	v_div_scale_f32 v5, null, v3, v3, v4
	v_div_scale_f32 v12, vcc_lo, v4, v3, v4
	s_delay_alu instid0(VALU_DEP_2) | instskip(SKIP_2) | instid1(VALU_DEP_1)
	v_rcp_f32_e32 v10, v5
	s_waitcnt_depctr 0xfff
	v_fma_f32 v11, -v5, v10, 1.0
	v_fmac_f32_e32 v10, v11, v10
	s_delay_alu instid0(VALU_DEP_1) | instskip(NEXT) | instid1(VALU_DEP_1)
	v_mul_f32_e32 v11, v12, v10
	v_fma_f32 v13, -v5, v11, v12
	s_delay_alu instid0(VALU_DEP_1) | instskip(NEXT) | instid1(VALU_DEP_1)
	v_fmac_f32_e32 v11, v13, v10
	v_fma_f32 v5, -v5, v11, v12
	s_delay_alu instid0(VALU_DEP_1) | instskip(NEXT) | instid1(VALU_DEP_1)
	v_div_fmas_f32 v5, v5, v10, v11
	v_div_fixup_f32 v4, v5, v3, v4
	s_delay_alu instid0(VALU_DEP_1) | instskip(NEXT) | instid1(VALU_DEP_1)
	v_fma_f32 v4, v4, v4, 1.0
	v_mul_f32_e32 v5, 0x4f800000, v4
	v_cmp_gt_f32_e32 vcc_lo, 0xf800000, v4
	s_delay_alu instid0(VALU_DEP_2) | instskip(NEXT) | instid1(VALU_DEP_1)
	v_cndmask_b32_e32 v4, v4, v5, vcc_lo
	v_sqrt_f32_e32 v5, v4
	s_waitcnt_depctr 0xfff
	v_add_nc_u32_e32 v10, -1, v5
	v_add_nc_u32_e32 v11, 1, v5
	s_delay_alu instid0(VALU_DEP_2) | instskip(NEXT) | instid1(VALU_DEP_2)
	v_fma_f32 v12, -v10, v5, v4
	v_fma_f32 v13, -v11, v5, v4
	s_delay_alu instid0(VALU_DEP_2) | instskip(NEXT) | instid1(VALU_DEP_1)
	v_cmp_ge_f32_e64 s1, 0, v12
	v_cndmask_b32_e64 v5, v5, v10, s1
	s_delay_alu instid0(VALU_DEP_3) | instskip(NEXT) | instid1(VALU_DEP_1)
	v_cmp_lt_f32_e64 s1, 0, v13
	v_cndmask_b32_e64 v5, v5, v11, s1
	s_delay_alu instid0(VALU_DEP_1) | instskip(NEXT) | instid1(VALU_DEP_1)
	v_mul_f32_e32 v10, 0x37800000, v5
	v_cndmask_b32_e32 v5, v5, v10, vcc_lo
	v_cmp_class_f32_e64 vcc_lo, v4, 0x260
	s_delay_alu instid0(VALU_DEP_2) | instskip(NEXT) | instid1(VALU_DEP_1)
	v_cndmask_b32_e32 v4, v5, v4, vcc_lo
	v_mul_f32_e32 v5, v3, v4
.LBB47_114:
	s_delay_alu instid0(VALU_DEP_1) | instskip(SKIP_1) | instid1(VALU_DEP_2)
	v_mul_f32_e32 v3, 0x4f800000, v5
	v_cmp_gt_f32_e32 vcc_lo, 0xf800000, v5
	v_cndmask_b32_e32 v3, v5, v3, vcc_lo
	s_delay_alu instid0(VALU_DEP_1) | instskip(SKIP_3) | instid1(VALU_DEP_2)
	v_sqrt_f32_e32 v4, v3
	s_waitcnt_depctr 0xfff
	v_add_nc_u32_e32 v5, -1, v4
	v_add_nc_u32_e32 v10, 1, v4
	v_fma_f32 v11, -v5, v4, v3
	s_delay_alu instid0(VALU_DEP_2) | instskip(NEXT) | instid1(VALU_DEP_2)
	v_fma_f32 v12, -v10, v4, v3
	v_cmp_ge_f32_e64 s1, 0, v11
	s_delay_alu instid0(VALU_DEP_1) | instskip(NEXT) | instid1(VALU_DEP_3)
	v_cndmask_b32_e64 v4, v4, v5, s1
	v_cmp_lt_f32_e64 s1, 0, v12
	s_delay_alu instid0(VALU_DEP_1) | instskip(NEXT) | instid1(VALU_DEP_1)
	v_cndmask_b32_e64 v4, v4, v10, s1
	v_mul_f32_e32 v5, 0x37800000, v4
	s_delay_alu instid0(VALU_DEP_1) | instskip(SKIP_1) | instid1(VALU_DEP_2)
	v_cndmask_b32_e32 v4, v4, v5, vcc_lo
	v_cmp_class_f32_e64 vcc_lo, v3, 0x260
	v_dual_cndmask_b32 v3, v4, v3 :: v_dual_mov_b32 v4, 0
	ds_store_b64 v4, v[3:4] offset:1392
.LBB47_115:
	s_or_b32 exec_lo, exec_lo, s3
	v_mov_b32_e32 v3, 0
	s_waitcnt lgkmcnt(0)
	buffer_gl0_inv
	ds_load_b64 v[3:4], v3 offset:1392
	s_waitcnt lgkmcnt(0)
	v_cmp_neq_f32_e32 vcc_lo, 0, v3
	v_cmp_neq_f32_e64 s1, 0, v4
	s_delay_alu instid0(VALU_DEP_1) | instskip(SKIP_2) | instid1(SALU_CYCLE_1)
	s_or_b32 vcc_lo, vcc_lo, s1
	v_dual_cndmask_b32 v4, 0, v4 :: v_dual_cndmask_b32 v3, 1.0, v3
	s_or_b32 s1, vcc_lo, s0
	s_xor_b32 s3, s1, -1
	s_delay_alu instid0(SALU_CYCLE_1)
	s_and_saveexec_b32 s1, s3
	s_cbranch_execz .LBB47_119
; %bb.116:
	v_mbcnt_lo_u32_b32 v3, exec_lo, 0
	s_mov_b32 s3, exec_lo
	s_delay_alu instid0(VALU_DEP_1)
	v_cmpx_eq_u32_e32 0, v3
	s_cbranch_execz .LBB47_118
; %bb.117:
	v_dual_mov_b32 v3, 0 :: v_dual_mov_b32 v4, s2
	global_atomic_min_i32 v3, v4, s[10:11]
.LBB47_118:
	s_or_b32 exec_lo, exec_lo, s3
	v_dual_mov_b32 v3, 1.0 :: v_dual_mov_b32 v4, 0
.LBB47_119:
	s_or_b32 exec_lo, exec_lo, s1
	s_delay_alu instid0(SALU_CYCLE_1)
	s_mov_b32 s1, exec_lo
	v_cmpx_lt_u32_e32 3, v7
	s_cbranch_execz .LBB47_121
; %bb.120:
	v_mul_u32_u24_e32 v16, 0x48, v7
	ds_load_2addr_b64 v[10:13], v16 offset0:147 offset1:219
	s_waitcnt lgkmcnt(0)
	v_dual_sub_f32 v11, v11, v13 :: v_dual_sub_f32 v10, v10, v12
	s_delay_alu instid0(VALU_DEP_1) | instskip(SKIP_1) | instid1(VALU_DEP_3)
	v_mul_f32_e32 v12, v4, v11
	v_mul_f32_e32 v5, v4, v4
	v_mul_f32_e64 v4, v4, -v10
	s_delay_alu instid0(VALU_DEP_3) | instskip(NEXT) | instid1(VALU_DEP_3)
	v_fmac_f32_e32 v12, v10, v3
	v_fmac_f32_e32 v5, v3, v3
	s_delay_alu instid0(VALU_DEP_3) | instskip(NEXT) | instid1(VALU_DEP_2)
	v_fmac_f32_e32 v4, v11, v3
	v_div_scale_f32 v14, null, v5, v5, 1.0
	v_div_scale_f32 v18, vcc_lo, 1.0, v5, 1.0
	s_delay_alu instid0(VALU_DEP_2) | instskip(SKIP_2) | instid1(VALU_DEP_1)
	v_rcp_f32_e32 v15, v14
	s_waitcnt_depctr 0xfff
	v_fma_f32 v17, -v14, v15, 1.0
	v_fmac_f32_e32 v15, v17, v15
	s_delay_alu instid0(VALU_DEP_1) | instskip(NEXT) | instid1(VALU_DEP_1)
	v_mul_f32_e32 v17, v18, v15
	v_fma_f32 v19, -v14, v17, v18
	s_delay_alu instid0(VALU_DEP_1) | instskip(NEXT) | instid1(VALU_DEP_1)
	v_fmac_f32_e32 v17, v19, v15
	v_fma_f32 v13, -v14, v17, v18
	s_delay_alu instid0(VALU_DEP_1) | instskip(NEXT) | instid1(VALU_DEP_1)
	v_div_fmas_f32 v13, v13, v15, v17
	v_div_fixup_f32 v5, v13, v5, 1.0
	s_delay_alu instid0(VALU_DEP_1)
	v_mul_f32_e32 v3, v5, v12
	v_mul_f32_e32 v4, v5, v4
	v_mul_u32_u24_e32 v5, 0x48, v6
	ds_store_b64 v16, v[3:4] offset:1176
	s_waitcnt lgkmcnt(0)
	s_waitcnt_vscnt null, 0x0
	buffer_gl0_inv
	ds_load_b64 v[10:11], v5 offset:1176
	ds_load_b64 v[12:13], v9
	s_waitcnt lgkmcnt(0)
	v_fma_f32 v12, v3, v10, v12
	v_fmac_f32_e32 v13, v4, v10
	s_delay_alu instid0(VALU_DEP_2) | instskip(NEXT) | instid1(VALU_DEP_2)
	v_fmac_f32_e32 v12, v4, v11
	v_fma_f32 v13, v3, -v11, v13
	ds_store_b64 v9, v[12:13]
.LBB47_121:
	s_or_b32 exec_lo, exec_lo, s1
	s_delay_alu instid0(SALU_CYCLE_1)
	s_mov_b32 s3, exec_lo
	s_waitcnt lgkmcnt(0)
	s_waitcnt_vscnt null, 0x0
	buffer_gl0_inv
	v_cmpx_eq_u32_e32 4, v7
	s_cbranch_execz .LBB47_129
; %bb.122:
	v_add_nc_u32_e64 v3, 0x400, 0
	v_mov_b32_e32 v5, 0
	ds_load_2addr_b64 v[10:13], v3 offset0:56 offset1:128
	s_waitcnt lgkmcnt(0)
	v_dual_sub_f32 v3, v10, v12 :: v_dual_sub_f32 v10, v11, v13
	s_delay_alu instid0(VALU_DEP_1) | instskip(SKIP_1) | instid1(VALU_DEP_3)
	v_cmp_gt_f32_e32 vcc_lo, 0, v3
	v_cndmask_b32_e64 v3, v3, -v3, vcc_lo
	v_cmp_gt_f32_e32 vcc_lo, 0, v10
	v_cndmask_b32_e64 v4, v10, -v10, vcc_lo
	s_delay_alu instid0(VALU_DEP_1)
	v_cmp_gt_f32_e32 vcc_lo, v3, v4
	s_cbranch_vccnz .LBB47_126
; %bb.123:
	v_cmp_eq_f32_e32 vcc_lo, 0, v10
	s_cbranch_vccnz .LBB47_125
; %bb.124:
	v_div_scale_f32 v5, null, v4, v4, v3
	v_div_scale_f32 v12, vcc_lo, v3, v4, v3
	s_delay_alu instid0(VALU_DEP_2) | instskip(SKIP_2) | instid1(VALU_DEP_1)
	v_rcp_f32_e32 v10, v5
	s_waitcnt_depctr 0xfff
	v_fma_f32 v11, -v5, v10, 1.0
	v_fmac_f32_e32 v10, v11, v10
	s_delay_alu instid0(VALU_DEP_1) | instskip(NEXT) | instid1(VALU_DEP_1)
	v_mul_f32_e32 v11, v12, v10
	v_fma_f32 v13, -v5, v11, v12
	s_delay_alu instid0(VALU_DEP_1) | instskip(NEXT) | instid1(VALU_DEP_1)
	v_fmac_f32_e32 v11, v13, v10
	v_fma_f32 v5, -v5, v11, v12
	s_delay_alu instid0(VALU_DEP_1) | instskip(NEXT) | instid1(VALU_DEP_1)
	v_div_fmas_f32 v5, v5, v10, v11
	v_div_fixup_f32 v5, v5, v4, v3
	s_delay_alu instid0(VALU_DEP_1) | instskip(NEXT) | instid1(VALU_DEP_1)
	v_fma_f32 v5, v5, v5, 1.0
	v_mul_f32_e32 v10, 0x4f800000, v5
	v_cmp_gt_f32_e32 vcc_lo, 0xf800000, v5
	s_delay_alu instid0(VALU_DEP_2) | instskip(NEXT) | instid1(VALU_DEP_1)
	v_cndmask_b32_e32 v5, v5, v10, vcc_lo
	v_sqrt_f32_e32 v10, v5
	s_waitcnt_depctr 0xfff
	v_add_nc_u32_e32 v11, -1, v10
	v_add_nc_u32_e32 v12, 1, v10
	s_delay_alu instid0(VALU_DEP_2) | instskip(NEXT) | instid1(VALU_DEP_2)
	v_fma_f32 v13, -v11, v10, v5
	v_fma_f32 v14, -v12, v10, v5
	s_delay_alu instid0(VALU_DEP_2) | instskip(NEXT) | instid1(VALU_DEP_1)
	v_cmp_ge_f32_e64 s1, 0, v13
	v_cndmask_b32_e64 v10, v10, v11, s1
	s_delay_alu instid0(VALU_DEP_3) | instskip(NEXT) | instid1(VALU_DEP_1)
	v_cmp_lt_f32_e64 s1, 0, v14
	v_cndmask_b32_e64 v10, v10, v12, s1
	s_delay_alu instid0(VALU_DEP_1) | instskip(NEXT) | instid1(VALU_DEP_1)
	v_mul_f32_e32 v11, 0x37800000, v10
	v_cndmask_b32_e32 v10, v10, v11, vcc_lo
	v_cmp_class_f32_e64 vcc_lo, v5, 0x260
	s_delay_alu instid0(VALU_DEP_2) | instskip(NEXT) | instid1(VALU_DEP_1)
	v_cndmask_b32_e32 v5, v10, v5, vcc_lo
	v_mul_f32_e32 v5, v4, v5
.LBB47_125:
	s_cbranch_execz .LBB47_127
	s_branch .LBB47_128
.LBB47_126:
                                        ; implicit-def: $vgpr5
.LBB47_127:
	v_div_scale_f32 v5, null, v3, v3, v4
	v_div_scale_f32 v12, vcc_lo, v4, v3, v4
	s_delay_alu instid0(VALU_DEP_2) | instskip(SKIP_2) | instid1(VALU_DEP_1)
	v_rcp_f32_e32 v10, v5
	s_waitcnt_depctr 0xfff
	v_fma_f32 v11, -v5, v10, 1.0
	v_fmac_f32_e32 v10, v11, v10
	s_delay_alu instid0(VALU_DEP_1) | instskip(NEXT) | instid1(VALU_DEP_1)
	v_mul_f32_e32 v11, v12, v10
	v_fma_f32 v13, -v5, v11, v12
	s_delay_alu instid0(VALU_DEP_1) | instskip(NEXT) | instid1(VALU_DEP_1)
	v_fmac_f32_e32 v11, v13, v10
	v_fma_f32 v5, -v5, v11, v12
	s_delay_alu instid0(VALU_DEP_1) | instskip(NEXT) | instid1(VALU_DEP_1)
	v_div_fmas_f32 v5, v5, v10, v11
	v_div_fixup_f32 v4, v5, v3, v4
	s_delay_alu instid0(VALU_DEP_1) | instskip(NEXT) | instid1(VALU_DEP_1)
	v_fma_f32 v4, v4, v4, 1.0
	v_mul_f32_e32 v5, 0x4f800000, v4
	v_cmp_gt_f32_e32 vcc_lo, 0xf800000, v4
	s_delay_alu instid0(VALU_DEP_2) | instskip(NEXT) | instid1(VALU_DEP_1)
	v_cndmask_b32_e32 v4, v4, v5, vcc_lo
	v_sqrt_f32_e32 v5, v4
	s_waitcnt_depctr 0xfff
	v_add_nc_u32_e32 v10, -1, v5
	v_add_nc_u32_e32 v11, 1, v5
	s_delay_alu instid0(VALU_DEP_2) | instskip(NEXT) | instid1(VALU_DEP_2)
	v_fma_f32 v12, -v10, v5, v4
	v_fma_f32 v13, -v11, v5, v4
	s_delay_alu instid0(VALU_DEP_2) | instskip(NEXT) | instid1(VALU_DEP_1)
	v_cmp_ge_f32_e64 s1, 0, v12
	v_cndmask_b32_e64 v5, v5, v10, s1
	s_delay_alu instid0(VALU_DEP_3) | instskip(NEXT) | instid1(VALU_DEP_1)
	v_cmp_lt_f32_e64 s1, 0, v13
	v_cndmask_b32_e64 v5, v5, v11, s1
	s_delay_alu instid0(VALU_DEP_1) | instskip(NEXT) | instid1(VALU_DEP_1)
	v_mul_f32_e32 v10, 0x37800000, v5
	v_cndmask_b32_e32 v5, v5, v10, vcc_lo
	v_cmp_class_f32_e64 vcc_lo, v4, 0x260
	s_delay_alu instid0(VALU_DEP_2) | instskip(NEXT) | instid1(VALU_DEP_1)
	v_cndmask_b32_e32 v4, v5, v4, vcc_lo
	v_mul_f32_e32 v5, v3, v4
.LBB47_128:
	s_delay_alu instid0(VALU_DEP_1) | instskip(SKIP_1) | instid1(VALU_DEP_2)
	v_mul_f32_e32 v3, 0x4f800000, v5
	v_cmp_gt_f32_e32 vcc_lo, 0xf800000, v5
	v_cndmask_b32_e32 v3, v5, v3, vcc_lo
	s_delay_alu instid0(VALU_DEP_1) | instskip(SKIP_3) | instid1(VALU_DEP_2)
	v_sqrt_f32_e32 v4, v3
	s_waitcnt_depctr 0xfff
	v_add_nc_u32_e32 v5, -1, v4
	v_add_nc_u32_e32 v10, 1, v4
	v_fma_f32 v11, -v5, v4, v3
	s_delay_alu instid0(VALU_DEP_2) | instskip(NEXT) | instid1(VALU_DEP_2)
	v_fma_f32 v12, -v10, v4, v3
	v_cmp_ge_f32_e64 s1, 0, v11
	s_delay_alu instid0(VALU_DEP_1) | instskip(NEXT) | instid1(VALU_DEP_3)
	v_cndmask_b32_e64 v4, v4, v5, s1
	v_cmp_lt_f32_e64 s1, 0, v12
	s_delay_alu instid0(VALU_DEP_1) | instskip(NEXT) | instid1(VALU_DEP_1)
	v_cndmask_b32_e64 v4, v4, v10, s1
	v_mul_f32_e32 v5, 0x37800000, v4
	s_delay_alu instid0(VALU_DEP_1) | instskip(SKIP_1) | instid1(VALU_DEP_2)
	v_cndmask_b32_e32 v4, v4, v5, vcc_lo
	v_cmp_class_f32_e64 vcc_lo, v3, 0x260
	v_dual_cndmask_b32 v3, v4, v3 :: v_dual_mov_b32 v4, 0
	ds_store_b64 v4, v[3:4] offset:1472
.LBB47_129:
	s_or_b32 exec_lo, exec_lo, s3
	v_mov_b32_e32 v3, 0
	s_waitcnt lgkmcnt(0)
	buffer_gl0_inv
	ds_load_b64 v[3:4], v3 offset:1472
	s_waitcnt lgkmcnt(0)
	v_cmp_neq_f32_e32 vcc_lo, 0, v3
	v_cmp_neq_f32_e64 s1, 0, v4
	s_delay_alu instid0(VALU_DEP_1) | instskip(SKIP_2) | instid1(SALU_CYCLE_1)
	s_or_b32 vcc_lo, vcc_lo, s1
	v_dual_cndmask_b32 v4, 0, v4 :: v_dual_cndmask_b32 v3, 1.0, v3
	s_or_b32 s1, vcc_lo, s0
	s_xor_b32 s3, s1, -1
	s_delay_alu instid0(SALU_CYCLE_1)
	s_and_saveexec_b32 s1, s3
	s_cbranch_execz .LBB47_133
; %bb.130:
	v_mbcnt_lo_u32_b32 v3, exec_lo, 0
	s_mov_b32 s3, exec_lo
	s_delay_alu instid0(VALU_DEP_1)
	v_cmpx_eq_u32_e32 0, v3
	s_cbranch_execz .LBB47_132
; %bb.131:
	v_dual_mov_b32 v3, 0 :: v_dual_mov_b32 v4, s2
	global_atomic_min_i32 v3, v4, s[10:11]
.LBB47_132:
	s_or_b32 exec_lo, exec_lo, s3
	v_dual_mov_b32 v3, 1.0 :: v_dual_mov_b32 v4, 0
.LBB47_133:
	s_or_b32 exec_lo, exec_lo, s1
	s_delay_alu instid0(SALU_CYCLE_1)
	s_mov_b32 s1, exec_lo
	v_cmpx_lt_u32_e32 4, v7
	s_cbranch_execz .LBB47_135
; %bb.134:
	v_mul_u32_u24_e32 v16, 0x48, v7
	ds_load_2addr_b64 v[10:13], v16 offset0:148 offset1:220
	s_waitcnt lgkmcnt(0)
	v_dual_sub_f32 v11, v11, v13 :: v_dual_sub_f32 v10, v10, v12
	s_delay_alu instid0(VALU_DEP_1) | instskip(SKIP_1) | instid1(VALU_DEP_3)
	v_mul_f32_e32 v12, v4, v11
	v_mul_f32_e32 v5, v4, v4
	v_mul_f32_e64 v4, v4, -v10
	s_delay_alu instid0(VALU_DEP_3) | instskip(NEXT) | instid1(VALU_DEP_3)
	v_fmac_f32_e32 v12, v10, v3
	v_fmac_f32_e32 v5, v3, v3
	s_delay_alu instid0(VALU_DEP_3) | instskip(NEXT) | instid1(VALU_DEP_2)
	v_fmac_f32_e32 v4, v11, v3
	v_div_scale_f32 v14, null, v5, v5, 1.0
	v_div_scale_f32 v18, vcc_lo, 1.0, v5, 1.0
	s_delay_alu instid0(VALU_DEP_2) | instskip(SKIP_2) | instid1(VALU_DEP_1)
	v_rcp_f32_e32 v15, v14
	s_waitcnt_depctr 0xfff
	v_fma_f32 v17, -v14, v15, 1.0
	v_fmac_f32_e32 v15, v17, v15
	s_delay_alu instid0(VALU_DEP_1) | instskip(NEXT) | instid1(VALU_DEP_1)
	v_mul_f32_e32 v17, v18, v15
	v_fma_f32 v19, -v14, v17, v18
	s_delay_alu instid0(VALU_DEP_1) | instskip(NEXT) | instid1(VALU_DEP_1)
	v_fmac_f32_e32 v17, v19, v15
	v_fma_f32 v13, -v14, v17, v18
	s_delay_alu instid0(VALU_DEP_1) | instskip(NEXT) | instid1(VALU_DEP_1)
	v_div_fmas_f32 v13, v13, v15, v17
	v_div_fixup_f32 v5, v13, v5, 1.0
	s_delay_alu instid0(VALU_DEP_1)
	v_mul_f32_e32 v3, v5, v12
	v_mul_f32_e32 v4, v5, v4
	v_mul_u32_u24_e32 v5, 0x48, v6
	ds_store_b64 v16, v[3:4] offset:1184
	s_waitcnt lgkmcnt(0)
	s_waitcnt_vscnt null, 0x0
	buffer_gl0_inv
	ds_load_b64 v[10:11], v5 offset:1184
	ds_load_b64 v[12:13], v9
	s_waitcnt lgkmcnt(0)
	v_fma_f32 v12, v3, v10, v12
	v_fmac_f32_e32 v13, v4, v10
	s_delay_alu instid0(VALU_DEP_2) | instskip(NEXT) | instid1(VALU_DEP_2)
	v_fmac_f32_e32 v12, v4, v11
	v_fma_f32 v13, v3, -v11, v13
	ds_store_b64 v9, v[12:13]
.LBB47_135:
	s_or_b32 exec_lo, exec_lo, s1
	s_delay_alu instid0(SALU_CYCLE_1)
	s_mov_b32 s3, exec_lo
	s_waitcnt lgkmcnt(0)
	s_waitcnt_vscnt null, 0x0
	buffer_gl0_inv
	v_cmpx_eq_u32_e32 5, v7
	s_cbranch_execz .LBB47_143
; %bb.136:
	v_add_nc_u32_e64 v3, 0x400, 0
	v_mov_b32_e32 v5, 0
	ds_load_2addr_b64 v[10:13], v3 offset0:66 offset1:138
	s_waitcnt lgkmcnt(0)
	v_dual_sub_f32 v3, v10, v12 :: v_dual_sub_f32 v10, v11, v13
	s_delay_alu instid0(VALU_DEP_1) | instskip(SKIP_1) | instid1(VALU_DEP_3)
	v_cmp_gt_f32_e32 vcc_lo, 0, v3
	v_cndmask_b32_e64 v3, v3, -v3, vcc_lo
	v_cmp_gt_f32_e32 vcc_lo, 0, v10
	v_cndmask_b32_e64 v4, v10, -v10, vcc_lo
	s_delay_alu instid0(VALU_DEP_1)
	v_cmp_gt_f32_e32 vcc_lo, v3, v4
	s_cbranch_vccnz .LBB47_140
; %bb.137:
	v_cmp_eq_f32_e32 vcc_lo, 0, v10
	s_cbranch_vccnz .LBB47_139
; %bb.138:
	v_div_scale_f32 v5, null, v4, v4, v3
	v_div_scale_f32 v12, vcc_lo, v3, v4, v3
	s_delay_alu instid0(VALU_DEP_2) | instskip(SKIP_2) | instid1(VALU_DEP_1)
	v_rcp_f32_e32 v10, v5
	s_waitcnt_depctr 0xfff
	v_fma_f32 v11, -v5, v10, 1.0
	v_fmac_f32_e32 v10, v11, v10
	s_delay_alu instid0(VALU_DEP_1) | instskip(NEXT) | instid1(VALU_DEP_1)
	v_mul_f32_e32 v11, v12, v10
	v_fma_f32 v13, -v5, v11, v12
	s_delay_alu instid0(VALU_DEP_1) | instskip(NEXT) | instid1(VALU_DEP_1)
	v_fmac_f32_e32 v11, v13, v10
	v_fma_f32 v5, -v5, v11, v12
	s_delay_alu instid0(VALU_DEP_1) | instskip(NEXT) | instid1(VALU_DEP_1)
	v_div_fmas_f32 v5, v5, v10, v11
	v_div_fixup_f32 v5, v5, v4, v3
	s_delay_alu instid0(VALU_DEP_1) | instskip(NEXT) | instid1(VALU_DEP_1)
	v_fma_f32 v5, v5, v5, 1.0
	v_mul_f32_e32 v10, 0x4f800000, v5
	v_cmp_gt_f32_e32 vcc_lo, 0xf800000, v5
	s_delay_alu instid0(VALU_DEP_2) | instskip(NEXT) | instid1(VALU_DEP_1)
	v_cndmask_b32_e32 v5, v5, v10, vcc_lo
	v_sqrt_f32_e32 v10, v5
	s_waitcnt_depctr 0xfff
	v_add_nc_u32_e32 v11, -1, v10
	v_add_nc_u32_e32 v12, 1, v10
	s_delay_alu instid0(VALU_DEP_2) | instskip(NEXT) | instid1(VALU_DEP_2)
	v_fma_f32 v13, -v11, v10, v5
	v_fma_f32 v14, -v12, v10, v5
	s_delay_alu instid0(VALU_DEP_2) | instskip(NEXT) | instid1(VALU_DEP_1)
	v_cmp_ge_f32_e64 s1, 0, v13
	v_cndmask_b32_e64 v10, v10, v11, s1
	s_delay_alu instid0(VALU_DEP_3) | instskip(NEXT) | instid1(VALU_DEP_1)
	v_cmp_lt_f32_e64 s1, 0, v14
	v_cndmask_b32_e64 v10, v10, v12, s1
	s_delay_alu instid0(VALU_DEP_1) | instskip(NEXT) | instid1(VALU_DEP_1)
	v_mul_f32_e32 v11, 0x37800000, v10
	v_cndmask_b32_e32 v10, v10, v11, vcc_lo
	v_cmp_class_f32_e64 vcc_lo, v5, 0x260
	s_delay_alu instid0(VALU_DEP_2) | instskip(NEXT) | instid1(VALU_DEP_1)
	v_cndmask_b32_e32 v5, v10, v5, vcc_lo
	v_mul_f32_e32 v5, v4, v5
.LBB47_139:
	s_cbranch_execz .LBB47_141
	s_branch .LBB47_142
.LBB47_140:
                                        ; implicit-def: $vgpr5
.LBB47_141:
	v_div_scale_f32 v5, null, v3, v3, v4
	v_div_scale_f32 v12, vcc_lo, v4, v3, v4
	s_delay_alu instid0(VALU_DEP_2) | instskip(SKIP_2) | instid1(VALU_DEP_1)
	v_rcp_f32_e32 v10, v5
	s_waitcnt_depctr 0xfff
	v_fma_f32 v11, -v5, v10, 1.0
	v_fmac_f32_e32 v10, v11, v10
	s_delay_alu instid0(VALU_DEP_1) | instskip(NEXT) | instid1(VALU_DEP_1)
	v_mul_f32_e32 v11, v12, v10
	v_fma_f32 v13, -v5, v11, v12
	s_delay_alu instid0(VALU_DEP_1) | instskip(NEXT) | instid1(VALU_DEP_1)
	v_fmac_f32_e32 v11, v13, v10
	v_fma_f32 v5, -v5, v11, v12
	s_delay_alu instid0(VALU_DEP_1) | instskip(NEXT) | instid1(VALU_DEP_1)
	v_div_fmas_f32 v5, v5, v10, v11
	v_div_fixup_f32 v4, v5, v3, v4
	s_delay_alu instid0(VALU_DEP_1) | instskip(NEXT) | instid1(VALU_DEP_1)
	v_fma_f32 v4, v4, v4, 1.0
	v_mul_f32_e32 v5, 0x4f800000, v4
	v_cmp_gt_f32_e32 vcc_lo, 0xf800000, v4
	s_delay_alu instid0(VALU_DEP_2) | instskip(NEXT) | instid1(VALU_DEP_1)
	v_cndmask_b32_e32 v4, v4, v5, vcc_lo
	v_sqrt_f32_e32 v5, v4
	s_waitcnt_depctr 0xfff
	v_add_nc_u32_e32 v10, -1, v5
	v_add_nc_u32_e32 v11, 1, v5
	s_delay_alu instid0(VALU_DEP_2) | instskip(NEXT) | instid1(VALU_DEP_2)
	v_fma_f32 v12, -v10, v5, v4
	v_fma_f32 v13, -v11, v5, v4
	s_delay_alu instid0(VALU_DEP_2) | instskip(NEXT) | instid1(VALU_DEP_1)
	v_cmp_ge_f32_e64 s1, 0, v12
	v_cndmask_b32_e64 v5, v5, v10, s1
	s_delay_alu instid0(VALU_DEP_3) | instskip(NEXT) | instid1(VALU_DEP_1)
	v_cmp_lt_f32_e64 s1, 0, v13
	v_cndmask_b32_e64 v5, v5, v11, s1
	s_delay_alu instid0(VALU_DEP_1) | instskip(NEXT) | instid1(VALU_DEP_1)
	v_mul_f32_e32 v10, 0x37800000, v5
	v_cndmask_b32_e32 v5, v5, v10, vcc_lo
	v_cmp_class_f32_e64 vcc_lo, v4, 0x260
	s_delay_alu instid0(VALU_DEP_2) | instskip(NEXT) | instid1(VALU_DEP_1)
	v_cndmask_b32_e32 v4, v5, v4, vcc_lo
	v_mul_f32_e32 v5, v3, v4
.LBB47_142:
	s_delay_alu instid0(VALU_DEP_1) | instskip(SKIP_1) | instid1(VALU_DEP_2)
	v_mul_f32_e32 v3, 0x4f800000, v5
	v_cmp_gt_f32_e32 vcc_lo, 0xf800000, v5
	v_cndmask_b32_e32 v3, v5, v3, vcc_lo
	s_delay_alu instid0(VALU_DEP_1) | instskip(SKIP_3) | instid1(VALU_DEP_2)
	v_sqrt_f32_e32 v4, v3
	s_waitcnt_depctr 0xfff
	v_add_nc_u32_e32 v5, -1, v4
	v_add_nc_u32_e32 v10, 1, v4
	v_fma_f32 v11, -v5, v4, v3
	s_delay_alu instid0(VALU_DEP_2) | instskip(NEXT) | instid1(VALU_DEP_2)
	v_fma_f32 v12, -v10, v4, v3
	v_cmp_ge_f32_e64 s1, 0, v11
	s_delay_alu instid0(VALU_DEP_1) | instskip(NEXT) | instid1(VALU_DEP_3)
	v_cndmask_b32_e64 v4, v4, v5, s1
	v_cmp_lt_f32_e64 s1, 0, v12
	s_delay_alu instid0(VALU_DEP_1) | instskip(NEXT) | instid1(VALU_DEP_1)
	v_cndmask_b32_e64 v4, v4, v10, s1
	v_mul_f32_e32 v5, 0x37800000, v4
	s_delay_alu instid0(VALU_DEP_1) | instskip(SKIP_1) | instid1(VALU_DEP_2)
	v_cndmask_b32_e32 v4, v4, v5, vcc_lo
	v_cmp_class_f32_e64 vcc_lo, v3, 0x260
	v_dual_cndmask_b32 v3, v4, v3 :: v_dual_mov_b32 v4, 0
	ds_store_b64 v4, v[3:4] offset:1552
.LBB47_143:
	s_or_b32 exec_lo, exec_lo, s3
	v_mov_b32_e32 v3, 0
	s_waitcnt lgkmcnt(0)
	buffer_gl0_inv
	ds_load_b64 v[3:4], v3 offset:1552
	s_waitcnt lgkmcnt(0)
	v_cmp_neq_f32_e32 vcc_lo, 0, v3
	v_cmp_neq_f32_e64 s1, 0, v4
	s_delay_alu instid0(VALU_DEP_1) | instskip(SKIP_2) | instid1(SALU_CYCLE_1)
	s_or_b32 vcc_lo, vcc_lo, s1
	v_dual_cndmask_b32 v4, 0, v4 :: v_dual_cndmask_b32 v3, 1.0, v3
	s_or_b32 s1, vcc_lo, s0
	s_xor_b32 s3, s1, -1
	s_delay_alu instid0(SALU_CYCLE_1)
	s_and_saveexec_b32 s1, s3
	s_cbranch_execz .LBB47_147
; %bb.144:
	v_mbcnt_lo_u32_b32 v3, exec_lo, 0
	s_mov_b32 s3, exec_lo
	s_delay_alu instid0(VALU_DEP_1)
	v_cmpx_eq_u32_e32 0, v3
	s_cbranch_execz .LBB47_146
; %bb.145:
	v_dual_mov_b32 v3, 0 :: v_dual_mov_b32 v4, s2
	global_atomic_min_i32 v3, v4, s[10:11]
.LBB47_146:
	s_or_b32 exec_lo, exec_lo, s3
	v_dual_mov_b32 v3, 1.0 :: v_dual_mov_b32 v4, 0
.LBB47_147:
	s_or_b32 exec_lo, exec_lo, s1
	s_delay_alu instid0(SALU_CYCLE_1)
	s_mov_b32 s1, exec_lo
	v_cmpx_lt_u32_e32 5, v7
	s_cbranch_execz .LBB47_149
; %bb.148:
	v_mul_u32_u24_e32 v16, 0x48, v7
	ds_load_2addr_b64 v[10:13], v16 offset0:149 offset1:221
	s_waitcnt lgkmcnt(0)
	v_dual_sub_f32 v11, v11, v13 :: v_dual_sub_f32 v10, v10, v12
	s_delay_alu instid0(VALU_DEP_1) | instskip(SKIP_1) | instid1(VALU_DEP_3)
	v_mul_f32_e32 v12, v4, v11
	v_mul_f32_e32 v5, v4, v4
	v_mul_f32_e64 v4, v4, -v10
	s_delay_alu instid0(VALU_DEP_3) | instskip(NEXT) | instid1(VALU_DEP_3)
	v_fmac_f32_e32 v12, v10, v3
	v_fmac_f32_e32 v5, v3, v3
	s_delay_alu instid0(VALU_DEP_3) | instskip(NEXT) | instid1(VALU_DEP_2)
	v_fmac_f32_e32 v4, v11, v3
	v_div_scale_f32 v14, null, v5, v5, 1.0
	v_div_scale_f32 v18, vcc_lo, 1.0, v5, 1.0
	s_delay_alu instid0(VALU_DEP_2) | instskip(SKIP_2) | instid1(VALU_DEP_1)
	v_rcp_f32_e32 v15, v14
	s_waitcnt_depctr 0xfff
	v_fma_f32 v17, -v14, v15, 1.0
	v_fmac_f32_e32 v15, v17, v15
	s_delay_alu instid0(VALU_DEP_1) | instskip(NEXT) | instid1(VALU_DEP_1)
	v_mul_f32_e32 v17, v18, v15
	v_fma_f32 v19, -v14, v17, v18
	s_delay_alu instid0(VALU_DEP_1) | instskip(NEXT) | instid1(VALU_DEP_1)
	v_fmac_f32_e32 v17, v19, v15
	v_fma_f32 v13, -v14, v17, v18
	s_delay_alu instid0(VALU_DEP_1) | instskip(NEXT) | instid1(VALU_DEP_1)
	v_div_fmas_f32 v13, v13, v15, v17
	v_div_fixup_f32 v5, v13, v5, 1.0
	s_delay_alu instid0(VALU_DEP_1)
	v_mul_f32_e32 v3, v5, v12
	v_mul_f32_e32 v4, v5, v4
	v_mul_u32_u24_e32 v5, 0x48, v6
	ds_store_b64 v16, v[3:4] offset:1192
	s_waitcnt lgkmcnt(0)
	s_waitcnt_vscnt null, 0x0
	buffer_gl0_inv
	ds_load_b64 v[10:11], v5 offset:1192
	ds_load_b64 v[12:13], v9
	s_waitcnt lgkmcnt(0)
	v_fma_f32 v12, v3, v10, v12
	v_fmac_f32_e32 v13, v4, v10
	s_delay_alu instid0(VALU_DEP_2) | instskip(NEXT) | instid1(VALU_DEP_2)
	v_fmac_f32_e32 v12, v4, v11
	v_fma_f32 v13, v3, -v11, v13
	ds_store_b64 v9, v[12:13]
.LBB47_149:
	s_or_b32 exec_lo, exec_lo, s1
	s_delay_alu instid0(SALU_CYCLE_1)
	s_mov_b32 s3, exec_lo
	s_waitcnt lgkmcnt(0)
	s_waitcnt_vscnt null, 0x0
	buffer_gl0_inv
	v_cmpx_eq_u32_e32 6, v7
	s_cbranch_execz .LBB47_157
; %bb.150:
	v_add_nc_u32_e64 v3, 0x400, 0
	v_mov_b32_e32 v5, 0
	ds_load_2addr_b64 v[10:13], v3 offset0:76 offset1:148
	s_waitcnt lgkmcnt(0)
	v_dual_sub_f32 v3, v10, v12 :: v_dual_sub_f32 v10, v11, v13
	s_delay_alu instid0(VALU_DEP_1) | instskip(SKIP_1) | instid1(VALU_DEP_3)
	v_cmp_gt_f32_e32 vcc_lo, 0, v3
	v_cndmask_b32_e64 v3, v3, -v3, vcc_lo
	v_cmp_gt_f32_e32 vcc_lo, 0, v10
	v_cndmask_b32_e64 v4, v10, -v10, vcc_lo
	s_delay_alu instid0(VALU_DEP_1)
	v_cmp_gt_f32_e32 vcc_lo, v3, v4
	s_cbranch_vccnz .LBB47_154
; %bb.151:
	v_cmp_eq_f32_e32 vcc_lo, 0, v10
	s_cbranch_vccnz .LBB47_153
; %bb.152:
	v_div_scale_f32 v5, null, v4, v4, v3
	v_div_scale_f32 v12, vcc_lo, v3, v4, v3
	s_delay_alu instid0(VALU_DEP_2) | instskip(SKIP_2) | instid1(VALU_DEP_1)
	v_rcp_f32_e32 v10, v5
	s_waitcnt_depctr 0xfff
	v_fma_f32 v11, -v5, v10, 1.0
	v_fmac_f32_e32 v10, v11, v10
	s_delay_alu instid0(VALU_DEP_1) | instskip(NEXT) | instid1(VALU_DEP_1)
	v_mul_f32_e32 v11, v12, v10
	v_fma_f32 v13, -v5, v11, v12
	s_delay_alu instid0(VALU_DEP_1) | instskip(NEXT) | instid1(VALU_DEP_1)
	v_fmac_f32_e32 v11, v13, v10
	v_fma_f32 v5, -v5, v11, v12
	s_delay_alu instid0(VALU_DEP_1) | instskip(NEXT) | instid1(VALU_DEP_1)
	v_div_fmas_f32 v5, v5, v10, v11
	v_div_fixup_f32 v5, v5, v4, v3
	s_delay_alu instid0(VALU_DEP_1) | instskip(NEXT) | instid1(VALU_DEP_1)
	v_fma_f32 v5, v5, v5, 1.0
	v_mul_f32_e32 v10, 0x4f800000, v5
	v_cmp_gt_f32_e32 vcc_lo, 0xf800000, v5
	s_delay_alu instid0(VALU_DEP_2) | instskip(NEXT) | instid1(VALU_DEP_1)
	v_cndmask_b32_e32 v5, v5, v10, vcc_lo
	v_sqrt_f32_e32 v10, v5
	s_waitcnt_depctr 0xfff
	v_add_nc_u32_e32 v11, -1, v10
	v_add_nc_u32_e32 v12, 1, v10
	s_delay_alu instid0(VALU_DEP_2) | instskip(NEXT) | instid1(VALU_DEP_2)
	v_fma_f32 v13, -v11, v10, v5
	v_fma_f32 v14, -v12, v10, v5
	s_delay_alu instid0(VALU_DEP_2) | instskip(NEXT) | instid1(VALU_DEP_1)
	v_cmp_ge_f32_e64 s1, 0, v13
	v_cndmask_b32_e64 v10, v10, v11, s1
	s_delay_alu instid0(VALU_DEP_3) | instskip(NEXT) | instid1(VALU_DEP_1)
	v_cmp_lt_f32_e64 s1, 0, v14
	v_cndmask_b32_e64 v10, v10, v12, s1
	s_delay_alu instid0(VALU_DEP_1) | instskip(NEXT) | instid1(VALU_DEP_1)
	v_mul_f32_e32 v11, 0x37800000, v10
	v_cndmask_b32_e32 v10, v10, v11, vcc_lo
	v_cmp_class_f32_e64 vcc_lo, v5, 0x260
	s_delay_alu instid0(VALU_DEP_2) | instskip(NEXT) | instid1(VALU_DEP_1)
	v_cndmask_b32_e32 v5, v10, v5, vcc_lo
	v_mul_f32_e32 v5, v4, v5
.LBB47_153:
	s_cbranch_execz .LBB47_155
	s_branch .LBB47_156
.LBB47_154:
                                        ; implicit-def: $vgpr5
.LBB47_155:
	v_div_scale_f32 v5, null, v3, v3, v4
	v_div_scale_f32 v12, vcc_lo, v4, v3, v4
	s_delay_alu instid0(VALU_DEP_2) | instskip(SKIP_2) | instid1(VALU_DEP_1)
	v_rcp_f32_e32 v10, v5
	s_waitcnt_depctr 0xfff
	v_fma_f32 v11, -v5, v10, 1.0
	v_fmac_f32_e32 v10, v11, v10
	s_delay_alu instid0(VALU_DEP_1) | instskip(NEXT) | instid1(VALU_DEP_1)
	v_mul_f32_e32 v11, v12, v10
	v_fma_f32 v13, -v5, v11, v12
	s_delay_alu instid0(VALU_DEP_1) | instskip(NEXT) | instid1(VALU_DEP_1)
	v_fmac_f32_e32 v11, v13, v10
	v_fma_f32 v5, -v5, v11, v12
	s_delay_alu instid0(VALU_DEP_1) | instskip(NEXT) | instid1(VALU_DEP_1)
	v_div_fmas_f32 v5, v5, v10, v11
	v_div_fixup_f32 v4, v5, v3, v4
	s_delay_alu instid0(VALU_DEP_1) | instskip(NEXT) | instid1(VALU_DEP_1)
	v_fma_f32 v4, v4, v4, 1.0
	v_mul_f32_e32 v5, 0x4f800000, v4
	v_cmp_gt_f32_e32 vcc_lo, 0xf800000, v4
	s_delay_alu instid0(VALU_DEP_2) | instskip(NEXT) | instid1(VALU_DEP_1)
	v_cndmask_b32_e32 v4, v4, v5, vcc_lo
	v_sqrt_f32_e32 v5, v4
	s_waitcnt_depctr 0xfff
	v_add_nc_u32_e32 v10, -1, v5
	v_add_nc_u32_e32 v11, 1, v5
	s_delay_alu instid0(VALU_DEP_2) | instskip(NEXT) | instid1(VALU_DEP_2)
	v_fma_f32 v12, -v10, v5, v4
	v_fma_f32 v13, -v11, v5, v4
	s_delay_alu instid0(VALU_DEP_2) | instskip(NEXT) | instid1(VALU_DEP_1)
	v_cmp_ge_f32_e64 s1, 0, v12
	v_cndmask_b32_e64 v5, v5, v10, s1
	s_delay_alu instid0(VALU_DEP_3) | instskip(NEXT) | instid1(VALU_DEP_1)
	v_cmp_lt_f32_e64 s1, 0, v13
	v_cndmask_b32_e64 v5, v5, v11, s1
	s_delay_alu instid0(VALU_DEP_1) | instskip(NEXT) | instid1(VALU_DEP_1)
	v_mul_f32_e32 v10, 0x37800000, v5
	v_cndmask_b32_e32 v5, v5, v10, vcc_lo
	v_cmp_class_f32_e64 vcc_lo, v4, 0x260
	s_delay_alu instid0(VALU_DEP_2) | instskip(NEXT) | instid1(VALU_DEP_1)
	v_cndmask_b32_e32 v4, v5, v4, vcc_lo
	v_mul_f32_e32 v5, v3, v4
.LBB47_156:
	s_delay_alu instid0(VALU_DEP_1) | instskip(SKIP_1) | instid1(VALU_DEP_2)
	v_mul_f32_e32 v3, 0x4f800000, v5
	v_cmp_gt_f32_e32 vcc_lo, 0xf800000, v5
	v_cndmask_b32_e32 v3, v5, v3, vcc_lo
	s_delay_alu instid0(VALU_DEP_1) | instskip(SKIP_3) | instid1(VALU_DEP_2)
	v_sqrt_f32_e32 v4, v3
	s_waitcnt_depctr 0xfff
	v_add_nc_u32_e32 v5, -1, v4
	v_add_nc_u32_e32 v10, 1, v4
	v_fma_f32 v11, -v5, v4, v3
	s_delay_alu instid0(VALU_DEP_2) | instskip(NEXT) | instid1(VALU_DEP_2)
	v_fma_f32 v12, -v10, v4, v3
	v_cmp_ge_f32_e64 s1, 0, v11
	s_delay_alu instid0(VALU_DEP_1) | instskip(NEXT) | instid1(VALU_DEP_3)
	v_cndmask_b32_e64 v4, v4, v5, s1
	v_cmp_lt_f32_e64 s1, 0, v12
	s_delay_alu instid0(VALU_DEP_1) | instskip(NEXT) | instid1(VALU_DEP_1)
	v_cndmask_b32_e64 v4, v4, v10, s1
	v_mul_f32_e32 v5, 0x37800000, v4
	s_delay_alu instid0(VALU_DEP_1) | instskip(SKIP_1) | instid1(VALU_DEP_2)
	v_cndmask_b32_e32 v4, v4, v5, vcc_lo
	v_cmp_class_f32_e64 vcc_lo, v3, 0x260
	v_dual_cndmask_b32 v3, v4, v3 :: v_dual_mov_b32 v4, 0
	ds_store_b64 v4, v[3:4] offset:1632
.LBB47_157:
	s_or_b32 exec_lo, exec_lo, s3
	v_mov_b32_e32 v3, 0
	s_waitcnt lgkmcnt(0)
	buffer_gl0_inv
	ds_load_b64 v[3:4], v3 offset:1632
	s_waitcnt lgkmcnt(0)
	v_cmp_neq_f32_e32 vcc_lo, 0, v3
	v_cmp_neq_f32_e64 s1, 0, v4
	s_delay_alu instid0(VALU_DEP_1) | instskip(SKIP_2) | instid1(SALU_CYCLE_1)
	s_or_b32 vcc_lo, vcc_lo, s1
	v_dual_cndmask_b32 v4, 0, v4 :: v_dual_cndmask_b32 v3, 1.0, v3
	s_or_b32 s1, vcc_lo, s0
	s_xor_b32 s3, s1, -1
	s_delay_alu instid0(SALU_CYCLE_1)
	s_and_saveexec_b32 s1, s3
	s_cbranch_execz .LBB47_161
; %bb.158:
	v_mbcnt_lo_u32_b32 v3, exec_lo, 0
	s_mov_b32 s3, exec_lo
	s_delay_alu instid0(VALU_DEP_1)
	v_cmpx_eq_u32_e32 0, v3
	s_cbranch_execz .LBB47_160
; %bb.159:
	v_dual_mov_b32 v3, 0 :: v_dual_mov_b32 v4, s2
	global_atomic_min_i32 v3, v4, s[10:11]
.LBB47_160:
	s_or_b32 exec_lo, exec_lo, s3
	v_dual_mov_b32 v3, 1.0 :: v_dual_mov_b32 v4, 0
.LBB47_161:
	s_or_b32 exec_lo, exec_lo, s1
	s_delay_alu instid0(SALU_CYCLE_1)
	s_mov_b32 s1, exec_lo
	v_cmpx_lt_u32_e32 6, v7
	s_cbranch_execz .LBB47_163
; %bb.162:
	v_mul_u32_u24_e32 v16, 0x48, v7
	ds_load_2addr_b64 v[10:13], v16 offset0:150 offset1:222
	s_waitcnt lgkmcnt(0)
	v_dual_sub_f32 v11, v11, v13 :: v_dual_sub_f32 v10, v10, v12
	s_delay_alu instid0(VALU_DEP_1) | instskip(SKIP_1) | instid1(VALU_DEP_3)
	v_mul_f32_e32 v12, v4, v11
	v_mul_f32_e32 v5, v4, v4
	v_mul_f32_e64 v4, v4, -v10
	s_delay_alu instid0(VALU_DEP_3) | instskip(NEXT) | instid1(VALU_DEP_3)
	v_fmac_f32_e32 v12, v10, v3
	v_fmac_f32_e32 v5, v3, v3
	s_delay_alu instid0(VALU_DEP_3) | instskip(NEXT) | instid1(VALU_DEP_2)
	v_fmac_f32_e32 v4, v11, v3
	v_div_scale_f32 v14, null, v5, v5, 1.0
	v_div_scale_f32 v18, vcc_lo, 1.0, v5, 1.0
	s_delay_alu instid0(VALU_DEP_2) | instskip(SKIP_2) | instid1(VALU_DEP_1)
	v_rcp_f32_e32 v15, v14
	s_waitcnt_depctr 0xfff
	v_fma_f32 v17, -v14, v15, 1.0
	v_fmac_f32_e32 v15, v17, v15
	s_delay_alu instid0(VALU_DEP_1) | instskip(NEXT) | instid1(VALU_DEP_1)
	v_mul_f32_e32 v17, v18, v15
	v_fma_f32 v19, -v14, v17, v18
	s_delay_alu instid0(VALU_DEP_1) | instskip(NEXT) | instid1(VALU_DEP_1)
	v_fmac_f32_e32 v17, v19, v15
	v_fma_f32 v13, -v14, v17, v18
	s_delay_alu instid0(VALU_DEP_1) | instskip(NEXT) | instid1(VALU_DEP_1)
	v_div_fmas_f32 v13, v13, v15, v17
	v_div_fixup_f32 v5, v13, v5, 1.0
	s_delay_alu instid0(VALU_DEP_1)
	v_mul_f32_e32 v3, v5, v12
	v_mul_f32_e32 v4, v5, v4
	v_mul_u32_u24_e32 v5, 0x48, v6
	ds_store_b64 v16, v[3:4] offset:1200
	s_waitcnt lgkmcnt(0)
	s_waitcnt_vscnt null, 0x0
	buffer_gl0_inv
	ds_load_b64 v[10:11], v5 offset:1200
	ds_load_b64 v[12:13], v9
	s_waitcnt lgkmcnt(0)
	v_fma_f32 v12, v3, v10, v12
	v_fmac_f32_e32 v13, v4, v10
	s_delay_alu instid0(VALU_DEP_2) | instskip(NEXT) | instid1(VALU_DEP_2)
	v_fmac_f32_e32 v12, v4, v11
	v_fma_f32 v13, v3, -v11, v13
	ds_store_b64 v9, v[12:13]
.LBB47_163:
	s_or_b32 exec_lo, exec_lo, s1
	s_delay_alu instid0(SALU_CYCLE_1)
	s_mov_b32 s3, exec_lo
	s_waitcnt lgkmcnt(0)
	s_waitcnt_vscnt null, 0x0
	buffer_gl0_inv
	v_cmpx_eq_u32_e32 7, v7
	s_cbranch_execz .LBB47_171
; %bb.164:
	v_add_nc_u32_e64 v3, 0x400, 0
	v_mov_b32_e32 v5, 0
	ds_load_2addr_b64 v[10:13], v3 offset0:86 offset1:158
	s_waitcnt lgkmcnt(0)
	v_dual_sub_f32 v3, v10, v12 :: v_dual_sub_f32 v10, v11, v13
	s_delay_alu instid0(VALU_DEP_1) | instskip(SKIP_1) | instid1(VALU_DEP_3)
	v_cmp_gt_f32_e32 vcc_lo, 0, v3
	v_cndmask_b32_e64 v3, v3, -v3, vcc_lo
	v_cmp_gt_f32_e32 vcc_lo, 0, v10
	v_cndmask_b32_e64 v4, v10, -v10, vcc_lo
	s_delay_alu instid0(VALU_DEP_1)
	v_cmp_gt_f32_e32 vcc_lo, v3, v4
	s_cbranch_vccnz .LBB47_168
; %bb.165:
	v_cmp_eq_f32_e32 vcc_lo, 0, v10
	s_cbranch_vccnz .LBB47_167
; %bb.166:
	v_div_scale_f32 v5, null, v4, v4, v3
	v_div_scale_f32 v12, vcc_lo, v3, v4, v3
	s_delay_alu instid0(VALU_DEP_2) | instskip(SKIP_2) | instid1(VALU_DEP_1)
	v_rcp_f32_e32 v10, v5
	s_waitcnt_depctr 0xfff
	v_fma_f32 v11, -v5, v10, 1.0
	v_fmac_f32_e32 v10, v11, v10
	s_delay_alu instid0(VALU_DEP_1) | instskip(NEXT) | instid1(VALU_DEP_1)
	v_mul_f32_e32 v11, v12, v10
	v_fma_f32 v13, -v5, v11, v12
	s_delay_alu instid0(VALU_DEP_1) | instskip(NEXT) | instid1(VALU_DEP_1)
	v_fmac_f32_e32 v11, v13, v10
	v_fma_f32 v5, -v5, v11, v12
	s_delay_alu instid0(VALU_DEP_1) | instskip(NEXT) | instid1(VALU_DEP_1)
	v_div_fmas_f32 v5, v5, v10, v11
	v_div_fixup_f32 v5, v5, v4, v3
	s_delay_alu instid0(VALU_DEP_1) | instskip(NEXT) | instid1(VALU_DEP_1)
	v_fma_f32 v5, v5, v5, 1.0
	v_mul_f32_e32 v10, 0x4f800000, v5
	v_cmp_gt_f32_e32 vcc_lo, 0xf800000, v5
	s_delay_alu instid0(VALU_DEP_2) | instskip(NEXT) | instid1(VALU_DEP_1)
	v_cndmask_b32_e32 v5, v5, v10, vcc_lo
	v_sqrt_f32_e32 v10, v5
	s_waitcnt_depctr 0xfff
	v_add_nc_u32_e32 v11, -1, v10
	v_add_nc_u32_e32 v12, 1, v10
	s_delay_alu instid0(VALU_DEP_2) | instskip(NEXT) | instid1(VALU_DEP_2)
	v_fma_f32 v13, -v11, v10, v5
	v_fma_f32 v14, -v12, v10, v5
	s_delay_alu instid0(VALU_DEP_2) | instskip(NEXT) | instid1(VALU_DEP_1)
	v_cmp_ge_f32_e64 s1, 0, v13
	v_cndmask_b32_e64 v10, v10, v11, s1
	s_delay_alu instid0(VALU_DEP_3) | instskip(NEXT) | instid1(VALU_DEP_1)
	v_cmp_lt_f32_e64 s1, 0, v14
	v_cndmask_b32_e64 v10, v10, v12, s1
	s_delay_alu instid0(VALU_DEP_1) | instskip(NEXT) | instid1(VALU_DEP_1)
	v_mul_f32_e32 v11, 0x37800000, v10
	v_cndmask_b32_e32 v10, v10, v11, vcc_lo
	v_cmp_class_f32_e64 vcc_lo, v5, 0x260
	s_delay_alu instid0(VALU_DEP_2) | instskip(NEXT) | instid1(VALU_DEP_1)
	v_cndmask_b32_e32 v5, v10, v5, vcc_lo
	v_mul_f32_e32 v5, v4, v5
.LBB47_167:
	s_cbranch_execz .LBB47_169
	s_branch .LBB47_170
.LBB47_168:
                                        ; implicit-def: $vgpr5
.LBB47_169:
	v_div_scale_f32 v5, null, v3, v3, v4
	v_div_scale_f32 v12, vcc_lo, v4, v3, v4
	s_delay_alu instid0(VALU_DEP_2) | instskip(SKIP_2) | instid1(VALU_DEP_1)
	v_rcp_f32_e32 v10, v5
	s_waitcnt_depctr 0xfff
	v_fma_f32 v11, -v5, v10, 1.0
	v_fmac_f32_e32 v10, v11, v10
	s_delay_alu instid0(VALU_DEP_1) | instskip(NEXT) | instid1(VALU_DEP_1)
	v_mul_f32_e32 v11, v12, v10
	v_fma_f32 v13, -v5, v11, v12
	s_delay_alu instid0(VALU_DEP_1) | instskip(NEXT) | instid1(VALU_DEP_1)
	v_fmac_f32_e32 v11, v13, v10
	v_fma_f32 v5, -v5, v11, v12
	s_delay_alu instid0(VALU_DEP_1) | instskip(NEXT) | instid1(VALU_DEP_1)
	v_div_fmas_f32 v5, v5, v10, v11
	v_div_fixup_f32 v4, v5, v3, v4
	s_delay_alu instid0(VALU_DEP_1) | instskip(NEXT) | instid1(VALU_DEP_1)
	v_fma_f32 v4, v4, v4, 1.0
	v_mul_f32_e32 v5, 0x4f800000, v4
	v_cmp_gt_f32_e32 vcc_lo, 0xf800000, v4
	s_delay_alu instid0(VALU_DEP_2) | instskip(NEXT) | instid1(VALU_DEP_1)
	v_cndmask_b32_e32 v4, v4, v5, vcc_lo
	v_sqrt_f32_e32 v5, v4
	s_waitcnt_depctr 0xfff
	v_add_nc_u32_e32 v10, -1, v5
	v_add_nc_u32_e32 v11, 1, v5
	s_delay_alu instid0(VALU_DEP_2) | instskip(NEXT) | instid1(VALU_DEP_2)
	v_fma_f32 v12, -v10, v5, v4
	v_fma_f32 v13, -v11, v5, v4
	s_delay_alu instid0(VALU_DEP_2) | instskip(NEXT) | instid1(VALU_DEP_1)
	v_cmp_ge_f32_e64 s1, 0, v12
	v_cndmask_b32_e64 v5, v5, v10, s1
	s_delay_alu instid0(VALU_DEP_3) | instskip(NEXT) | instid1(VALU_DEP_1)
	v_cmp_lt_f32_e64 s1, 0, v13
	v_cndmask_b32_e64 v5, v5, v11, s1
	s_delay_alu instid0(VALU_DEP_1) | instskip(NEXT) | instid1(VALU_DEP_1)
	v_mul_f32_e32 v10, 0x37800000, v5
	v_cndmask_b32_e32 v5, v5, v10, vcc_lo
	v_cmp_class_f32_e64 vcc_lo, v4, 0x260
	s_delay_alu instid0(VALU_DEP_2) | instskip(NEXT) | instid1(VALU_DEP_1)
	v_cndmask_b32_e32 v4, v5, v4, vcc_lo
	v_mul_f32_e32 v5, v3, v4
.LBB47_170:
	s_delay_alu instid0(VALU_DEP_1) | instskip(SKIP_1) | instid1(VALU_DEP_2)
	v_mul_f32_e32 v3, 0x4f800000, v5
	v_cmp_gt_f32_e32 vcc_lo, 0xf800000, v5
	v_cndmask_b32_e32 v3, v5, v3, vcc_lo
	s_delay_alu instid0(VALU_DEP_1) | instskip(SKIP_3) | instid1(VALU_DEP_2)
	v_sqrt_f32_e32 v4, v3
	s_waitcnt_depctr 0xfff
	v_add_nc_u32_e32 v5, -1, v4
	v_add_nc_u32_e32 v10, 1, v4
	v_fma_f32 v11, -v5, v4, v3
	s_delay_alu instid0(VALU_DEP_2) | instskip(NEXT) | instid1(VALU_DEP_2)
	v_fma_f32 v12, -v10, v4, v3
	v_cmp_ge_f32_e64 s1, 0, v11
	s_delay_alu instid0(VALU_DEP_1) | instskip(NEXT) | instid1(VALU_DEP_3)
	v_cndmask_b32_e64 v4, v4, v5, s1
	v_cmp_lt_f32_e64 s1, 0, v12
	s_delay_alu instid0(VALU_DEP_1) | instskip(NEXT) | instid1(VALU_DEP_1)
	v_cndmask_b32_e64 v4, v4, v10, s1
	v_mul_f32_e32 v5, 0x37800000, v4
	s_delay_alu instid0(VALU_DEP_1) | instskip(SKIP_1) | instid1(VALU_DEP_2)
	v_cndmask_b32_e32 v4, v4, v5, vcc_lo
	v_cmp_class_f32_e64 vcc_lo, v3, 0x260
	v_dual_cndmask_b32 v3, v4, v3 :: v_dual_mov_b32 v4, 0
	ds_store_b64 v4, v[3:4] offset:1712
.LBB47_171:
	s_or_b32 exec_lo, exec_lo, s3
	v_mov_b32_e32 v3, 0
	s_waitcnt lgkmcnt(0)
	buffer_gl0_inv
	ds_load_b64 v[3:4], v3 offset:1712
	s_waitcnt lgkmcnt(0)
	v_cmp_neq_f32_e32 vcc_lo, 0, v3
	v_cmp_neq_f32_e64 s1, 0, v4
	s_delay_alu instid0(VALU_DEP_1) | instskip(SKIP_2) | instid1(SALU_CYCLE_1)
	s_or_b32 vcc_lo, vcc_lo, s1
	v_dual_cndmask_b32 v4, 0, v4 :: v_dual_cndmask_b32 v3, 1.0, v3
	s_or_b32 s0, vcc_lo, s0
	s_xor_b32 s1, s0, -1
	s_delay_alu instid0(SALU_CYCLE_1)
	s_and_saveexec_b32 s0, s1
	s_cbranch_execz .LBB47_175
; %bb.172:
	v_mbcnt_lo_u32_b32 v3, exec_lo, 0
	s_mov_b32 s1, exec_lo
	s_delay_alu instid0(VALU_DEP_1)
	v_cmpx_eq_u32_e32 0, v3
	s_cbranch_execz .LBB47_174
; %bb.173:
	v_dual_mov_b32 v3, 0 :: v_dual_mov_b32 v4, s2
	global_atomic_min_i32 v3, v4, s[10:11]
.LBB47_174:
	s_or_b32 exec_lo, exec_lo, s1
	v_dual_mov_b32 v3, 1.0 :: v_dual_mov_b32 v4, 0
.LBB47_175:
	s_or_b32 exec_lo, exec_lo, s0
	s_delay_alu instid0(SALU_CYCLE_1)
	s_mov_b32 s0, exec_lo
	v_cmpx_lt_u32_e32 7, v7
	s_cbranch_execz .LBB47_177
; %bb.176:
	v_mul_u32_u24_e32 v16, 0x48, v7
	ds_load_2addr_b64 v[10:13], v16 offset0:151 offset1:223
	s_waitcnt lgkmcnt(0)
	v_dual_sub_f32 v11, v11, v13 :: v_dual_sub_f32 v10, v10, v12
	s_delay_alu instid0(VALU_DEP_1) | instskip(SKIP_1) | instid1(VALU_DEP_3)
	v_mul_f32_e32 v12, v4, v11
	v_mul_f32_e32 v5, v4, v4
	v_mul_f32_e64 v4, v4, -v10
	s_delay_alu instid0(VALU_DEP_3) | instskip(NEXT) | instid1(VALU_DEP_3)
	v_fmac_f32_e32 v12, v10, v3
	v_fmac_f32_e32 v5, v3, v3
	s_delay_alu instid0(VALU_DEP_3) | instskip(NEXT) | instid1(VALU_DEP_2)
	v_fmac_f32_e32 v4, v11, v3
	v_div_scale_f32 v14, null, v5, v5, 1.0
	v_div_scale_f32 v18, vcc_lo, 1.0, v5, 1.0
	s_delay_alu instid0(VALU_DEP_2) | instskip(SKIP_2) | instid1(VALU_DEP_1)
	v_rcp_f32_e32 v15, v14
	s_waitcnt_depctr 0xfff
	v_fma_f32 v17, -v14, v15, 1.0
	v_fmac_f32_e32 v15, v17, v15
	s_delay_alu instid0(VALU_DEP_1) | instskip(NEXT) | instid1(VALU_DEP_1)
	v_mul_f32_e32 v17, v18, v15
	v_fma_f32 v19, -v14, v17, v18
	s_delay_alu instid0(VALU_DEP_1) | instskip(NEXT) | instid1(VALU_DEP_1)
	v_fmac_f32_e32 v17, v19, v15
	v_fma_f32 v13, -v14, v17, v18
	s_delay_alu instid0(VALU_DEP_1) | instskip(NEXT) | instid1(VALU_DEP_1)
	v_div_fmas_f32 v13, v13, v15, v17
	v_div_fixup_f32 v5, v13, v5, 1.0
	s_delay_alu instid0(VALU_DEP_1)
	v_mul_f32_e32 v3, v5, v12
	v_mul_f32_e32 v4, v5, v4
	v_mul_u32_u24_e32 v5, 0x48, v6
	ds_store_b64 v16, v[3:4] offset:1208
	s_waitcnt lgkmcnt(0)
	s_waitcnt_vscnt null, 0x0
	buffer_gl0_inv
	ds_load_b64 v[10:11], v5 offset:1208
	ds_load_b64 v[12:13], v9
	s_waitcnt lgkmcnt(0)
	v_fma_f32 v12, v3, v10, v12
	v_fmac_f32_e32 v13, v4, v10
	s_delay_alu instid0(VALU_DEP_2) | instskip(NEXT) | instid1(VALU_DEP_2)
	v_fmac_f32_e32 v12, v4, v11
	v_fma_f32 v13, v3, -v11, v13
	ds_store_b64 v9, v[12:13]
.LBB47_177:
	s_or_b32 exec_lo, exec_lo, s0
	s_waitcnt lgkmcnt(0)
	s_waitcnt_vscnt null, 0x0
	buffer_gl0_inv
	ds_load_b64 v[2:3], v2
	v_cmp_eq_u32_e64 s3, 0, v8
	s_waitcnt lgkmcnt(0)
	global_store_b64 v[0:1], v[2:3], off
	s_branch .LBB47_183
.LBB47_178:
	v_or_b32_e32 v0, v6, v7
	s_mov_b32 s0, exec_lo
	s_delay_alu instid0(VALU_DEP_1)
	v_cmpx_eq_u32_e32 0, v0
	s_cbranch_execz .LBB47_182
; %bb.179:
	v_mbcnt_lo_u32_b32 v0, exec_lo, 0
	s_mov_b32 s1, exec_lo
	s_delay_alu instid0(VALU_DEP_1)
	v_cmpx_eq_u32_e32 0, v0
	s_cbranch_execz .LBB47_181
; %bb.180:
	s_add_i32 s2, s16, s17
	s_delay_alu instid0(SALU_CYCLE_1)
	v_dual_mov_b32 v0, 0 :: v_dual_mov_b32 v1, s2
	global_atomic_min_i32 v0, v1, s[10:11]
.LBB47_181:
	s_or_b32 exec_lo, exec_lo, s1
	s_delay_alu instid0(SALU_CYCLE_1)
	s_or_b32 s3, s3, exec_lo
.LBB47_182:
	s_or_b32 exec_lo, exec_lo, s0
.LBB47_183:
	s_and_saveexec_b32 s0, s3
	s_cbranch_execnz .LBB47_185
; %bb.184:
	s_nop 0
	s_sendmsg sendmsg(MSG_DEALLOC_VGPRS)
	s_endpgm
.LBB47_185:
	v_dual_mov_b32 v0, 0 :: v_dual_mov_b32 v1, 1
	s_add_u32 s0, s6, s8
	s_addc_u32 s1, s7, s9
	s_waitcnt_vscnt null, 0x0
	global_store_b32 v0, v1, s[0:1]
	s_nop 0
	s_sendmsg sendmsg(MSG_DEALLOC_VGPRS)
	s_endpgm
	.section	.rodata,"a",@progbits
	.p2align	6, 0x0
	.amdhsa_kernel _ZN9rocsparseL26bsric0_2_8_unrolled_kernelILi64ELi32ELi8E21rocsparse_complex_numIfEEEv20rocsparse_direction_iiPKiS5_PT2_S5_PiS5_S8_21rocsparse_index_base_
		.amdhsa_group_segment_fixed_size 2688
		.amdhsa_private_segment_fixed_size 0
		.amdhsa_kernarg_size 76
		.amdhsa_user_sgpr_count 15
		.amdhsa_user_sgpr_dispatch_ptr 0
		.amdhsa_user_sgpr_queue_ptr 0
		.amdhsa_user_sgpr_kernarg_segment_ptr 1
		.amdhsa_user_sgpr_dispatch_id 0
		.amdhsa_user_sgpr_private_segment_size 0
		.amdhsa_wavefront_size32 1
		.amdhsa_uses_dynamic_stack 0
		.amdhsa_enable_private_segment 0
		.amdhsa_system_sgpr_workgroup_id_x 1
		.amdhsa_system_sgpr_workgroup_id_y 0
		.amdhsa_system_sgpr_workgroup_id_z 0
		.amdhsa_system_sgpr_workgroup_info 0
		.amdhsa_system_vgpr_workitem_id 1
		.amdhsa_next_free_vgpr 58
		.amdhsa_next_free_sgpr 37
		.amdhsa_reserve_vcc 1
		.amdhsa_float_round_mode_32 0
		.amdhsa_float_round_mode_16_64 0
		.amdhsa_float_denorm_mode_32 3
		.amdhsa_float_denorm_mode_16_64 3
		.amdhsa_dx10_clamp 1
		.amdhsa_ieee_mode 1
		.amdhsa_fp16_overflow 0
		.amdhsa_workgroup_processor_mode 1
		.amdhsa_memory_ordered 1
		.amdhsa_forward_progress 0
		.amdhsa_shared_vgpr_count 0
		.amdhsa_exception_fp_ieee_invalid_op 0
		.amdhsa_exception_fp_denorm_src 0
		.amdhsa_exception_fp_ieee_div_zero 0
		.amdhsa_exception_fp_ieee_overflow 0
		.amdhsa_exception_fp_ieee_underflow 0
		.amdhsa_exception_fp_ieee_inexact 0
		.amdhsa_exception_int_div_zero 0
	.end_amdhsa_kernel
	.section	.text._ZN9rocsparseL26bsric0_2_8_unrolled_kernelILi64ELi32ELi8E21rocsparse_complex_numIfEEEv20rocsparse_direction_iiPKiS5_PT2_S5_PiS5_S8_21rocsparse_index_base_,"axG",@progbits,_ZN9rocsparseL26bsric0_2_8_unrolled_kernelILi64ELi32ELi8E21rocsparse_complex_numIfEEEv20rocsparse_direction_iiPKiS5_PT2_S5_PiS5_S8_21rocsparse_index_base_,comdat
.Lfunc_end47:
	.size	_ZN9rocsparseL26bsric0_2_8_unrolled_kernelILi64ELi32ELi8E21rocsparse_complex_numIfEEEv20rocsparse_direction_iiPKiS5_PT2_S5_PiS5_S8_21rocsparse_index_base_, .Lfunc_end47-_ZN9rocsparseL26bsric0_2_8_unrolled_kernelILi64ELi32ELi8E21rocsparse_complex_numIfEEEv20rocsparse_direction_iiPKiS5_PT2_S5_PiS5_S8_21rocsparse_index_base_
                                        ; -- End function
	.section	.AMDGPU.csdata,"",@progbits
; Kernel info:
; codeLenInByte = 16304
; NumSgprs: 39
; NumVgprs: 58
; ScratchSize: 0
; MemoryBound: 0
; FloatMode: 240
; IeeeMode: 1
; LDSByteSize: 2688 bytes/workgroup (compile time only)
; SGPRBlocks: 4
; VGPRBlocks: 7
; NumSGPRsForWavesPerEU: 39
; NumVGPRsForWavesPerEU: 58
; Occupancy: 16
; WaveLimiterHint : 1
; COMPUTE_PGM_RSRC2:SCRATCH_EN: 0
; COMPUTE_PGM_RSRC2:USER_SGPR: 15
; COMPUTE_PGM_RSRC2:TRAP_HANDLER: 0
; COMPUTE_PGM_RSRC2:TGID_X_EN: 1
; COMPUTE_PGM_RSRC2:TGID_Y_EN: 0
; COMPUTE_PGM_RSRC2:TGID_Z_EN: 0
; COMPUTE_PGM_RSRC2:TIDIG_COMP_CNT: 1
	.section	.text._ZN9rocsparseL18bsric0_9_16_kernelILi64ELi32ELi16E21rocsparse_complex_numIfEEEv20rocsparse_direction_iiPKiS5_PT2_S5_PiS5_S8_21rocsparse_index_base_,"axG",@progbits,_ZN9rocsparseL18bsric0_9_16_kernelILi64ELi32ELi16E21rocsparse_complex_numIfEEEv20rocsparse_direction_iiPKiS5_PT2_S5_PiS5_S8_21rocsparse_index_base_,comdat
	.globl	_ZN9rocsparseL18bsric0_9_16_kernelILi64ELi32ELi16E21rocsparse_complex_numIfEEEv20rocsparse_direction_iiPKiS5_PT2_S5_PiS5_S8_21rocsparse_index_base_ ; -- Begin function _ZN9rocsparseL18bsric0_9_16_kernelILi64ELi32ELi16E21rocsparse_complex_numIfEEEv20rocsparse_direction_iiPKiS5_PT2_S5_PiS5_S8_21rocsparse_index_base_
	.p2align	8
	.type	_ZN9rocsparseL18bsric0_9_16_kernelILi64ELi32ELi16E21rocsparse_complex_numIfEEEv20rocsparse_direction_iiPKiS5_PT2_S5_PiS5_S8_21rocsparse_index_base_,@function
_ZN9rocsparseL18bsric0_9_16_kernelILi64ELi32ELi16E21rocsparse_complex_numIfEEEv20rocsparse_direction_iiPKiS5_PT2_S5_PiS5_S8_21rocsparse_index_base_: ; @_ZN9rocsparseL18bsric0_9_16_kernelILi64ELi32ELi16E21rocsparse_complex_numIfEEEv20rocsparse_direction_iiPKiS5_PT2_S5_PiS5_S8_21rocsparse_index_base_
; %bb.0:
	s_load_b256 s[4:11], s[0:1], 0x28
	s_mov_b32 s2, s15
	s_mov_b32 s3, 0
	v_and_b32_e32 v10, 0x3ff, v0
	s_lshl_b64 s[12:13], s[2:3], 2
	v_bfe_u32 v0, v0, 10, 10
	s_waitcnt lgkmcnt(0)
	s_add_u32 s8, s8, s12
	s_addc_u32 s9, s9, s13
	s_load_b32 s16, s[8:9], 0x0
	s_waitcnt lgkmcnt(0)
	s_ashr_i32 s17, s16, 31
	s_delay_alu instid0(SALU_CYCLE_1) | instskip(NEXT) | instid1(SALU_CYCLE_1)
	s_lshl_b64 s[8:9], s[16:17], 2
	s_add_u32 s12, s4, s8
	s_addc_u32 s13, s5, s9
	s_load_b32 s28, s[12:13], 0x0
	s_load_b32 s17, s[0:1], 0x48
	s_waitcnt lgkmcnt(0)
	s_cmp_lg_u32 s28, -1
	s_cbranch_scc0 .LBB48_137
; %bb.1:
	s_clause 0x1
	s_load_b128 s[12:15], s[0:1], 0x10
	s_load_b64 s[18:19], s[0:1], 0x20
	v_lshlrev_b32_e32 v1, 2, v0
	s_waitcnt lgkmcnt(0)
	s_add_u32 s2, s12, s8
	s_addc_u32 s3, s13, s9
	s_load_b32 s2, s[2:3], 0x0
	s_waitcnt lgkmcnt(0)
	s_sub_i32 s31, s2, s17
	s_mov_b32 s2, exec_lo
	v_add3_u32 v1, v1, v10, s31
	s_delay_alu instid0(VALU_DEP_1)
	v_cmpx_ge_i32_e64 s28, v1
	s_cbranch_execz .LBB48_4
; %bb.2:
	v_lshlrev_b32_e32 v2, 4, v0
	v_lshlrev_b32_e32 v3, 2, v10
	s_mov_b32 s3, 0
	s_delay_alu instid0(VALU_DEP_1)
	v_add3_u32 v3, v2, v3, 0x2300
	.p2align	6
.LBB48_3:                               ; =>This Inner Loop Header: Depth=1
	v_ashrrev_i32_e32 v2, 31, v1
	s_delay_alu instid0(VALU_DEP_1) | instskip(SKIP_1) | instid1(VALU_DEP_2)
	v_lshlrev_b64 v[4:5], 2, v[1:2]
	v_add_nc_u32_e32 v1, 64, v1
	v_add_co_u32 v4, vcc_lo, s14, v4
	s_delay_alu instid0(VALU_DEP_3) | instskip(NEXT) | instid1(VALU_DEP_3)
	v_add_co_ci_u32_e32 v5, vcc_lo, s15, v5, vcc_lo
	v_cmp_lt_i32_e32 vcc_lo, s28, v1
	global_load_b32 v2, v[4:5], off
	s_or_b32 s3, vcc_lo, s3
	s_waitcnt vmcnt(0)
	v_subrev_nc_u32_e32 v2, s17, v2
	ds_store_b32 v3, v2
	v_add_nc_u32_e32 v3, 0x100, v3
	s_and_not1_b32 exec_lo, exec_lo, s3
	s_cbranch_execnz .LBB48_3
.LBB48_4:
	s_or_b32 exec_lo, exec_lo, s2
	v_mul_u32_u24_e32 v11, 0x88, v0
	v_lshlrev_b32_e32 v12, 3, v10
	s_mov_b32 s2, exec_lo
	v_cmpx_gt_u32_e32 16, v10
	s_cbranch_execz .LBB48_7
; %bb.5:
	v_mov_b32_e32 v1, 0
	v_add_nc_u32_e32 v3, -4, v10
	v_add3_u32 v4, v11, v12, 0x1980
	s_mov_b32 s3, 0
	s_delay_alu instid0(VALU_DEP_3)
	v_mov_b32_e32 v2, v1
.LBB48_6:                               ; =>This Inner Loop Header: Depth=1
	s_delay_alu instid0(VALU_DEP_3) | instskip(SKIP_4) | instid1(SALU_CYCLE_1)
	v_add_nc_u32_e32 v3, 4, v3
	ds_store_b64 v4, v[1:2]
	v_add_nc_u32_e32 v4, 32, v4
	v_cmp_lt_u32_e32 vcc_lo, 11, v3
	s_or_b32 s3, vcc_lo, s3
	s_and_not1_b32 exec_lo, exec_lo, s3
	s_cbranch_execnz .LBB48_6
.LBB48_7:
	s_or_b32 exec_lo, exec_lo, s2
	s_clause 0x1
	s_load_b32 s29, s[0:1], 0x8
	s_load_b32 s30, s[0:1], 0x0
	s_cmp_ge_i32 s31, s28
	s_waitcnt lgkmcnt(0)
	buffer_gl0_inv
	v_cmp_gt_i32_e64 s0, s29, v10
	s_cbranch_scc1 .LBB48_92
; %bb.8:
	v_mad_u64_u32 v[1:2], null, s29, s31, v[0:1]
	v_or_b32_e32 v2, v10, v0
	v_mad_u32_u24 v13, 0x88, v0, v12
	v_mul_lo_u32 v14, v0, s29
	v_mul_lo_u32 v16, v10, s29
	s_movk_i32 s3, 0x1100
	s_cmp_lg_u32 s30, 0
	v_mul_lo_u32 v18, s29, v1
	v_cmp_gt_i32_e64 s1, s29, v0
	v_cmp_ne_u32_e64 s2, 0, v2
	v_add_nc_u32_e32 v15, 0x880, v13
	v_mad_u32_u24 v17, 0x88, v0, s3
	v_mad_u32_u24 v19, 0x88, v10, s3
	v_dual_mov_b32 v1, 0 :: v_dual_add_nc_u32 v20, 0x1980, v13
	v_add_nc_u32_e32 v21, 0x1100, v13
	s_cselect_b32 s33, -1, 0
	s_cmp_gt_i32 s29, 0
	s_mul_i32 s35, s29, s29
	s_cselect_b32 s34, -1, 0
	s_lshl_b32 s36, s29, 2
	s_mov_b32 s20, s31
	s_branch .LBB48_10
.LBB48_9:                               ;   in Loop: Header=BB48_10 Depth=1
	s_set_inst_prefetch_distance 0x2
	s_or_b32 exec_lo, exec_lo, s3
	s_add_i32 s20, s20, 1
	v_add_nc_u32_e32 v18, s35, v18
	s_cmp_ge_i32 s20, s28
	s_waitcnt_vscnt null, 0x0
	buffer_gl1_inv
	buffer_gl0_inv
	s_cselect_b32 s3, -1, 0
	s_delay_alu instid0(SALU_CYCLE_1)
	s_and_b32 vcc_lo, exec_lo, s3
	s_cbranch_vccnz .LBB48_92
.LBB48_10:                              ; =>This Loop Header: Depth=1
                                        ;     Child Loop BB48_14 Depth 2
                                        ;     Child Loop BB48_27 Depth 2
	;; [unrolled: 1-line block ×5, first 2 shown]
                                        ;       Child Loop BB48_59 Depth 3
                                        ;     Child Loop BB48_72 Depth 2
                                        ;       Child Loop BB48_78 Depth 3
                                        ;       Child Loop BB48_81 Depth 3
                                        ;     Child Loop BB48_86 Depth 2
	s_ashr_i32 s21, s20, 31
	s_delay_alu instid0(SALU_CYCLE_1) | instskip(NEXT) | instid1(SALU_CYCLE_1)
	s_lshl_b64 s[22:23], s[20:21], 2
	s_add_u32 s22, s14, s22
	s_addc_u32 s23, s15, s23
	s_load_b32 s37, s[22:23], 0x0
	s_waitcnt lgkmcnt(0)
	s_sub_i32 s24, s37, s17
	s_delay_alu instid0(SALU_CYCLE_1) | instskip(NEXT) | instid1(SALU_CYCLE_1)
	s_ashr_i32 s25, s24, 31
	s_lshl_b64 s[22:23], s[24:25], 2
	s_delay_alu instid0(SALU_CYCLE_1)
	s_add_u32 s26, s4, s22
	s_addc_u32 s27, s5, s23
	s_load_b32 s3, s[26:27], 0x0
	s_waitcnt lgkmcnt(0)
	s_cmp_eq_u32 s3, -1
	s_cbranch_scc1 .LBB48_91
; %bb.11:                               ;   in Loop: Header=BB48_10 Depth=1
	s_add_u32 s26, s12, s22
	s_addc_u32 s27, s13, s23
	s_mul_i32 s21, s20, s29
	s_load_b32 s25, s[26:27], 0x0
	s_and_saveexec_b32 s26, s0
	s_cbranch_execz .LBB48_24
; %bb.12:                               ;   in Loop: Header=BB48_10 Depth=1
	v_dual_mov_b32 v5, v15 :: v_dual_mov_b32 v6, v10
	s_mov_b32 s27, 0
	s_branch .LBB48_14
.LBB48_13:                              ;   in Loop: Header=BB48_14 Depth=2
	s_or_b32 exec_lo, exec_lo, s39
	v_add_nc_u32_e32 v6, 4, v6
	v_mov_b32_e32 v2, v1
	s_waitcnt vmcnt(0)
	ds_store_b64 v5, v[3:4] offset:2176
	ds_store_b64 v5, v[1:2]
	v_add_nc_u32_e32 v5, 32, v5
	v_cmp_le_i32_e32 vcc_lo, s29, v6
	s_or_b32 s27, vcc_lo, s27
	s_delay_alu instid0(SALU_CYCLE_1)
	s_and_not1_b32 exec_lo, exec_lo, s27
	s_cbranch_execz .LBB48_24
.LBB48_14:                              ;   Parent Loop BB48_10 Depth=1
                                        ; =>  This Inner Loop Header: Depth=2
	s_and_b32 vcc_lo, exec_lo, s33
	s_cbranch_vccz .LBB48_19
; %bb.15:                               ;   in Loop: Header=BB48_14 Depth=2
	s_mov_b32 s39, 0
	s_mov_b32 s38, 0
                                        ; implicit-def: $vgpr2
	s_and_saveexec_b32 s40, s1
	s_delay_alu instid0(SALU_CYCLE_1)
	s_xor_b32 s40, exec_lo, s40
; %bb.16:                               ;   in Loop: Header=BB48_14 Depth=2
	v_add_nc_u32_e32 v4, s21, v6
	s_mov_b32 s38, exec_lo
	s_delay_alu instid0(VALU_DEP_1)
	v_mad_u64_u32 v[2:3], null, v4, s29, v[0:1]
; %bb.17:                               ;   in Loop: Header=BB48_14 Depth=2
	s_or_b32 exec_lo, exec_lo, s40
	s_delay_alu instid0(SALU_CYCLE_1)
	s_and_b32 vcc_lo, exec_lo, s39
	s_cbranch_vccnz .LBB48_20
.LBB48_18:                              ;   in Loop: Header=BB48_14 Depth=2
	v_dual_mov_b32 v3, s39 :: v_dual_mov_b32 v4, s39
	s_and_saveexec_b32 s39, s38
	s_cbranch_execz .LBB48_13
	s_branch .LBB48_23
.LBB48_19:                              ;   in Loop: Header=BB48_14 Depth=2
	s_mov_b32 s39, -1
	s_mov_b32 s38, 0
                                        ; implicit-def: $vgpr2
	s_cbranch_execz .LBB48_18
.LBB48_20:                              ;   in Loop: Header=BB48_14 Depth=2
                                        ; implicit-def: $vgpr2
	s_and_saveexec_b32 s39, s1
; %bb.21:                               ;   in Loop: Header=BB48_14 Depth=2
	v_add_nc_u32_e32 v2, v18, v6
	s_or_b32 s38, s38, exec_lo
; %bb.22:                               ;   in Loop: Header=BB48_14 Depth=2
	s_or_b32 exec_lo, exec_lo, s39
	s_mov_b32 s39, 0
	s_delay_alu instid0(SALU_CYCLE_1)
	v_dual_mov_b32 v3, s39 :: v_dual_mov_b32 v4, s39
	s_and_saveexec_b32 s39, s38
	s_cbranch_execz .LBB48_13
.LBB48_23:                              ;   in Loop: Header=BB48_14 Depth=2
	v_ashrrev_i32_e32 v3, 31, v2
	s_delay_alu instid0(VALU_DEP_1) | instskip(NEXT) | instid1(VALU_DEP_1)
	v_lshlrev_b64 v[2:3], 3, v[2:3]
	v_add_co_u32 v2, vcc_lo, s18, v2
	s_delay_alu instid0(VALU_DEP_2)
	v_add_co_ci_u32_e32 v3, vcc_lo, s19, v3, vcc_lo
	global_load_b64 v[3:4], v[2:3], off
	s_branch .LBB48_13
.LBB48_24:                              ;   in Loop: Header=BB48_10 Depth=1
	s_or_b32 exec_lo, exec_lo, s26
; %bb.25:                               ;   in Loop: Header=BB48_10 Depth=1
	ds_load_b32 v2, v1 offset:8960
	s_waitcnt lgkmcnt(0)
	s_sub_i32 s26, s25, s17
	s_delay_alu instid0(SALU_CYCLE_1) | instskip(SKIP_3) | instid1(SALU_CYCLE_1)
	s_cmp_le_i32 s26, s3
	s_cselect_b32 s25, -1, 0
	v_cmp_ge_i32_e32 vcc_lo, s24, v2
	s_and_b32 s25, s25, vcc_lo
	s_and_not1_b32 vcc_lo, exec_lo, s25
	s_mov_b32 s25, 0
	s_cbranch_vccnz .LBB48_37
; %bb.26:                               ;   in Loop: Header=BB48_10 Depth=1
	s_mov_b32 s38, 0
	s_mov_b32 s39, 0
.LBB48_27:                              ;   Parent Loop BB48_10 Depth=1
                                        ; =>  This Inner Loop Header: Depth=2
	s_ashr_i32 s27, s26, 31
	s_mov_b32 s42, -1
	s_lshl_b64 s[40:41], s[26:27], 2
	s_delay_alu instid0(SALU_CYCLE_1) | instskip(SKIP_2) | instid1(SALU_CYCLE_1)
	s_add_u32 s40, s14, s40
	s_addc_u32 s41, s15, s41
	s_lshl_b32 s25, s39, 2
	v_mov_b32_e32 v2, s25
	s_load_b32 s25, s[40:41], 0x0
                                        ; implicit-def: $sgpr41
                                        ; implicit-def: $sgpr40
	ds_load_b32 v2, v2 offset:8960
	s_waitcnt lgkmcnt(0)
	s_sub_i32 s43, s25, s17
                                        ; implicit-def: $sgpr25
	s_delay_alu instid0(SALU_CYCLE_1)
	v_cmp_ge_i32_e32 vcc_lo, s43, v2
	v_readfirstlane_b32 s27, v2
	s_cbranch_vccz .LBB48_33
; %bb.28:                               ;   in Loop: Header=BB48_27 Depth=2
	s_delay_alu instid0(VALU_DEP_1)
	s_cmp_le_i32 s43, s27
                                        ; implicit-def: $sgpr25
                                        ; implicit-def: $sgpr41
                                        ; implicit-def: $sgpr40
	s_cbranch_scc0 .LBB48_30
; %bb.29:                               ;   in Loop: Header=BB48_27 Depth=2
	s_add_i32 s25, s39, s31
	s_lshl_b32 s40, s38, 2
	s_mul_i32 s25, s25, s35
	s_mul_i32 s41, s26, s35
	s_delay_alu instid0(SALU_CYCLE_1)
	v_dual_mov_b32 v2, s25 :: v_dual_mov_b32 v3, s41
	v_add_nc_u32_e64 v4, 0x2000, s40
	s_add_i32 s40, s39, 1
	s_add_i32 s41, s26, 1
	;; [unrolled: 1-line block ×3, first 2 shown]
	s_mov_b32 s42, 0
	ds_store_2addr_b32 v4, v3, v2 offset0:128 offset1:160
.LBB48_30:                              ;   in Loop: Header=BB48_27 Depth=2
	s_and_not1_b32 vcc_lo, exec_lo, s42
	s_cbranch_vccnz .LBB48_32
; %bb.31:                               ;   in Loop: Header=BB48_27 Depth=2
	s_add_i32 s40, s39, 1
	s_mov_b32 s25, s38
	s_mov_b32 s41, s26
.LBB48_32:                              ;   in Loop: Header=BB48_27 Depth=2
	s_mov_b32 s42, 0
.LBB48_33:                              ;   in Loop: Header=BB48_27 Depth=2
	s_delay_alu instid0(SALU_CYCLE_1)
	s_and_not1_b32 vcc_lo, exec_lo, s42
	s_cbranch_vccnz .LBB48_35
; %bb.34:                               ;   in Loop: Header=BB48_27 Depth=2
	s_add_i32 s41, s26, 1
	s_mov_b32 s40, s39
	s_mov_b32 s25, s38
.LBB48_35:                              ;   in Loop: Header=BB48_27 Depth=2
	s_cmp_le_i32 s41, s3
	s_cselect_b32 s26, -1, 0
	s_cmp_le_i32 s27, s24
	s_cselect_b32 s27, -1, 0
	s_delay_alu instid0(SALU_CYCLE_1) | instskip(NEXT) | instid1(SALU_CYCLE_1)
	s_and_b32 s26, s26, s27
	s_and_b32 vcc_lo, exec_lo, s26
	s_cbranch_vccz .LBB48_37
; %bb.36:                               ;   in Loop: Header=BB48_27 Depth=2
	s_mov_b32 s38, s25
	s_mov_b32 s26, s41
	;; [unrolled: 1-line block ×3, first 2 shown]
	s_branch .LBB48_27
.LBB48_37:                              ;   in Loop: Header=BB48_10 Depth=1
	s_add_u32 s22, s6, s22
	s_addc_u32 s23, s7, s23
	s_waitcnt lgkmcnt(0)
	buffer_gl0_inv
.LBB48_38:                              ;   Parent Loop BB48_10 Depth=1
                                        ; =>  This Inner Loop Header: Depth=2
	global_load_b32 v2, v1, s[22:23] glc
	s_waitcnt vmcnt(0)
	v_cmp_eq_u32_e32 vcc_lo, 0, v2
	s_cbranch_vccnz .LBB48_38
; %bb.39:                               ;   in Loop: Header=BB48_10 Depth=1
	buffer_gl1_inv
	buffer_gl0_inv
	s_and_saveexec_b32 s22, s0
	s_cbranch_execz .LBB48_52
; %bb.40:                               ;   in Loop: Header=BB48_10 Depth=1
	s_mul_i32 s3, s3, s29
	v_mov_b32_e32 v6, v13
	v_dual_mov_b32 v7, v10 :: v_dual_add_nc_u32 v2, s3, v0
	s_mov_b32 s23, 0
	s_delay_alu instid0(VALU_DEP_1)
	v_mul_lo_u32 v5, v2, s29
	s_branch .LBB48_42
.LBB48_41:                              ;   in Loop: Header=BB48_42 Depth=2
	s_or_b32 exec_lo, exec_lo, s26
	v_add_nc_u32_e32 v7, 4, v7
	s_waitcnt vmcnt(0)
	ds_store_b64 v6, v[3:4]
	v_add_nc_u32_e32 v6, 32, v6
	v_cmp_le_i32_e32 vcc_lo, s29, v7
	s_or_b32 s23, vcc_lo, s23
	s_delay_alu instid0(SALU_CYCLE_1)
	s_and_not1_b32 exec_lo, exec_lo, s23
	s_cbranch_execz .LBB48_52
.LBB48_42:                              ;   Parent Loop BB48_10 Depth=1
                                        ; =>  This Inner Loop Header: Depth=2
	s_and_b32 vcc_lo, exec_lo, s33
	s_cbranch_vccz .LBB48_47
; %bb.43:                               ;   in Loop: Header=BB48_42 Depth=2
	s_mov_b32 s26, 0
	s_mov_b32 s24, 0
                                        ; implicit-def: $vgpr2
	s_and_saveexec_b32 s27, s1
	s_delay_alu instid0(SALU_CYCLE_1)
	s_xor_b32 s27, exec_lo, s27
; %bb.44:                               ;   in Loop: Header=BB48_42 Depth=2
	v_add_nc_u32_e32 v4, s3, v7
	s_mov_b32 s24, exec_lo
	s_delay_alu instid0(VALU_DEP_1)
	v_mad_u64_u32 v[2:3], null, v4, s29, v[0:1]
; %bb.45:                               ;   in Loop: Header=BB48_42 Depth=2
	s_or_b32 exec_lo, exec_lo, s27
	s_delay_alu instid0(SALU_CYCLE_1)
	s_and_b32 vcc_lo, exec_lo, s26
	s_cbranch_vccnz .LBB48_48
.LBB48_46:                              ;   in Loop: Header=BB48_42 Depth=2
	v_dual_mov_b32 v3, s26 :: v_dual_mov_b32 v4, s26
	s_and_saveexec_b32 s26, s24
	s_cbranch_execz .LBB48_41
	s_branch .LBB48_51
.LBB48_47:                              ;   in Loop: Header=BB48_42 Depth=2
	s_mov_b32 s26, -1
	s_mov_b32 s24, 0
                                        ; implicit-def: $vgpr2
	s_cbranch_execz .LBB48_46
.LBB48_48:                              ;   in Loop: Header=BB48_42 Depth=2
                                        ; implicit-def: $vgpr2
	s_and_saveexec_b32 s26, s1
; %bb.49:                               ;   in Loop: Header=BB48_42 Depth=2
	v_add_nc_u32_e32 v2, v5, v7
	s_or_b32 s24, s24, exec_lo
; %bb.50:                               ;   in Loop: Header=BB48_42 Depth=2
	s_or_b32 exec_lo, exec_lo, s26
	s_mov_b32 s26, 0
	s_delay_alu instid0(SALU_CYCLE_1)
	v_dual_mov_b32 v3, s26 :: v_dual_mov_b32 v4, s26
	s_and_saveexec_b32 s26, s24
	s_cbranch_execz .LBB48_41
.LBB48_51:                              ;   in Loop: Header=BB48_42 Depth=2
	v_ashrrev_i32_e32 v3, 31, v2
	s_delay_alu instid0(VALU_DEP_1) | instskip(NEXT) | instid1(VALU_DEP_1)
	v_lshlrev_b64 v[2:3], 3, v[2:3]
	v_add_co_u32 v2, vcc_lo, s18, v2
	s_delay_alu instid0(VALU_DEP_2)
	v_add_co_ci_u32_e32 v3, vcc_lo, s19, v3, vcc_lo
	global_load_b64 v[3:4], v[2:3], off
	s_branch .LBB48_41
.LBB48_52:                              ;   in Loop: Header=BB48_10 Depth=1
	s_or_b32 exec_lo, exec_lo, s22
; %bb.53:                               ;   in Loop: Header=BB48_10 Depth=1
	s_cmp_lt_i32 s25, 2
	s_cbranch_scc1 .LBB48_69
; %bb.54:                               ;   in Loop: Header=BB48_10 Depth=1
	s_add_i32 s3, s25, -2
	s_mov_b32 s22, 0
	s_branch .LBB48_56
.LBB48_55:                              ;   in Loop: Header=BB48_56 Depth=2
	s_or_b32 exec_lo, exec_lo, s23
	s_add_i32 s23, s22, 1
	s_cmp_eq_u32 s22, s3
	s_mov_b32 s22, s23
	s_cbranch_scc1 .LBB48_69
.LBB48_56:                              ;   Parent Loop BB48_10 Depth=1
                                        ; =>  This Loop Header: Depth=2
                                        ;       Child Loop BB48_59 Depth 3
	s_and_saveexec_b32 s23, s0
	s_cbranch_execz .LBB48_55
; %bb.57:                               ;   in Loop: Header=BB48_56 Depth=2
	s_lshl_b32 s24, s22, 2
	v_mov_b32_e32 v26, v10
	v_add_nc_u32_e64 v2, 0x2000, s24
	s_mov_b32 s24, 0
	ds_load_2addr_b32 v[2:3], v2 offset0:128 offset1:160
	s_waitcnt lgkmcnt(0)
	v_add_nc_u32_e32 v22, v3, v14
	v_add_nc_u32_e32 v23, v0, v3
	;; [unrolled: 1-line block ×4, first 2 shown]
	s_branch .LBB48_59
.LBB48_58:                              ;   in Loop: Header=BB48_59 Depth=3
	v_lshlrev_b32_e32 v2, 3, v26
	v_add_nc_u32_e32 v26, 4, v26
	v_add_nc_u32_e32 v24, 4, v24
	;; [unrolled: 1-line block ×3, first 2 shown]
	s_delay_alu instid0(VALU_DEP_4) | instskip(NEXT) | instid1(VALU_DEP_4)
	v_mad_u32_u24 v4, 0x88, v0, v2
	v_cmp_le_i32_e32 vcc_lo, s29, v26
	ds_load_b64 v[6:7], v4 offset:2176
	s_or_b32 s24, vcc_lo, s24
	s_waitcnt lgkmcnt(0)
	v_dual_add_f32 v2, v3, v6 :: v_dual_add_f32 v3, v5, v7
	ds_store_b64 v4, v[2:3] offset:2176
	s_and_not1_b32 exec_lo, exec_lo, s24
	s_cbranch_execz .LBB48_55
.LBB48_59:                              ;   Parent Loop BB48_10 Depth=1
                                        ;     Parent Loop BB48_56 Depth=2
                                        ; =>    This Inner Loop Header: Depth=3
	s_delay_alu instid0(VALU_DEP_2)
	v_dual_mov_b32 v27, 0 :: v_dual_mov_b32 v2, v24
	v_mov_b32_e32 v4, v23
	v_mov_b32_e32 v28, 0
	s_mov_b32 s25, 0
	s_and_b32 vcc_lo, exec_lo, s33
	s_cbranch_vccz .LBB48_63
.LBB48_60:                              ;   in Loop: Header=BB48_59 Depth=3
	v_ashrrev_i32_e32 v3, 31, v2
	v_dual_mov_b32 v8, 0 :: v_dual_mov_b32 v9, 0
	s_mov_b32 s26, 0
	s_delay_alu instid0(VALU_DEP_2) | instskip(NEXT) | instid1(VALU_DEP_1)
	v_lshlrev_b64 v[5:6], 3, v[2:3]
	v_add_co_u32 v5, vcc_lo, s18, v5
	s_delay_alu instid0(VALU_DEP_2)
	v_add_co_ci_u32_e32 v6, vcc_lo, s19, v6, vcc_lo
	global_load_b64 v[6:7], v[5:6], off
	s_and_saveexec_b32 s27, s1
	s_cbranch_execz .LBB48_62
; %bb.61:                               ;   in Loop: Header=BB48_59 Depth=3
	v_ashrrev_i32_e32 v5, 31, v4
	s_delay_alu instid0(VALU_DEP_1) | instskip(NEXT) | instid1(VALU_DEP_1)
	v_lshlrev_b64 v[8:9], 3, v[4:5]
	v_add_co_u32 v8, vcc_lo, s18, v8
	s_delay_alu instid0(VALU_DEP_2)
	v_add_co_ci_u32_e32 v9, vcc_lo, s19, v9, vcc_lo
	global_load_b64 v[8:9], v[8:9], off
.LBB48_62:                              ;   in Loop: Header=BB48_59 Depth=3
	s_or_b32 exec_lo, exec_lo, s27
	s_waitcnt vmcnt(0)
	v_fma_f32 v3, v6, v8, v28
	v_fma_f32 v5, v7, v8, v27
	s_delay_alu instid0(VALU_DEP_2) | instskip(NEXT) | instid1(VALU_DEP_2)
	v_fmac_f32_e32 v3, v7, v9
	v_fma_f32 v5, v6, -v9, v5
	s_and_b32 vcc_lo, exec_lo, s26
	s_cbranch_vccnz .LBB48_64
	s_branch .LBB48_67
.LBB48_63:                              ;   in Loop: Header=BB48_59 Depth=3
                                        ; implicit-def: $vgpr5
                                        ; implicit-def: $vgpr3
	s_cbranch_execz .LBB48_67
.LBB48_64:                              ;   in Loop: Header=BB48_59 Depth=3
	v_dual_mov_b32 v8, 0 :: v_dual_add_nc_u32 v5, s25, v25
	v_mov_b32_e32 v7, 0
	s_delay_alu instid0(VALU_DEP_2) | instskip(NEXT) | instid1(VALU_DEP_1)
	v_ashrrev_i32_e32 v6, 31, v5
	v_lshlrev_b64 v[5:6], 3, v[5:6]
	s_delay_alu instid0(VALU_DEP_1) | instskip(NEXT) | instid1(VALU_DEP_2)
	v_add_co_u32 v5, vcc_lo, s18, v5
	v_add_co_ci_u32_e32 v6, vcc_lo, s19, v6, vcc_lo
	global_load_b64 v[5:6], v[5:6], off
	s_and_saveexec_b32 s26, s1
	s_cbranch_execz .LBB48_66
; %bb.65:                               ;   in Loop: Header=BB48_59 Depth=3
	v_add_nc_u32_e32 v7, s25, v22
	s_delay_alu instid0(VALU_DEP_1) | instskip(NEXT) | instid1(VALU_DEP_1)
	v_ashrrev_i32_e32 v8, 31, v7
	v_lshlrev_b64 v[7:8], 3, v[7:8]
	s_delay_alu instid0(VALU_DEP_1) | instskip(NEXT) | instid1(VALU_DEP_2)
	v_add_co_u32 v7, vcc_lo, s18, v7
	v_add_co_ci_u32_e32 v8, vcc_lo, s19, v8, vcc_lo
	global_load_b64 v[7:8], v[7:8], off
.LBB48_66:                              ;   in Loop: Header=BB48_59 Depth=3
	s_or_b32 exec_lo, exec_lo, s26
	s_waitcnt vmcnt(0)
	v_fmac_f32_e32 v28, v5, v7
	v_fmac_f32_e32 v27, v6, v7
	s_delay_alu instid0(VALU_DEP_2) | instskip(NEXT) | instid1(VALU_DEP_2)
	v_fmac_f32_e32 v28, v6, v8
	v_fma_f32 v5, v5, -v8, v27
	s_delay_alu instid0(VALU_DEP_2)
	v_mov_b32_e32 v3, v28
.LBB48_67:                              ;   in Loop: Header=BB48_59 Depth=3
	v_add_nc_u32_e32 v4, s29, v4
	v_add_nc_u32_e32 v2, s29, v2
	s_add_i32 s25, s25, 1
	s_delay_alu instid0(SALU_CYCLE_1)
	s_cmp_eq_u32 s29, s25
	s_cbranch_scc1 .LBB48_58
; %bb.68:                               ;   in Loop: Header=BB48_59 Depth=3
	v_dual_mov_b32 v27, v5 :: v_dual_mov_b32 v28, v3
	s_and_b32 vcc_lo, exec_lo, s33
	s_cbranch_vccnz .LBB48_60
	s_branch .LBB48_63
.LBB48_69:                              ;   in Loop: Header=BB48_10 Depth=1
	s_and_not1_b32 vcc_lo, exec_lo, s34
	s_waitcnt lgkmcnt(0)
	buffer_gl0_inv
	s_cbranch_vccnz .LBB48_82
; %bb.70:                               ;   in Loop: Header=BB48_10 Depth=1
	v_mov_b32_e32 v6, v19
	s_mov_b32 s22, 0
	s_mov_b32 s23, 0
	s_branch .LBB48_72
.LBB48_71:                              ;   in Loop: Header=BB48_72 Depth=2
	s_or_b32 exec_lo, exec_lo, s3
	v_add_nc_u32_e32 v6, 8, v6
	s_add_i32 s23, s23, 1
	s_addk_i32 s22, 0x88
	s_cmp_eq_u32 s23, s29
	s_waitcnt lgkmcnt(0)
	buffer_gl0_inv
	s_cbranch_scc1 .LBB48_82
.LBB48_72:                              ;   Parent Loop BB48_10 Depth=1
                                        ; =>  This Loop Header: Depth=2
                                        ;       Child Loop BB48_78 Depth 3
                                        ;       Child Loop BB48_81 Depth 3
	s_lshl_b32 s3, s23, 3
	s_mul_i32 s24, s23, 0x88
	v_mad_u32_u24 v9, 0x88, v0, s3
	s_add_i32 s24, s3, s24
	s_delay_alu instid0(SALU_CYCLE_1)
	v_mov_b32_e32 v2, s24
	ds_load_b64 v[4:5], v2
	ds_load_b64 v[2:3], v9 offset:4352
	s_waitcnt lgkmcnt(1)
	v_cmp_neq_f32_e32 vcc_lo, 0, v4
	v_cmp_neq_f32_e64 s3, 0, v5
	s_delay_alu instid0(VALU_DEP_1) | instskip(SKIP_2) | instid1(SALU_CYCLE_1)
	s_or_b32 vcc_lo, vcc_lo, s3
	v_dual_cndmask_b32 v7, 1.0, v4 :: v_dual_cndmask_b32 v8, 0, v5
	s_or_b32 s3, vcc_lo, s2
	s_xor_b32 s24, s3, -1
	s_delay_alu instid0(SALU_CYCLE_1)
	s_and_saveexec_b32 s3, s24
	s_cbranch_execz .LBB48_76
; %bb.73:                               ;   in Loop: Header=BB48_72 Depth=2
	v_mbcnt_lo_u32_b32 v4, exec_lo, 0
	s_mov_b32 s24, exec_lo
	s_delay_alu instid0(VALU_DEP_1)
	v_cmpx_eq_u32_e32 0, v4
	s_cbranch_execz .LBB48_75
; %bb.74:                               ;   in Loop: Header=BB48_72 Depth=2
	v_mov_b32_e32 v4, s37
	global_atomic_min_i32 v1, v4, s[10:11]
.LBB48_75:                              ;   in Loop: Header=BB48_72 Depth=2
	s_or_b32 exec_lo, exec_lo, s24
	v_dual_mov_b32 v7, 1.0 :: v_dual_mov_b32 v8, 0
.LBB48_76:                              ;   in Loop: Header=BB48_72 Depth=2
	s_or_b32 exec_lo, exec_lo, s3
	v_lshl_add_u32 v4, s23, 3, v11
	s_cmp_eq_u32 s23, 0
	ds_load_b64 v[4:5], v4 offset:2176
	s_cbranch_scc1 .LBB48_79
; %bb.77:                               ;   in Loop: Header=BB48_72 Depth=2
	v_mov_b32_e32 v22, v17
	s_mov_b32 s3, 0
	s_mov_b32 s24, s22
.LBB48_78:                              ;   Parent Loop BB48_10 Depth=1
                                        ;     Parent Loop BB48_72 Depth=2
                                        ; =>    This Inner Loop Header: Depth=3
	s_delay_alu instid0(SALU_CYCLE_1)
	v_mov_b32_e32 v25, s24
	s_add_i32 s3, s3, 1
	s_add_i32 s24, s24, 8
	s_cmp_ge_u32 s3, s23
	ds_load_b64 v[23:24], v22
	ds_load_b64 v[25:26], v25
	v_add_nc_u32_e32 v22, 8, v22
	s_waitcnt lgkmcnt(0)
	v_fmac_f32_e32 v4, v25, v23
	v_fmac_f32_e32 v5, v26, v23
	s_delay_alu instid0(VALU_DEP_2) | instskip(NEXT) | instid1(VALU_DEP_2)
	v_fmac_f32_e32 v4, v26, v24
	v_fma_f32 v5, v25, -v24, v5
	s_cbranch_scc0 .LBB48_78
.LBB48_79:                              ;   in Loop: Header=BB48_72 Depth=2
	v_dual_mul_f32 v22, v8, v8 :: v_dual_add_nc_u32 v9, 0x1100, v9
	s_waitcnt lgkmcnt(0)
	s_delay_alu instid0(VALU_DEP_2) | instskip(NEXT) | instid1(VALU_DEP_2)
	v_dual_sub_f32 v2, v2, v4 :: v_dual_sub_f32 v3, v3, v5
	v_fmac_f32_e32 v22, v7, v7
	s_delay_alu instid0(VALU_DEP_2) | instskip(NEXT) | instid1(VALU_DEP_3)
	v_mul_f32_e32 v4, v8, v3
	v_mul_f32_e64 v8, v8, -v2
	s_delay_alu instid0(VALU_DEP_3) | instskip(SKIP_1) | instid1(VALU_DEP_3)
	v_div_scale_f32 v23, null, v22, v22, 1.0
	v_div_scale_f32 v26, vcc_lo, 1.0, v22, 1.0
	v_fmac_f32_e32 v8, v3, v7
	s_delay_alu instid0(VALU_DEP_3) | instskip(SKIP_2) | instid1(VALU_DEP_1)
	v_rcp_f32_e32 v24, v23
	s_waitcnt_depctr 0xfff
	v_fma_f32 v25, -v23, v24, 1.0
	v_fmac_f32_e32 v24, v25, v24
	s_delay_alu instid0(VALU_DEP_1) | instskip(NEXT) | instid1(VALU_DEP_1)
	v_mul_f32_e32 v25, v26, v24
	v_fma_f32 v27, -v23, v25, v26
	s_delay_alu instid0(VALU_DEP_1) | instskip(NEXT) | instid1(VALU_DEP_1)
	v_fmac_f32_e32 v25, v27, v24
	v_fma_f32 v5, -v23, v25, v26
	s_delay_alu instid0(VALU_DEP_1) | instskip(NEXT) | instid1(VALU_DEP_1)
	v_div_fmas_f32 v5, v5, v24, v25
	v_div_fixup_f32 v5, v5, v22, 1.0
	s_delay_alu instid0(VALU_DEP_1) | instskip(NEXT) | instid1(VALU_DEP_1)
	v_dual_fmac_f32 v4, v2, v7 :: v_dual_mul_f32 v3, v5, v8
	v_mul_f32_e32 v2, v5, v4
	ds_store_b64 v9, v[2:3]
	s_waitcnt lgkmcnt(0)
	s_waitcnt_vscnt null, 0x0
	buffer_gl0_inv
	s_and_saveexec_b32 s3, s0
	s_cbranch_execz .LBB48_71
; %bb.80:                               ;   in Loop: Header=BB48_72 Depth=2
	v_dual_mov_b32 v4, v20 :: v_dual_mov_b32 v5, v6
	v_mov_b32_e32 v7, v10
	s_mov_b32 s24, 0
	.p2align	6
.LBB48_81:                              ;   Parent Loop BB48_10 Depth=1
                                        ;     Parent Loop BB48_72 Depth=2
                                        ; =>    This Inner Loop Header: Depth=3
	ds_load_b64 v[8:9], v5
	ds_load_b64 v[22:23], v4
	v_add_nc_u32_e32 v5, 0x220, v5
	s_waitcnt lgkmcnt(0)
	v_fma_f32 v22, v2, v8, v22
	v_fmac_f32_e32 v23, v3, v8
	s_delay_alu instid0(VALU_DEP_2) | instskip(NEXT) | instid1(VALU_DEP_2)
	v_dual_fmac_f32 v22, v3, v9 :: v_dual_add_nc_u32 v7, 4, v7
	v_fma_f32 v23, v2, -v9, v23
	s_delay_alu instid0(VALU_DEP_2) | instskip(SKIP_3) | instid1(SALU_CYCLE_1)
	v_cmp_le_i32_e32 vcc_lo, s29, v7
	ds_store_b64 v4, v[22:23]
	v_add_nc_u32_e32 v4, 32, v4
	s_or_b32 s24, vcc_lo, s24
	s_and_not1_b32 exec_lo, exec_lo, s24
	s_cbranch_execnz .LBB48_81
	s_branch .LBB48_71
.LBB48_82:                              ;   in Loop: Header=BB48_10 Depth=1
	s_and_saveexec_b32 s3, s0
	s_cbranch_execz .LBB48_9
; %bb.83:                               ;   in Loop: Header=BB48_10 Depth=1
	v_dual_mov_b32 v4, v21 :: v_dual_mov_b32 v5, v10
	s_mov_b32 s22, 0
	s_set_inst_prefetch_distance 0x1
	s_branch .LBB48_86
	.p2align	6
.LBB48_84:                              ;   in Loop: Header=BB48_86 Depth=2
	ds_load_b64 v[6:7], v4
	v_ashrrev_i32_e32 v3, 31, v2
	s_delay_alu instid0(VALU_DEP_1) | instskip(NEXT) | instid1(VALU_DEP_1)
	v_lshlrev_b64 v[2:3], 3, v[2:3]
	v_add_co_u32 v2, vcc_lo, s18, v2
	s_delay_alu instid0(VALU_DEP_2)
	v_add_co_ci_u32_e32 v3, vcc_lo, s19, v3, vcc_lo
	s_waitcnt lgkmcnt(0)
	global_store_b64 v[2:3], v[6:7], off
.LBB48_85:                              ;   in Loop: Header=BB48_86 Depth=2
	s_or_b32 exec_lo, exec_lo, s23
	v_add_nc_u32_e32 v5, 4, v5
	v_add_nc_u32_e32 v4, 32, v4
	s_delay_alu instid0(VALU_DEP_2) | instskip(SKIP_1) | instid1(SALU_CYCLE_1)
	v_cmp_le_i32_e32 vcc_lo, s29, v5
	s_or_b32 s22, vcc_lo, s22
	s_and_not1_b32 exec_lo, exec_lo, s22
	s_cbranch_execz .LBB48_9
.LBB48_86:                              ;   Parent Loop BB48_10 Depth=1
                                        ; =>  This Inner Loop Header: Depth=2
	s_and_saveexec_b32 s23, s1
	s_cbranch_execz .LBB48_85
; %bb.87:                               ;   in Loop: Header=BB48_86 Depth=2
	s_and_b32 vcc_lo, exec_lo, s33
	s_cbranch_vccz .LBB48_89
; %bb.88:                               ;   in Loop: Header=BB48_86 Depth=2
	v_add_nc_u32_e32 v6, s21, v5
	s_delay_alu instid0(VALU_DEP_1)
	v_mad_u64_u32 v[2:3], null, v6, s29, v[0:1]
	s_cbranch_execnz .LBB48_84
	s_branch .LBB48_90
.LBB48_89:                              ;   in Loop: Header=BB48_86 Depth=2
                                        ; implicit-def: $vgpr2
.LBB48_90:                              ;   in Loop: Header=BB48_86 Depth=2
	v_add_nc_u32_e32 v2, v18, v5
	s_branch .LBB48_84
.LBB48_91:                              ;   in Loop: Header=BB48_10 Depth=1
                                        ; implicit-def: $sgpr20
                                        ; implicit-def: $vgpr18
	s_cbranch_execz .LBB48_10
.LBB48_92:
	v_cmp_gt_i32_e64 s0, s29, v10
	s_delay_alu instid0(VALU_DEP_1)
	s_and_saveexec_b32 s2, s0
	s_cbranch_execz .LBB48_105
; %bb.93:
	s_mul_i32 s3, s28, s29
	v_cmp_gt_i32_e64 s1, s29, v0
	v_dual_mov_b32 v6, v10 :: v_dual_add_nc_u32 v1, s3, v0
	v_add3_u32 v5, v11, v12, 0x1100
	s_cmp_lg_u32 s30, 0
	s_mov_b32 s4, 0
	s_delay_alu instid0(VALU_DEP_2)
	v_mul_lo_u32 v4, v1, s29
	s_cselect_b32 s5, -1, 0
	s_branch .LBB48_95
.LBB48_94:                              ;   in Loop: Header=BB48_95 Depth=1
	s_or_b32 exec_lo, exec_lo, s13
	v_add_nc_u32_e32 v6, 4, v6
	s_waitcnt vmcnt(0)
	ds_store_b64 v5, v[2:3]
	v_add_nc_u32_e32 v5, 32, v5
	v_cmp_le_i32_e32 vcc_lo, s29, v6
	s_or_b32 s4, vcc_lo, s4
	s_delay_alu instid0(SALU_CYCLE_1)
	s_and_not1_b32 exec_lo, exec_lo, s4
	s_cbranch_execz .LBB48_105
.LBB48_95:                              ; =>This Inner Loop Header: Depth=1
	s_and_b32 vcc_lo, exec_lo, s5
	s_cbranch_vccz .LBB48_100
; %bb.96:                               ;   in Loop: Header=BB48_95 Depth=1
	s_mov_b32 s13, 0
	s_mov_b32 s12, 0
                                        ; implicit-def: $vgpr1
	s_and_saveexec_b32 s14, s1
	s_delay_alu instid0(SALU_CYCLE_1)
	s_xor_b32 s14, exec_lo, s14
; %bb.97:                               ;   in Loop: Header=BB48_95 Depth=1
	v_add_nc_u32_e32 v3, s3, v6
	s_mov_b32 s12, exec_lo
	s_delay_alu instid0(VALU_DEP_1)
	v_mad_u64_u32 v[1:2], null, v3, s29, v[0:1]
; %bb.98:                               ;   in Loop: Header=BB48_95 Depth=1
	s_or_b32 exec_lo, exec_lo, s14
	s_delay_alu instid0(SALU_CYCLE_1)
	s_and_b32 vcc_lo, exec_lo, s13
	s_cbranch_vccnz .LBB48_101
.LBB48_99:                              ;   in Loop: Header=BB48_95 Depth=1
	v_dual_mov_b32 v2, s13 :: v_dual_mov_b32 v3, s13
	s_and_saveexec_b32 s13, s12
	s_cbranch_execz .LBB48_94
	s_branch .LBB48_104
.LBB48_100:                             ;   in Loop: Header=BB48_95 Depth=1
	s_mov_b32 s13, -1
	s_mov_b32 s12, 0
                                        ; implicit-def: $vgpr1
	s_cbranch_execz .LBB48_99
.LBB48_101:                             ;   in Loop: Header=BB48_95 Depth=1
                                        ; implicit-def: $vgpr1
	s_and_saveexec_b32 s13, s1
; %bb.102:                              ;   in Loop: Header=BB48_95 Depth=1
	v_add_nc_u32_e32 v1, v4, v6
	s_or_b32 s12, s12, exec_lo
; %bb.103:                              ;   in Loop: Header=BB48_95 Depth=1
	s_or_b32 exec_lo, exec_lo, s13
	s_mov_b32 s13, 0
	s_delay_alu instid0(SALU_CYCLE_1)
	v_dual_mov_b32 v2, s13 :: v_dual_mov_b32 v3, s13
	s_and_saveexec_b32 s13, s12
	s_cbranch_execz .LBB48_94
.LBB48_104:                             ;   in Loop: Header=BB48_95 Depth=1
	v_ashrrev_i32_e32 v2, 31, v1
	s_delay_alu instid0(VALU_DEP_1) | instskip(NEXT) | instid1(VALU_DEP_1)
	v_lshlrev_b64 v[1:2], 3, v[1:2]
	v_add_co_u32 v1, vcc_lo, s18, v1
	s_delay_alu instid0(VALU_DEP_2)
	v_add_co_ci_u32_e32 v2, vcc_lo, s19, v2, vcc_lo
	global_load_b64 v[2:3], v[1:2], off
	s_branch .LBB48_94
.LBB48_105:
	s_or_b32 exec_lo, exec_lo, s2
; %bb.106:
	s_cmp_lt_i32 s29, 1
	s_waitcnt lgkmcnt(0)
	buffer_gl0_inv
	s_cbranch_scc1 .LBB48_125
; %bb.107:
	v_lshlrev_b32_e32 v1, 3, v0
	v_or_b32_e32 v2, v10, v0
	s_movk_i32 s1, 0x1100
	v_add3_u32 v5, v11, v12, 0x1980
	v_mad_u32_u24 v6, 0x88, v10, s1
	s_mov_b32 s3, 0
	v_cmp_ne_u32_e64 s1, 0, v2
	v_mov_b32_e32 v2, 0
	v_mad_u32_u24 v1, 0x88, v0, v1
	s_add_i32 s4, s16, s17
	s_delay_alu instid0(VALU_DEP_1)
	v_add_nc_u32_e32 v7, 0x1100, v1
	v_add_nc_u32_e32 v8, 0x1980, v1
	s_branch .LBB48_109
.LBB48_108:                             ;   in Loop: Header=BB48_109 Depth=1
	s_or_b32 exec_lo, exec_lo, s2
	v_add_nc_u32_e32 v6, 8, v6
	s_add_i32 s3, s3, 1
	s_waitcnt lgkmcnt(0)
	s_waitcnt_vscnt null, 0x0
	buffer_gl0_inv
	s_cmp_eq_u32 s3, s29
	s_cbranch_scc1 .LBB48_125
.LBB48_109:                             ; =>This Loop Header: Depth=1
                                        ;     Child Loop BB48_124 Depth 2
	s_mov_b32 s5, exec_lo
	v_cmpx_eq_u32_e64 s3, v0
	s_cbranch_execz .LBB48_117
; %bb.110:                              ;   in Loop: Header=BB48_109 Depth=1
	ds_load_b64 v[3:4], v7
	ds_load_b64 v[13:14], v8
	s_mov_b32 s2, exec_lo
	s_waitcnt lgkmcnt(0)
	v_sub_f32_e32 v1, v3, v13
	v_sub_f32_e32 v9, v4, v14
                                        ; implicit-def: $vgpr4
	s_delay_alu instid0(VALU_DEP_2) | instskip(SKIP_1) | instid1(VALU_DEP_3)
	v_cmp_gt_f32_e32 vcc_lo, 0, v1
	v_cndmask_b32_e64 v1, v1, -v1, vcc_lo
	v_cmp_gt_f32_e32 vcc_lo, 0, v9
	v_cndmask_b32_e64 v3, v9, -v9, vcc_lo
	s_delay_alu instid0(VALU_DEP_1)
	v_cmpx_ngt_f32_e32 v1, v3
	s_xor_b32 s12, exec_lo, s2
	s_cbranch_execz .LBB48_114
; %bb.111:                              ;   in Loop: Header=BB48_109 Depth=1
	v_mov_b32_e32 v4, 0
	s_mov_b32 s13, exec_lo
	v_cmpx_neq_f32_e32 0, v9
	s_cbranch_execz .LBB48_113
; %bb.112:                              ;   in Loop: Header=BB48_109 Depth=1
	v_div_scale_f32 v4, null, v3, v3, v1
	v_div_scale_f32 v14, vcc_lo, v1, v3, v1
	s_delay_alu instid0(VALU_DEP_2) | instskip(SKIP_2) | instid1(VALU_DEP_1)
	v_rcp_f32_e32 v9, v4
	s_waitcnt_depctr 0xfff
	v_fma_f32 v13, -v4, v9, 1.0
	v_fmac_f32_e32 v9, v13, v9
	s_delay_alu instid0(VALU_DEP_1) | instskip(NEXT) | instid1(VALU_DEP_1)
	v_mul_f32_e32 v13, v14, v9
	v_fma_f32 v15, -v4, v13, v14
	s_delay_alu instid0(VALU_DEP_1) | instskip(NEXT) | instid1(VALU_DEP_1)
	v_fmac_f32_e32 v13, v15, v9
	v_fma_f32 v4, -v4, v13, v14
	s_delay_alu instid0(VALU_DEP_1) | instskip(NEXT) | instid1(VALU_DEP_1)
	v_div_fmas_f32 v4, v4, v9, v13
	v_div_fixup_f32 v1, v4, v3, v1
	s_delay_alu instid0(VALU_DEP_1) | instskip(NEXT) | instid1(VALU_DEP_1)
	v_fma_f32 v1, v1, v1, 1.0
	v_mul_f32_e32 v4, 0x4f800000, v1
	v_cmp_gt_f32_e32 vcc_lo, 0xf800000, v1
	s_delay_alu instid0(VALU_DEP_2) | instskip(NEXT) | instid1(VALU_DEP_1)
	v_cndmask_b32_e32 v1, v1, v4, vcc_lo
	v_sqrt_f32_e32 v4, v1
	s_waitcnt_depctr 0xfff
	v_add_nc_u32_e32 v9, -1, v4
	v_add_nc_u32_e32 v13, 1, v4
	s_delay_alu instid0(VALU_DEP_2) | instskip(NEXT) | instid1(VALU_DEP_2)
	v_fma_f32 v14, -v9, v4, v1
	v_fma_f32 v15, -v13, v4, v1
	s_delay_alu instid0(VALU_DEP_2) | instskip(NEXT) | instid1(VALU_DEP_1)
	v_cmp_ge_f32_e64 s2, 0, v14
	v_cndmask_b32_e64 v4, v4, v9, s2
	s_delay_alu instid0(VALU_DEP_3) | instskip(NEXT) | instid1(VALU_DEP_1)
	v_cmp_lt_f32_e64 s2, 0, v15
	v_cndmask_b32_e64 v4, v4, v13, s2
	s_delay_alu instid0(VALU_DEP_1) | instskip(NEXT) | instid1(VALU_DEP_1)
	v_mul_f32_e32 v9, 0x37800000, v4
	v_cndmask_b32_e32 v4, v4, v9, vcc_lo
	v_cmp_class_f32_e64 vcc_lo, v1, 0x260
	s_delay_alu instid0(VALU_DEP_2) | instskip(NEXT) | instid1(VALU_DEP_1)
	v_cndmask_b32_e32 v1, v4, v1, vcc_lo
	v_mul_f32_e32 v4, v3, v1
.LBB48_113:                             ;   in Loop: Header=BB48_109 Depth=1
	s_or_b32 exec_lo, exec_lo, s13
                                        ; implicit-def: $vgpr1
                                        ; implicit-def: $vgpr3
.LBB48_114:                             ;   in Loop: Header=BB48_109 Depth=1
	s_and_not1_saveexec_b32 s12, s12
	s_cbranch_execz .LBB48_116
; %bb.115:                              ;   in Loop: Header=BB48_109 Depth=1
	v_div_scale_f32 v4, null, v1, v1, v3
	v_div_scale_f32 v14, vcc_lo, v3, v1, v3
	s_delay_alu instid0(VALU_DEP_2) | instskip(SKIP_2) | instid1(VALU_DEP_1)
	v_rcp_f32_e32 v9, v4
	s_waitcnt_depctr 0xfff
	v_fma_f32 v13, -v4, v9, 1.0
	v_fmac_f32_e32 v9, v13, v9
	s_delay_alu instid0(VALU_DEP_1) | instskip(NEXT) | instid1(VALU_DEP_1)
	v_mul_f32_e32 v13, v14, v9
	v_fma_f32 v15, -v4, v13, v14
	s_delay_alu instid0(VALU_DEP_1) | instskip(NEXT) | instid1(VALU_DEP_1)
	v_fmac_f32_e32 v13, v15, v9
	v_fma_f32 v4, -v4, v13, v14
	s_delay_alu instid0(VALU_DEP_1) | instskip(NEXT) | instid1(VALU_DEP_1)
	v_div_fmas_f32 v4, v4, v9, v13
	v_div_fixup_f32 v3, v4, v1, v3
	s_delay_alu instid0(VALU_DEP_1) | instskip(NEXT) | instid1(VALU_DEP_1)
	v_fma_f32 v3, v3, v3, 1.0
	v_mul_f32_e32 v4, 0x4f800000, v3
	v_cmp_gt_f32_e32 vcc_lo, 0xf800000, v3
	s_delay_alu instid0(VALU_DEP_2) | instskip(NEXT) | instid1(VALU_DEP_1)
	v_cndmask_b32_e32 v3, v3, v4, vcc_lo
	v_sqrt_f32_e32 v4, v3
	s_waitcnt_depctr 0xfff
	v_add_nc_u32_e32 v9, -1, v4
	v_add_nc_u32_e32 v13, 1, v4
	s_delay_alu instid0(VALU_DEP_2) | instskip(NEXT) | instid1(VALU_DEP_2)
	v_fma_f32 v14, -v9, v4, v3
	v_fma_f32 v15, -v13, v4, v3
	s_delay_alu instid0(VALU_DEP_2) | instskip(NEXT) | instid1(VALU_DEP_1)
	v_cmp_ge_f32_e64 s2, 0, v14
	v_cndmask_b32_e64 v4, v4, v9, s2
	s_delay_alu instid0(VALU_DEP_3) | instskip(NEXT) | instid1(VALU_DEP_1)
	v_cmp_lt_f32_e64 s2, 0, v15
	v_cndmask_b32_e64 v4, v4, v13, s2
	s_delay_alu instid0(VALU_DEP_1) | instskip(NEXT) | instid1(VALU_DEP_1)
	v_mul_f32_e32 v9, 0x37800000, v4
	v_cndmask_b32_e32 v4, v4, v9, vcc_lo
	v_cmp_class_f32_e64 vcc_lo, v3, 0x260
	s_delay_alu instid0(VALU_DEP_2) | instskip(NEXT) | instid1(VALU_DEP_1)
	v_cndmask_b32_e32 v3, v4, v3, vcc_lo
	v_mul_f32_e32 v4, v1, v3
.LBB48_116:                             ;   in Loop: Header=BB48_109 Depth=1
	s_or_b32 exec_lo, exec_lo, s12
	s_delay_alu instid0(VALU_DEP_1) | instskip(SKIP_1) | instid1(VALU_DEP_2)
	v_mul_f32_e32 v1, 0x4f800000, v4
	v_cmp_gt_f32_e32 vcc_lo, 0xf800000, v4
	v_cndmask_b32_e32 v1, v4, v1, vcc_lo
	s_delay_alu instid0(VALU_DEP_1) | instskip(SKIP_3) | instid1(VALU_DEP_2)
	v_sqrt_f32_e32 v3, v1
	s_waitcnt_depctr 0xfff
	v_add_nc_u32_e32 v4, -1, v3
	v_add_nc_u32_e32 v9, 1, v3
	v_fma_f32 v13, -v4, v3, v1
	s_delay_alu instid0(VALU_DEP_2) | instskip(NEXT) | instid1(VALU_DEP_2)
	v_fma_f32 v14, -v9, v3, v1
	v_cmp_ge_f32_e64 s2, 0, v13
	s_delay_alu instid0(VALU_DEP_1) | instskip(NEXT) | instid1(VALU_DEP_3)
	v_cndmask_b32_e64 v3, v3, v4, s2
	v_cmp_lt_f32_e64 s2, 0, v14
	s_delay_alu instid0(VALU_DEP_1) | instskip(NEXT) | instid1(VALU_DEP_1)
	v_cndmask_b32_e64 v3, v3, v9, s2
	v_mul_f32_e32 v4, 0x37800000, v3
	s_delay_alu instid0(VALU_DEP_1) | instskip(SKIP_1) | instid1(VALU_DEP_2)
	v_cndmask_b32_e32 v3, v3, v4, vcc_lo
	v_cmp_class_f32_e64 vcc_lo, v1, 0x260
	v_cndmask_b32_e32 v1, v3, v1, vcc_lo
	ds_store_b64 v7, v[1:2]
.LBB48_117:                             ;   in Loop: Header=BB48_109 Depth=1
	s_or_b32 exec_lo, exec_lo, s5
	s_lshl_b32 s2, s3, 3
	s_mul_i32 s5, s3, 0x88
	s_waitcnt lgkmcnt(0)
	buffer_gl0_inv
	s_add_i32 s5, s5, s2
	s_delay_alu instid0(SALU_CYCLE_1)
	v_mov_b32_e32 v1, s5
	ds_load_b64 v[14:15], v1 offset:4352
	v_mad_u32_u24 v1, 0x88, v0, s2
	ds_load_b64 v[3:4], v1 offset:4352
	s_waitcnt lgkmcnt(1)
	v_cmp_neq_f32_e32 vcc_lo, 0, v14
	v_cmp_neq_f32_e64 s2, 0, v15
	s_delay_alu instid0(VALU_DEP_1) | instskip(SKIP_3) | instid1(SALU_CYCLE_1)
	s_or_b32 vcc_lo, vcc_lo, s2
	v_cndmask_b32_e32 v13, 0, v15, vcc_lo
	v_cndmask_b32_e32 v9, 1.0, v14, vcc_lo
	s_or_b32 s2, vcc_lo, s1
	s_xor_b32 s5, s2, -1
	s_delay_alu instid0(SALU_CYCLE_1)
	s_and_saveexec_b32 s2, s5
	s_cbranch_execz .LBB48_121
; %bb.118:                              ;   in Loop: Header=BB48_109 Depth=1
	v_mbcnt_lo_u32_b32 v9, exec_lo, 0
	s_mov_b32 s5, exec_lo
	s_delay_alu instid0(VALU_DEP_1)
	v_cmpx_eq_u32_e32 0, v9
	s_cbranch_execz .LBB48_120
; %bb.119:                              ;   in Loop: Header=BB48_109 Depth=1
	v_mov_b32_e32 v9, s4
	global_atomic_min_i32 v2, v9, s[10:11]
.LBB48_120:                             ;   in Loop: Header=BB48_109 Depth=1
	s_or_b32 exec_lo, exec_lo, s5
	v_mov_b32_e32 v13, 0
	v_mov_b32_e32 v9, 1.0
.LBB48_121:                             ;   in Loop: Header=BB48_109 Depth=1
	s_or_b32 exec_lo, exec_lo, s2
	s_delay_alu instid0(SALU_CYCLE_1)
	s_mov_b32 s2, exec_lo
	v_cmpx_lt_u32_e64 s3, v0
	s_cbranch_execz .LBB48_108
; %bb.122:                              ;   in Loop: Header=BB48_109 Depth=1
	v_lshl_add_u32 v14, s3, 3, v11
	v_mul_f32_e32 v16, v13, v13
	v_add_nc_u32_e32 v1, 0x1100, v1
	ds_load_b64 v[14:15], v14 offset:6528
	s_waitcnt lgkmcnt(0)
	v_dual_fmac_f32 v16, v9, v9 :: v_dual_sub_f32 v3, v3, v14
	s_delay_alu instid0(VALU_DEP_1) | instskip(SKIP_2) | instid1(VALU_DEP_3)
	v_div_scale_f32 v17, null, v16, v16, 1.0
	v_sub_f32_e32 v4, v4, v15
	v_div_scale_f32 v20, vcc_lo, 1.0, v16, 1.0
	v_rcp_f32_e32 v18, v17
	s_delay_alu instid0(VALU_DEP_2) | instskip(SKIP_1) | instid1(VALU_DEP_2)
	v_mul_f32_e32 v14, v13, v4
	v_mul_f32_e64 v13, v13, -v3
	v_fmac_f32_e32 v14, v3, v9
	s_delay_alu instid0(VALU_DEP_2) | instskip(SKIP_2) | instid1(VALU_DEP_1)
	v_fmac_f32_e32 v13, v4, v9
	s_waitcnt_depctr 0xfff
	v_fma_f32 v19, -v17, v18, 1.0
	v_fmac_f32_e32 v18, v19, v18
	s_delay_alu instid0(VALU_DEP_1) | instskip(NEXT) | instid1(VALU_DEP_1)
	v_mul_f32_e32 v19, v20, v18
	v_fma_f32 v21, -v17, v19, v20
	s_delay_alu instid0(VALU_DEP_1) | instskip(NEXT) | instid1(VALU_DEP_1)
	v_fmac_f32_e32 v19, v21, v18
	v_fma_f32 v15, -v17, v19, v20
	s_delay_alu instid0(VALU_DEP_1) | instskip(NEXT) | instid1(VALU_DEP_1)
	v_div_fmas_f32 v15, v15, v18, v19
	v_div_fixup_f32 v15, v15, v16, 1.0
	s_delay_alu instid0(VALU_DEP_1)
	v_mul_f32_e32 v3, v15, v14
	v_mul_f32_e32 v4, v15, v13
	ds_store_b64 v1, v[3:4]
	s_waitcnt lgkmcnt(0)
	s_waitcnt_vscnt null, 0x0
	buffer_gl0_inv
	s_and_b32 exec_lo, exec_lo, s0
	s_cbranch_execz .LBB48_108
; %bb.123:                              ;   in Loop: Header=BB48_109 Depth=1
	v_mov_b32_e32 v1, v5
	v_mov_b32_e32 v9, v6
	;; [unrolled: 1-line block ×3, first 2 shown]
	s_mov_b32 s5, 0
	.p2align	6
.LBB48_124:                             ;   Parent Loop BB48_109 Depth=1
                                        ; =>  This Inner Loop Header: Depth=2
	ds_load_b64 v[14:15], v9
	ds_load_b64 v[16:17], v1
	v_add_nc_u32_e32 v9, 0x220, v9
	s_waitcnt lgkmcnt(0)
	v_fma_f32 v16, v3, v14, v16
	v_fmac_f32_e32 v17, v4, v14
	s_delay_alu instid0(VALU_DEP_2) | instskip(NEXT) | instid1(VALU_DEP_2)
	v_dual_fmac_f32 v16, v4, v15 :: v_dual_add_nc_u32 v13, 4, v13
	v_fma_f32 v17, v3, -v15, v17
	s_delay_alu instid0(VALU_DEP_2) | instskip(SKIP_3) | instid1(SALU_CYCLE_1)
	v_cmp_le_i32_e32 vcc_lo, s29, v13
	ds_store_b64 v1, v[16:17]
	v_add_nc_u32_e32 v1, 32, v1
	s_or_b32 s5, vcc_lo, s5
	s_and_not1_b32 exec_lo, exec_lo, s5
	s_cbranch_execnz .LBB48_124
	s_branch .LBB48_108
.LBB48_125:
	s_and_saveexec_b32 s1, s0
	s_cbranch_execz .LBB48_134
; %bb.126:
	s_mul_i32 s28, s28, s29
	v_cmp_gt_i32_e64 s0, s29, v0
	v_add_nc_u32_e32 v1, s28, v0
	v_add3_u32 v4, v11, v12, 0x1100
	v_mov_b32_e32 v5, v10
	s_cmp_lg_u32 s30, 0
	s_mov_b32 s2, 0
	v_mul_lo_u32 v3, v1, s29
	s_cselect_b32 s3, -1, 0
	s_set_inst_prefetch_distance 0x1
	s_branch .LBB48_129
	.p2align	6
.LBB48_127:                             ;   in Loop: Header=BB48_129 Depth=1
	ds_load_b64 v[6:7], v4
	v_ashrrev_i32_e32 v2, 31, v1
	s_delay_alu instid0(VALU_DEP_1) | instskip(NEXT) | instid1(VALU_DEP_1)
	v_lshlrev_b64 v[1:2], 3, v[1:2]
	v_add_co_u32 v1, vcc_lo, s18, v1
	s_delay_alu instid0(VALU_DEP_2)
	v_add_co_ci_u32_e32 v2, vcc_lo, s19, v2, vcc_lo
	s_waitcnt lgkmcnt(0)
	global_store_b64 v[1:2], v[6:7], off
.LBB48_128:                             ;   in Loop: Header=BB48_129 Depth=1
	s_or_b32 exec_lo, exec_lo, s4
	v_add_nc_u32_e32 v5, 4, v5
	v_add_nc_u32_e32 v4, 32, v4
	s_delay_alu instid0(VALU_DEP_2) | instskip(SKIP_1) | instid1(SALU_CYCLE_1)
	v_cmp_le_i32_e32 vcc_lo, s29, v5
	s_or_b32 s2, vcc_lo, s2
	s_and_not1_b32 exec_lo, exec_lo, s2
	s_cbranch_execz .LBB48_134
.LBB48_129:                             ; =>This Inner Loop Header: Depth=1
	s_and_saveexec_b32 s4, s0
	s_cbranch_execz .LBB48_128
; %bb.130:                              ;   in Loop: Header=BB48_129 Depth=1
	s_and_b32 vcc_lo, exec_lo, s3
	s_cbranch_vccz .LBB48_132
; %bb.131:                              ;   in Loop: Header=BB48_129 Depth=1
	v_add_nc_u32_e32 v6, s28, v5
	s_delay_alu instid0(VALU_DEP_1)
	v_mad_u64_u32 v[1:2], null, v6, s29, v[0:1]
	s_cbranch_execnz .LBB48_127
	s_branch .LBB48_133
.LBB48_132:                             ;   in Loop: Header=BB48_129 Depth=1
                                        ; implicit-def: $vgpr1
.LBB48_133:                             ;   in Loop: Header=BB48_129 Depth=1
	v_add_nc_u32_e32 v1, v3, v5
	s_branch .LBB48_127
.LBB48_134:
	s_set_inst_prefetch_distance 0x2
	s_or_b32 exec_lo, exec_lo, s1
	v_or_b32_e32 v1, v10, v0
	s_delay_alu instid0(VALU_DEP_1)
	v_cmp_eq_u32_e64 s3, 0, v1
.LBB48_135:
	s_delay_alu instid0(VALU_DEP_1)
	s_and_saveexec_b32 s0, s3
	s_cbranch_execnz .LBB48_143
.LBB48_136:
	s_nop 0
	s_sendmsg sendmsg(MSG_DEALLOC_VGPRS)
	s_endpgm
.LBB48_137:
	s_cbranch_execz .LBB48_135
; %bb.138:
	v_or_b32_e32 v0, v10, v0
	s_mov_b32 s0, exec_lo
	s_delay_alu instid0(VALU_DEP_1)
	v_cmpx_eq_u32_e32 0, v0
	s_cbranch_execz .LBB48_142
; %bb.139:
	v_mbcnt_lo_u32_b32 v0, exec_lo, 0
	s_mov_b32 s1, exec_lo
	s_delay_alu instid0(VALU_DEP_1)
	v_cmpx_eq_u32_e32 0, v0
	s_cbranch_execz .LBB48_141
; %bb.140:
	s_add_i32 s2, s16, s17
	s_delay_alu instid0(SALU_CYCLE_1)
	v_dual_mov_b32 v0, 0 :: v_dual_mov_b32 v1, s2
	global_atomic_min_i32 v0, v1, s[10:11]
.LBB48_141:
	s_or_b32 exec_lo, exec_lo, s1
	s_delay_alu instid0(SALU_CYCLE_1)
	s_or_b32 s3, s3, exec_lo
.LBB48_142:
	s_or_b32 exec_lo, exec_lo, s0
	s_and_saveexec_b32 s0, s3
	s_cbranch_execz .LBB48_136
.LBB48_143:
	v_dual_mov_b32 v0, 0 :: v_dual_mov_b32 v1, 1
	s_add_u32 s0, s6, s8
	s_addc_u32 s1, s7, s9
	s_waitcnt_vscnt null, 0x0
	global_store_b32 v0, v1, s[0:1]
	s_nop 0
	s_sendmsg sendmsg(MSG_DEALLOC_VGPRS)
	s_endpgm
	.section	.rodata,"a",@progbits
	.p2align	6, 0x0
	.amdhsa_kernel _ZN9rocsparseL18bsric0_9_16_kernelILi64ELi32ELi16E21rocsparse_complex_numIfEEEv20rocsparse_direction_iiPKiS5_PT2_S5_PiS5_S8_21rocsparse_index_base_
		.amdhsa_group_segment_fixed_size 9088
		.amdhsa_private_segment_fixed_size 0
		.amdhsa_kernarg_size 76
		.amdhsa_user_sgpr_count 15
		.amdhsa_user_sgpr_dispatch_ptr 0
		.amdhsa_user_sgpr_queue_ptr 0
		.amdhsa_user_sgpr_kernarg_segment_ptr 1
		.amdhsa_user_sgpr_dispatch_id 0
		.amdhsa_user_sgpr_private_segment_size 0
		.amdhsa_wavefront_size32 1
		.amdhsa_uses_dynamic_stack 0
		.amdhsa_enable_private_segment 0
		.amdhsa_system_sgpr_workgroup_id_x 1
		.amdhsa_system_sgpr_workgroup_id_y 0
		.amdhsa_system_sgpr_workgroup_id_z 0
		.amdhsa_system_sgpr_workgroup_info 0
		.amdhsa_system_vgpr_workitem_id 1
		.amdhsa_next_free_vgpr 29
		.amdhsa_next_free_sgpr 44
		.amdhsa_reserve_vcc 1
		.amdhsa_float_round_mode_32 0
		.amdhsa_float_round_mode_16_64 0
		.amdhsa_float_denorm_mode_32 3
		.amdhsa_float_denorm_mode_16_64 3
		.amdhsa_dx10_clamp 1
		.amdhsa_ieee_mode 1
		.amdhsa_fp16_overflow 0
		.amdhsa_workgroup_processor_mode 1
		.amdhsa_memory_ordered 1
		.amdhsa_forward_progress 0
		.amdhsa_shared_vgpr_count 0
		.amdhsa_exception_fp_ieee_invalid_op 0
		.amdhsa_exception_fp_denorm_src 0
		.amdhsa_exception_fp_ieee_div_zero 0
		.amdhsa_exception_fp_ieee_overflow 0
		.amdhsa_exception_fp_ieee_underflow 0
		.amdhsa_exception_fp_ieee_inexact 0
		.amdhsa_exception_int_div_zero 0
	.end_amdhsa_kernel
	.section	.text._ZN9rocsparseL18bsric0_9_16_kernelILi64ELi32ELi16E21rocsparse_complex_numIfEEEv20rocsparse_direction_iiPKiS5_PT2_S5_PiS5_S8_21rocsparse_index_base_,"axG",@progbits,_ZN9rocsparseL18bsric0_9_16_kernelILi64ELi32ELi16E21rocsparse_complex_numIfEEEv20rocsparse_direction_iiPKiS5_PT2_S5_PiS5_S8_21rocsparse_index_base_,comdat
.Lfunc_end48:
	.size	_ZN9rocsparseL18bsric0_9_16_kernelILi64ELi32ELi16E21rocsparse_complex_numIfEEEv20rocsparse_direction_iiPKiS5_PT2_S5_PiS5_S8_21rocsparse_index_base_, .Lfunc_end48-_ZN9rocsparseL18bsric0_9_16_kernelILi64ELi32ELi16E21rocsparse_complex_numIfEEEv20rocsparse_direction_iiPKiS5_PT2_S5_PiS5_S8_21rocsparse_index_base_
                                        ; -- End function
	.section	.AMDGPU.csdata,"",@progbits
; Kernel info:
; codeLenInByte = 5120
; NumSgprs: 46
; NumVgprs: 29
; ScratchSize: 0
; MemoryBound: 0
; FloatMode: 240
; IeeeMode: 1
; LDSByteSize: 9088 bytes/workgroup (compile time only)
; SGPRBlocks: 5
; VGPRBlocks: 3
; NumSGPRsForWavesPerEU: 46
; NumVGPRsForWavesPerEU: 29
; Occupancy: 7
; WaveLimiterHint : 1
; COMPUTE_PGM_RSRC2:SCRATCH_EN: 0
; COMPUTE_PGM_RSRC2:USER_SGPR: 15
; COMPUTE_PGM_RSRC2:TRAP_HANDLER: 0
; COMPUTE_PGM_RSRC2:TGID_X_EN: 1
; COMPUTE_PGM_RSRC2:TGID_Y_EN: 0
; COMPUTE_PGM_RSRC2:TGID_Z_EN: 0
; COMPUTE_PGM_RSRC2:TIDIG_COMP_CNT: 1
	.section	.text._ZN9rocsparseL19bsric0_17_32_kernelILi64ELi32ELi32E21rocsparse_complex_numIfEEEv20rocsparse_direction_iiPKiS5_PT2_S5_PiS5_S8_21rocsparse_index_base_,"axG",@progbits,_ZN9rocsparseL19bsric0_17_32_kernelILi64ELi32ELi32E21rocsparse_complex_numIfEEEv20rocsparse_direction_iiPKiS5_PT2_S5_PiS5_S8_21rocsparse_index_base_,comdat
	.globl	_ZN9rocsparseL19bsric0_17_32_kernelILi64ELi32ELi32E21rocsparse_complex_numIfEEEv20rocsparse_direction_iiPKiS5_PT2_S5_PiS5_S8_21rocsparse_index_base_ ; -- Begin function _ZN9rocsparseL19bsric0_17_32_kernelILi64ELi32ELi32E21rocsparse_complex_numIfEEEv20rocsparse_direction_iiPKiS5_PT2_S5_PiS5_S8_21rocsparse_index_base_
	.p2align	8
	.type	_ZN9rocsparseL19bsric0_17_32_kernelILi64ELi32ELi32E21rocsparse_complex_numIfEEEv20rocsparse_direction_iiPKiS5_PT2_S5_PiS5_S8_21rocsparse_index_base_,@function
_ZN9rocsparseL19bsric0_17_32_kernelILi64ELi32ELi32E21rocsparse_complex_numIfEEEv20rocsparse_direction_iiPKiS5_PT2_S5_PiS5_S8_21rocsparse_index_base_: ; @_ZN9rocsparseL19bsric0_17_32_kernelILi64ELi32ELi32E21rocsparse_complex_numIfEEEv20rocsparse_direction_iiPKiS5_PT2_S5_PiS5_S8_21rocsparse_index_base_
; %bb.0:
	s_load_b256 s[4:11], s[0:1], 0x28
	s_mov_b32 s2, s15
	s_mov_b32 s3, 0
	v_and_b32_e32 v10, 0x3ff, v0
	s_lshl_b64 s[12:13], s[2:3], 2
	v_bfe_u32 v0, v0, 10, 10
	s_waitcnt lgkmcnt(0)
	s_add_u32 s8, s8, s12
	s_addc_u32 s9, s9, s13
	s_load_b32 s16, s[8:9], 0x0
	s_waitcnt lgkmcnt(0)
	s_ashr_i32 s17, s16, 31
	s_delay_alu instid0(SALU_CYCLE_1) | instskip(NEXT) | instid1(SALU_CYCLE_1)
	s_lshl_b64 s[8:9], s[16:17], 2
	s_add_u32 s12, s4, s8
	s_addc_u32 s13, s5, s9
	s_load_b32 s28, s[12:13], 0x0
	s_load_b32 s17, s[0:1], 0x48
	s_waitcnt lgkmcnt(0)
	s_cmp_lg_u32 s28, -1
	s_cbranch_scc0 .LBB49_125
; %bb.1:
	s_clause 0x1
	s_load_b128 s[12:15], s[0:1], 0x10
	s_load_b64 s[18:19], s[0:1], 0x20
	v_lshlrev_b32_e32 v1, 1, v0
	v_lshlrev_b32_e32 v13, 3, v0
	s_waitcnt lgkmcnt(0)
	s_add_u32 s2, s12, s8
	s_addc_u32 s3, s13, s9
	s_load_b32 s2, s[2:3], 0x0
	s_waitcnt lgkmcnt(0)
	s_sub_i32 s31, s2, s17
	s_mov_b32 s2, exec_lo
	v_add3_u32 v1, v1, v10, s31
	s_delay_alu instid0(VALU_DEP_1)
	v_cmpx_ge_i32_e64 s28, v1
	s_cbranch_execz .LBB49_4
; %bb.2:
	v_lshlrev_b32_e32 v2, 2, v10
	s_mov_b32 s3, 0
	s_delay_alu instid0(VALU_DEP_1)
	v_add3_u32 v3, v13, v2, 0x6400
	.p2align	6
.LBB49_3:                               ; =>This Inner Loop Header: Depth=1
	v_ashrrev_i32_e32 v2, 31, v1
	s_delay_alu instid0(VALU_DEP_1) | instskip(SKIP_1) | instid1(VALU_DEP_2)
	v_lshlrev_b64 v[4:5], 2, v[1:2]
	v_add_nc_u32_e32 v1, 64, v1
	v_add_co_u32 v4, vcc_lo, s14, v4
	s_delay_alu instid0(VALU_DEP_3) | instskip(NEXT) | instid1(VALU_DEP_3)
	v_add_co_ci_u32_e32 v5, vcc_lo, s15, v5, vcc_lo
	v_cmp_lt_i32_e32 vcc_lo, s28, v1
	global_load_b32 v2, v[4:5], off
	s_or_b32 s3, vcc_lo, s3
	s_waitcnt vmcnt(0)
	v_subrev_nc_u32_e32 v2, s17, v2
	ds_store_b32 v3, v2
	v_add_nc_u32_e32 v3, 0x100, v3
	s_and_not1_b32 exec_lo, exec_lo, s3
	s_cbranch_execnz .LBB49_3
.LBB49_4:
	s_or_b32 exec_lo, exec_lo, s2
	v_mul_u32_u24_e32 v11, 0x108, v0
	v_lshlrev_b32_e32 v12, 3, v10
	s_mov_b32 s2, exec_lo
	v_cmpx_gt_u32_e32 32, v10
	s_cbranch_execz .LBB49_7
; %bb.5:
	v_mov_b32_e32 v1, 0
	v_add_nc_u32_e32 v3, -2, v10
	v_add3_u32 v4, v11, v12, 0x4200
	s_mov_b32 s3, 0
	s_delay_alu instid0(VALU_DEP_3)
	v_mov_b32_e32 v2, v1
.LBB49_6:                               ; =>This Inner Loop Header: Depth=1
	s_delay_alu instid0(VALU_DEP_3) | instskip(SKIP_4) | instid1(SALU_CYCLE_1)
	v_add_nc_u32_e32 v3, 2, v3
	ds_store_b64 v4, v[1:2]
	v_add_nc_u32_e32 v4, 16, v4
	v_cmp_lt_u32_e32 vcc_lo, 29, v3
	s_or_b32 s3, vcc_lo, s3
	s_and_not1_b32 exec_lo, exec_lo, s3
	s_cbranch_execnz .LBB49_6
.LBB49_7:
	s_or_b32 exec_lo, exec_lo, s2
	s_clause 0x1
	s_load_b32 s29, s[0:1], 0x8
	s_load_b32 s30, s[0:1], 0x0
	s_cmp_ge_i32 s31, s28
	s_waitcnt lgkmcnt(0)
	buffer_gl0_inv
	v_cmp_gt_i32_e64 s0, s29, v10
	s_cbranch_scc1 .LBB49_80
; %bb.8:
	v_mad_u64_u32 v[1:2], null, s29, s31, v[0:1]
	v_or_b32_e32 v2, v10, v0
	v_mad_u32_u24 v15, 0x108, v0, v12
	s_cmp_eq_u32 s30, 0
	v_mul_lo_u32 v14, v0, s29
	v_mul_lo_u32 v16, v10, s29
	s_movk_i32 s3, 0x2100
	v_mul_lo_u32 v18, s29, v1
	s_cselect_b32 s33, -1, 0
	s_cmp_lg_u32 s30, 0
	v_cmp_gt_i32_e64 s1, s29, v0
	v_cmp_ne_u32_e64 s2, 0, v2
	v_mad_u32_u24 v17, 0x108, v0, s3
	v_mad_u32_u24 v19, 0x108, v10, s3
	v_dual_mov_b32 v1, 0 :: v_dual_add_nc_u32 v20, 0x4200, v15
	v_add_nc_u32_e32 v21, 0x2100, v15
	s_cselect_b32 s34, -1, 0
	s_cmp_gt_i32 s29, 0
	s_mul_i32 s36, s29, s29
	s_cselect_b32 s35, -1, 0
	s_lshl_b32 s37, s29, 1
	s_mov_b32 s20, s31
	s_branch .LBB49_10
.LBB49_9:                               ;   in Loop: Header=BB49_10 Depth=1
	s_set_inst_prefetch_distance 0x2
	s_or_b32 exec_lo, exec_lo, s3
	s_add_i32 s20, s20, 1
	v_add_nc_u32_e32 v18, s36, v18
	s_cmp_ge_i32 s20, s28
	s_waitcnt_vscnt null, 0x0
	buffer_gl1_inv
	buffer_gl0_inv
	s_cselect_b32 s3, -1, 0
	s_delay_alu instid0(SALU_CYCLE_1)
	s_and_b32 vcc_lo, exec_lo, s3
	s_cbranch_vccnz .LBB49_80
.LBB49_10:                              ; =>This Loop Header: Depth=1
                                        ;     Child Loop BB49_14 Depth 2
                                        ;     Child Loop BB49_27 Depth 2
	;; [unrolled: 1-line block ×4, first 2 shown]
                                        ;       Child Loop BB49_45 Depth 3
                                        ;     Child Loop BB49_58 Depth 2
                                        ;       Child Loop BB49_65 Depth 3
                                        ;       Child Loop BB49_69 Depth 3
                                        ;     Child Loop BB49_74 Depth 2
	s_ashr_i32 s21, s20, 31
	s_delay_alu instid0(SALU_CYCLE_1) | instskip(NEXT) | instid1(SALU_CYCLE_1)
	s_lshl_b64 s[22:23], s[20:21], 2
	s_add_u32 s22, s14, s22
	s_addc_u32 s23, s15, s23
	s_load_b32 s38, s[22:23], 0x0
	s_waitcnt lgkmcnt(0)
	s_sub_i32 s24, s38, s17
	s_delay_alu instid0(SALU_CYCLE_1) | instskip(NEXT) | instid1(SALU_CYCLE_1)
	s_ashr_i32 s25, s24, 31
	s_lshl_b64 s[22:23], s[24:25], 2
	s_delay_alu instid0(SALU_CYCLE_1)
	s_add_u32 s26, s4, s22
	s_addc_u32 s27, s5, s23
	s_load_b32 s3, s[26:27], 0x0
	s_waitcnt lgkmcnt(0)
	s_cmp_eq_u32 s3, -1
	s_cbranch_scc1 .LBB49_79
; %bb.11:                               ;   in Loop: Header=BB49_10 Depth=1
	s_add_u32 s26, s12, s22
	s_addc_u32 s27, s13, s23
	s_mul_i32 s21, s20, s29
	s_load_b32 s25, s[26:27], 0x0
	s_and_saveexec_b32 s26, s0
	s_cbranch_execz .LBB49_24
; %bb.12:                               ;   in Loop: Header=BB49_10 Depth=1
	v_dual_mov_b32 v5, v15 :: v_dual_mov_b32 v6, v10
	s_mov_b32 s27, 0
	s_branch .LBB49_14
.LBB49_13:                              ;   in Loop: Header=BB49_14 Depth=2
	s_or_b32 exec_lo, exec_lo, s40
	v_add_nc_u32_e32 v6, 2, v6
	v_mov_b32_e32 v2, v1
	s_waitcnt vmcnt(0)
	ds_store_b64 v5, v[3:4] offset:8448
	ds_store_b64 v5, v[1:2]
	v_add_nc_u32_e32 v5, 16, v5
	v_cmp_le_i32_e32 vcc_lo, s29, v6
	s_or_b32 s27, vcc_lo, s27
	s_delay_alu instid0(SALU_CYCLE_1)
	s_and_not1_b32 exec_lo, exec_lo, s27
	s_cbranch_execz .LBB49_24
.LBB49_14:                              ;   Parent Loop BB49_10 Depth=1
                                        ; =>  This Inner Loop Header: Depth=2
	s_and_b32 vcc_lo, exec_lo, s34
	s_cbranch_vccz .LBB49_18
; %bb.15:                               ;   in Loop: Header=BB49_14 Depth=2
	s_mov_b32 s40, 0
	s_mov_b32 s39, 0
                                        ; implicit-def: $vgpr2
	s_and_saveexec_b32 s41, s1
	s_delay_alu instid0(SALU_CYCLE_1)
	s_xor_b32 s41, exec_lo, s41
; %bb.16:                               ;   in Loop: Header=BB49_14 Depth=2
	v_add_nc_u32_e32 v4, s21, v6
	s_mov_b32 s39, exec_lo
	s_delay_alu instid0(VALU_DEP_1)
	v_mad_u64_u32 v[2:3], null, v4, s29, v[0:1]
; %bb.17:                               ;   in Loop: Header=BB49_14 Depth=2
	s_or_b32 exec_lo, exec_lo, s41
	s_delay_alu instid0(SALU_CYCLE_1)
	s_and_b32 vcc_lo, exec_lo, s40
	s_cbranch_vccnz .LBB49_19
	s_branch .LBB49_22
.LBB49_18:                              ;   in Loop: Header=BB49_14 Depth=2
	s_mov_b32 s40, -1
	s_mov_b32 s39, 0
                                        ; implicit-def: $vgpr2
	s_cbranch_execz .LBB49_22
.LBB49_19:                              ;   in Loop: Header=BB49_14 Depth=2
                                        ; implicit-def: $vgpr2
	s_and_saveexec_b32 s40, s1
; %bb.20:                               ;   in Loop: Header=BB49_14 Depth=2
	v_add_nc_u32_e32 v2, v18, v6
	s_or_b32 s39, s39, exec_lo
; %bb.21:                               ;   in Loop: Header=BB49_14 Depth=2
	s_or_b32 exec_lo, exec_lo, s40
	s_mov_b32 s40, 0
.LBB49_22:                              ;   in Loop: Header=BB49_14 Depth=2
	s_delay_alu instid0(SALU_CYCLE_1)
	v_dual_mov_b32 v3, s40 :: v_dual_mov_b32 v4, s40
	s_and_saveexec_b32 s40, s39
	s_cbranch_execz .LBB49_13
; %bb.23:                               ;   in Loop: Header=BB49_14 Depth=2
	v_ashrrev_i32_e32 v3, 31, v2
	s_delay_alu instid0(VALU_DEP_1) | instskip(NEXT) | instid1(VALU_DEP_1)
	v_lshlrev_b64 v[2:3], 3, v[2:3]
	v_add_co_u32 v2, vcc_lo, s18, v2
	s_delay_alu instid0(VALU_DEP_2)
	v_add_co_ci_u32_e32 v3, vcc_lo, s19, v3, vcc_lo
	global_load_b64 v[3:4], v[2:3], off
	s_branch .LBB49_13
.LBB49_24:                              ;   in Loop: Header=BB49_10 Depth=1
	s_or_b32 exec_lo, exec_lo, s26
; %bb.25:                               ;   in Loop: Header=BB49_10 Depth=1
	ds_load_b32 v2, v1 offset:25600
	s_waitcnt lgkmcnt(0)
	s_sub_i32 s26, s25, s17
	s_mov_b32 s27, 0
	s_cmp_le_i32 s26, s3
	s_cselect_b32 s25, -1, 0
	v_cmp_ge_i32_e32 vcc_lo, s24, v2
	s_and_b32 s25, s25, vcc_lo
	s_delay_alu instid0(SALU_CYCLE_1)
	s_and_not1_b32 vcc_lo, exec_lo, s25
	s_cbranch_vccnz .LBB49_37
; %bb.26:                               ;   in Loop: Header=BB49_10 Depth=1
	s_mov_b32 s25, 0
	s_mov_b32 s39, 0
.LBB49_27:                              ;   Parent Loop BB49_10 Depth=1
                                        ; =>  This Inner Loop Header: Depth=2
	s_ashr_i32 s27, s26, 31
	s_mov_b32 s43, -1
	s_lshl_b64 s[40:41], s[26:27], 2
                                        ; implicit-def: $sgpr42
	s_delay_alu instid0(SALU_CYCLE_1) | instskip(SKIP_2) | instid1(SALU_CYCLE_1)
	s_add_u32 s40, s14, s40
	s_addc_u32 s41, s15, s41
	s_lshl_b32 s27, s39, 2
	v_mov_b32_e32 v2, s27
	s_load_b32 s27, s[40:41], 0x0
                                        ; implicit-def: $sgpr41
	ds_load_b32 v2, v2 offset:25600
	s_waitcnt lgkmcnt(0)
	s_sub_i32 s44, s27, s17
                                        ; implicit-def: $sgpr27
	s_delay_alu instid0(SALU_CYCLE_1)
	v_cmp_ge_i32_e32 vcc_lo, s44, v2
	v_readfirstlane_b32 s40, v2
	s_cbranch_vccz .LBB49_33
; %bb.28:                               ;   in Loop: Header=BB49_27 Depth=2
	s_delay_alu instid0(VALU_DEP_1)
	s_cmp_le_i32 s44, s40
                                        ; implicit-def: $sgpr27
                                        ; implicit-def: $sgpr42
                                        ; implicit-def: $sgpr41
	s_cbranch_scc0 .LBB49_30
; %bb.29:                               ;   in Loop: Header=BB49_27 Depth=2
	s_add_i32 s27, s39, s31
	s_lshl_b32 s41, s25, 2
	s_mul_i32 s27, s27, s36
	s_mul_i32 s42, s26, s36
	s_delay_alu instid0(SALU_CYCLE_1)
	v_dual_mov_b32 v2, s27 :: v_dual_mov_b32 v3, s42
	v_add_nc_u32_e64 v4, 0x6000, s41
	s_add_i32 s41, s39, 1
	s_add_i32 s42, s26, 1
	;; [unrolled: 1-line block ×3, first 2 shown]
	s_mov_b32 s43, 0
	ds_store_2addr_b32 v4, v3, v2 offset0:192 offset1:224
.LBB49_30:                              ;   in Loop: Header=BB49_27 Depth=2
	s_and_not1_b32 vcc_lo, exec_lo, s43
	s_cbranch_vccnz .LBB49_32
; %bb.31:                               ;   in Loop: Header=BB49_27 Depth=2
	s_add_i32 s41, s39, 1
	s_mov_b32 s27, s25
	s_mov_b32 s42, s26
.LBB49_32:                              ;   in Loop: Header=BB49_27 Depth=2
	s_mov_b32 s43, 0
.LBB49_33:                              ;   in Loop: Header=BB49_27 Depth=2
	s_delay_alu instid0(SALU_CYCLE_1)
	s_and_not1_b32 vcc_lo, exec_lo, s43
	s_cbranch_vccnz .LBB49_35
; %bb.34:                               ;   in Loop: Header=BB49_27 Depth=2
	s_add_i32 s42, s26, 1
	s_mov_b32 s41, s39
	s_mov_b32 s27, s25
.LBB49_35:                              ;   in Loop: Header=BB49_27 Depth=2
	s_cmp_le_i32 s42, s3
	s_cselect_b32 s25, -1, 0
	s_cmp_le_i32 s40, s24
	s_cselect_b32 s26, -1, 0
	s_delay_alu instid0(SALU_CYCLE_1) | instskip(NEXT) | instid1(SALU_CYCLE_1)
	s_and_b32 s25, s25, s26
	s_and_b32 vcc_lo, exec_lo, s25
	s_cbranch_vccz .LBB49_37
; %bb.36:                               ;   in Loop: Header=BB49_27 Depth=2
	s_mov_b32 s25, s27
	s_mov_b32 s26, s42
	;; [unrolled: 1-line block ×3, first 2 shown]
	s_branch .LBB49_27
.LBB49_37:                              ;   in Loop: Header=BB49_10 Depth=1
	s_add_u32 s22, s6, s22
	s_addc_u32 s23, s7, s23
	s_waitcnt lgkmcnt(0)
	buffer_gl0_inv
.LBB49_38:                              ;   Parent Loop BB49_10 Depth=1
                                        ; =>  This Inner Loop Header: Depth=2
	global_load_b32 v2, v1, s[22:23] glc
	s_waitcnt vmcnt(0)
	v_cmp_eq_u32_e32 vcc_lo, 0, v2
	s_cbranch_vccnz .LBB49_38
; %bb.39:                               ;   in Loop: Header=BB49_10 Depth=1
	s_cmp_lt_i32 s27, 2
	buffer_gl1_inv
	buffer_gl0_inv
	s_cbranch_scc1 .LBB49_55
; %bb.40:                               ;   in Loop: Header=BB49_10 Depth=1
	s_add_i32 s22, s27, -2
	s_mov_b32 s23, 0
	s_branch .LBB49_42
.LBB49_41:                              ;   in Loop: Header=BB49_42 Depth=2
	s_or_b32 exec_lo, exec_lo, s24
	s_add_i32 s24, s23, 1
	s_cmp_eq_u32 s23, s22
	s_mov_b32 s23, s24
	s_cbranch_scc1 .LBB49_55
.LBB49_42:                              ;   Parent Loop BB49_10 Depth=1
                                        ; =>  This Loop Header: Depth=2
                                        ;       Child Loop BB49_45 Depth 3
	s_and_saveexec_b32 s24, s0
	s_cbranch_execz .LBB49_41
; %bb.43:                               ;   in Loop: Header=BB49_42 Depth=2
	s_lshl_b32 s25, s23, 2
	v_mov_b32_e32 v26, v10
	v_add_nc_u32_e64 v2, 0x6000, s25
	s_mov_b32 s25, 0
	ds_load_2addr_b32 v[2:3], v2 offset0:192 offset1:224
	s_waitcnt lgkmcnt(0)
	v_add_nc_u32_e32 v22, v3, v14
	v_add_nc_u32_e32 v23, v0, v3
	;; [unrolled: 1-line block ×4, first 2 shown]
	s_branch .LBB49_45
.LBB49_44:                              ;   in Loop: Header=BB49_45 Depth=3
	v_lshlrev_b32_e32 v2, 3, v26
	v_add_nc_u32_e32 v26, 2, v26
	v_add_nc_u32_e32 v24, 2, v24
	;; [unrolled: 1-line block ×3, first 2 shown]
	s_delay_alu instid0(VALU_DEP_4) | instskip(NEXT) | instid1(VALU_DEP_4)
	v_mad_u32_u24 v4, 0x108, v0, v2
	v_cmp_le_i32_e32 vcc_lo, s29, v26
	ds_load_b64 v[6:7], v4
	s_or_b32 s25, vcc_lo, s25
	s_waitcnt lgkmcnt(0)
	v_dual_add_f32 v2, v3, v6 :: v_dual_add_f32 v3, v5, v7
	ds_store_b64 v4, v[2:3]
	s_and_not1_b32 exec_lo, exec_lo, s25
	s_cbranch_execz .LBB49_41
.LBB49_45:                              ;   Parent Loop BB49_10 Depth=1
                                        ;     Parent Loop BB49_42 Depth=2
                                        ; =>    This Inner Loop Header: Depth=3
	s_delay_alu instid0(VALU_DEP_2)
	v_dual_mov_b32 v27, 0 :: v_dual_mov_b32 v2, v24
	v_mov_b32_e32 v4, v23
	v_mov_b32_e32 v28, 0
	s_mov_b32 s26, 0
	s_and_b32 vcc_lo, exec_lo, s34
	s_cbranch_vccz .LBB49_49
.LBB49_46:                              ;   in Loop: Header=BB49_45 Depth=3
	v_ashrrev_i32_e32 v3, 31, v2
	v_dual_mov_b32 v8, 0 :: v_dual_mov_b32 v9, 0
	s_mov_b32 s27, 0
	s_delay_alu instid0(VALU_DEP_2) | instskip(NEXT) | instid1(VALU_DEP_1)
	v_lshlrev_b64 v[5:6], 3, v[2:3]
	v_add_co_u32 v5, vcc_lo, s18, v5
	s_delay_alu instid0(VALU_DEP_2)
	v_add_co_ci_u32_e32 v6, vcc_lo, s19, v6, vcc_lo
	global_load_b64 v[6:7], v[5:6], off
	s_and_saveexec_b32 s39, s1
	s_cbranch_execz .LBB49_48
; %bb.47:                               ;   in Loop: Header=BB49_45 Depth=3
	v_ashrrev_i32_e32 v5, 31, v4
	s_delay_alu instid0(VALU_DEP_1) | instskip(NEXT) | instid1(VALU_DEP_1)
	v_lshlrev_b64 v[8:9], 3, v[4:5]
	v_add_co_u32 v8, vcc_lo, s18, v8
	s_delay_alu instid0(VALU_DEP_2)
	v_add_co_ci_u32_e32 v9, vcc_lo, s19, v9, vcc_lo
	global_load_b64 v[8:9], v[8:9], off
.LBB49_48:                              ;   in Loop: Header=BB49_45 Depth=3
	s_or_b32 exec_lo, exec_lo, s39
	s_waitcnt vmcnt(0)
	v_fma_f32 v3, v6, v8, v28
	v_fma_f32 v5, v7, v8, v27
	s_delay_alu instid0(VALU_DEP_2) | instskip(NEXT) | instid1(VALU_DEP_2)
	v_fmac_f32_e32 v3, v7, v9
	v_fma_f32 v5, v6, -v9, v5
	s_and_b32 vcc_lo, exec_lo, s27
	s_cbranch_vccnz .LBB49_50
	s_branch .LBB49_53
.LBB49_49:                              ;   in Loop: Header=BB49_45 Depth=3
                                        ; implicit-def: $vgpr5
                                        ; implicit-def: $vgpr3
	s_cbranch_execz .LBB49_53
.LBB49_50:                              ;   in Loop: Header=BB49_45 Depth=3
	v_dual_mov_b32 v8, 0 :: v_dual_add_nc_u32 v5, s26, v25
	v_mov_b32_e32 v7, 0
	s_delay_alu instid0(VALU_DEP_2) | instskip(NEXT) | instid1(VALU_DEP_1)
	v_ashrrev_i32_e32 v6, 31, v5
	v_lshlrev_b64 v[5:6], 3, v[5:6]
	s_delay_alu instid0(VALU_DEP_1) | instskip(NEXT) | instid1(VALU_DEP_2)
	v_add_co_u32 v5, vcc_lo, s18, v5
	v_add_co_ci_u32_e32 v6, vcc_lo, s19, v6, vcc_lo
	global_load_b64 v[5:6], v[5:6], off
	s_and_saveexec_b32 s27, s1
	s_cbranch_execz .LBB49_52
; %bb.51:                               ;   in Loop: Header=BB49_45 Depth=3
	v_add_nc_u32_e32 v7, s26, v22
	s_delay_alu instid0(VALU_DEP_1) | instskip(NEXT) | instid1(VALU_DEP_1)
	v_ashrrev_i32_e32 v8, 31, v7
	v_lshlrev_b64 v[7:8], 3, v[7:8]
	s_delay_alu instid0(VALU_DEP_1) | instskip(NEXT) | instid1(VALU_DEP_2)
	v_add_co_u32 v7, vcc_lo, s18, v7
	v_add_co_ci_u32_e32 v8, vcc_lo, s19, v8, vcc_lo
	global_load_b64 v[7:8], v[7:8], off
.LBB49_52:                              ;   in Loop: Header=BB49_45 Depth=3
	s_or_b32 exec_lo, exec_lo, s27
	s_waitcnt vmcnt(0)
	v_fmac_f32_e32 v28, v5, v7
	v_fmac_f32_e32 v27, v6, v7
	s_delay_alu instid0(VALU_DEP_2) | instskip(NEXT) | instid1(VALU_DEP_2)
	v_fmac_f32_e32 v28, v6, v8
	v_fma_f32 v5, v5, -v8, v27
	s_delay_alu instid0(VALU_DEP_2)
	v_mov_b32_e32 v3, v28
.LBB49_53:                              ;   in Loop: Header=BB49_45 Depth=3
	v_add_nc_u32_e32 v4, s29, v4
	v_add_nc_u32_e32 v2, s29, v2
	s_add_i32 s26, s26, 1
	s_delay_alu instid0(SALU_CYCLE_1)
	s_cmp_eq_u32 s29, s26
	s_cbranch_scc1 .LBB49_44
; %bb.54:                               ;   in Loop: Header=BB49_45 Depth=3
	v_dual_mov_b32 v27, v5 :: v_dual_mov_b32 v28, v3
	s_and_b32 vcc_lo, exec_lo, s34
	s_cbranch_vccz .LBB49_49
	s_branch .LBB49_46
.LBB49_55:                              ;   in Loop: Header=BB49_10 Depth=1
	s_and_not1_b32 vcc_lo, exec_lo, s35
	s_waitcnt lgkmcnt(0)
	buffer_gl0_inv
	s_cbranch_vccnz .LBB49_70
; %bb.56:                               ;   in Loop: Header=BB49_10 Depth=1
	v_mov_b32_e32 v6, v19
	s_mul_i32 s24, s36, s3
	s_mov_b32 s25, 0
	s_mov_b32 s26, s24
	s_branch .LBB49_58
.LBB49_57:                              ;   in Loop: Header=BB49_58 Depth=2
	s_or_b32 exec_lo, exec_lo, s3
	v_add_nc_u32_e32 v6, 8, v6
	s_add_i32 s25, s25, 1
	s_add_i32 s26, s26, 1
	s_cmp_eq_u32 s25, s29
	s_waitcnt lgkmcnt(0)
	buffer_gl0_inv
	s_cbranch_scc1 .LBB49_70
.LBB49_58:                              ;   Parent Loop BB49_10 Depth=1
                                        ; =>  This Loop Header: Depth=2
                                        ;       Child Loop BB49_65 Depth 3
                                        ;       Child Loop BB49_69 Depth 3
	s_mul_i32 s27, s25, s29
	v_lshl_add_u32 v9, s25, 3, v11
	s_add_i32 s27, s27, s24
	s_delay_alu instid0(SALU_CYCLE_1) | instskip(SKIP_2) | instid1(SALU_CYCLE_1)
	s_add_i32 s22, s27, s25
	ds_load_b64 v[2:3], v9 offset:8448
	s_ashr_i32 s23, s22, 31
	s_lshl_b64 s[22:23], s[22:23], 3
	s_delay_alu instid0(SALU_CYCLE_1)
	s_add_u32 s22, s18, s22
	s_addc_u32 s23, s19, s23
	global_load_b64 v[4:5], v1, s[22:23]
	s_waitcnt vmcnt(0)
	v_cmp_neq_f32_e32 vcc_lo, 0, v4
	v_cmp_neq_f32_e64 s3, 0, v5
	s_delay_alu instid0(VALU_DEP_1) | instskip(SKIP_2) | instid1(SALU_CYCLE_1)
	s_or_b32 vcc_lo, vcc_lo, s3
	v_dual_cndmask_b32 v7, 1.0, v4 :: v_dual_cndmask_b32 v8, 0, v5
	s_or_b32 s3, vcc_lo, s2
	s_xor_b32 s22, s3, -1
	s_delay_alu instid0(SALU_CYCLE_1)
	s_and_saveexec_b32 s3, s22
	s_cbranch_execz .LBB49_62
; %bb.59:                               ;   in Loop: Header=BB49_58 Depth=2
	v_mbcnt_lo_u32_b32 v4, exec_lo, 0
	s_mov_b32 s22, exec_lo
	s_delay_alu instid0(VALU_DEP_1)
	v_cmpx_eq_u32_e32 0, v4
	s_cbranch_execz .LBB49_61
; %bb.60:                               ;   in Loop: Header=BB49_58 Depth=2
	v_mov_b32_e32 v4, s38
	global_atomic_min_i32 v1, v4, s[10:11]
.LBB49_61:                              ;   in Loop: Header=BB49_58 Depth=2
	s_or_b32 exec_lo, exec_lo, s22
	v_dual_mov_b32 v7, 1.0 :: v_dual_mov_b32 v8, 0
.LBB49_62:                              ;   in Loop: Header=BB49_58 Depth=2
	s_or_b32 exec_lo, exec_lo, s3
	ds_load_b64 v[4:5], v9
	s_cmp_eq_u32 s25, 0
	s_cbranch_scc1 .LBB49_67
; %bb.63:                               ;   in Loop: Header=BB49_58 Depth=2
	v_mov_b32_e32 v22, v17
	s_mov_b32 s3, 0
	s_mov_b32 s39, s26
	s_branch .LBB49_65
	.p2align	6
.LBB49_64:                              ;   in Loop: Header=BB49_65 Depth=3
	s_ashr_i32 s23, s22, 31
	ds_load_b64 v[25:26], v22
	s_lshl_b64 s[22:23], s[22:23], 3
	v_add_nc_u32_e32 v22, 8, v22
	s_add_u32 s22, s18, s22
	s_addc_u32 s23, s19, s23
	s_add_i32 s3, s3, 1
	global_load_b64 v[23:24], v1, s[22:23]
	s_add_i32 s39, s39, s29
	s_cmp_ge_u32 s3, s25
	s_waitcnt vmcnt(0) lgkmcnt(0)
	v_fmac_f32_e32 v4, v23, v25
	v_fmac_f32_e32 v5, v24, v25
	s_delay_alu instid0(VALU_DEP_2) | instskip(NEXT) | instid1(VALU_DEP_2)
	v_fmac_f32_e32 v4, v24, v26
	v_fma_f32 v5, v23, -v26, v5
	s_cbranch_scc1 .LBB49_67
.LBB49_65:                              ;   Parent Loop BB49_10 Depth=1
                                        ;     Parent Loop BB49_58 Depth=2
                                        ; =>    This Inner Loop Header: Depth=3
	s_and_not1_b32 vcc_lo, exec_lo, s33
	s_mov_b32 s22, s39
	s_cbranch_vccnz .LBB49_64
; %bb.66:                               ;   in Loop: Header=BB49_65 Depth=3
	s_add_i32 s22, s3, s27
	s_branch .LBB49_64
.LBB49_67:                              ;   in Loop: Header=BB49_58 Depth=2
	v_dual_mul_f32 v22, v8, v8 :: v_dual_add_nc_u32 v9, 0x2100, v9
	s_waitcnt lgkmcnt(0)
	s_delay_alu instid0(VALU_DEP_2) | instskip(NEXT) | instid1(VALU_DEP_2)
	v_dual_sub_f32 v2, v2, v4 :: v_dual_sub_f32 v3, v3, v5
	v_fmac_f32_e32 v22, v7, v7
	s_delay_alu instid0(VALU_DEP_2) | instskip(NEXT) | instid1(VALU_DEP_3)
	v_mul_f32_e32 v4, v8, v3
	v_mul_f32_e64 v8, v8, -v2
	s_delay_alu instid0(VALU_DEP_3) | instskip(SKIP_1) | instid1(VALU_DEP_3)
	v_div_scale_f32 v23, null, v22, v22, 1.0
	v_div_scale_f32 v26, vcc_lo, 1.0, v22, 1.0
	v_fmac_f32_e32 v8, v3, v7
	s_delay_alu instid0(VALU_DEP_3) | instskip(SKIP_2) | instid1(VALU_DEP_1)
	v_rcp_f32_e32 v24, v23
	s_waitcnt_depctr 0xfff
	v_fma_f32 v25, -v23, v24, 1.0
	v_fmac_f32_e32 v24, v25, v24
	s_delay_alu instid0(VALU_DEP_1) | instskip(NEXT) | instid1(VALU_DEP_1)
	v_mul_f32_e32 v25, v26, v24
	v_fma_f32 v27, -v23, v25, v26
	s_delay_alu instid0(VALU_DEP_1) | instskip(NEXT) | instid1(VALU_DEP_1)
	v_fmac_f32_e32 v25, v27, v24
	v_fma_f32 v5, -v23, v25, v26
	s_delay_alu instid0(VALU_DEP_1) | instskip(NEXT) | instid1(VALU_DEP_1)
	v_div_fmas_f32 v5, v5, v24, v25
	v_div_fixup_f32 v5, v5, v22, 1.0
	s_delay_alu instid0(VALU_DEP_1) | instskip(NEXT) | instid1(VALU_DEP_1)
	v_dual_fmac_f32 v4, v2, v7 :: v_dual_mul_f32 v3, v5, v8
	v_mul_f32_e32 v2, v5, v4
	ds_store_b64 v9, v[2:3]
	s_waitcnt lgkmcnt(0)
	s_waitcnt_vscnt null, 0x0
	buffer_gl0_inv
	s_and_saveexec_b32 s3, s0
	s_cbranch_execz .LBB49_57
; %bb.68:                               ;   in Loop: Header=BB49_58 Depth=2
	v_dual_mov_b32 v4, v20 :: v_dual_mov_b32 v5, v6
	v_mov_b32_e32 v7, v10
	s_mov_b32 s22, 0
	.p2align	6
.LBB49_69:                              ;   Parent Loop BB49_10 Depth=1
                                        ;     Parent Loop BB49_58 Depth=2
                                        ; =>    This Inner Loop Header: Depth=3
	ds_load_b64 v[8:9], v5
	ds_load_b64 v[22:23], v4
	v_add_nc_u32_e32 v5, 0x210, v5
	s_waitcnt lgkmcnt(0)
	v_fma_f32 v22, v2, v8, v22
	v_fmac_f32_e32 v23, v3, v8
	s_delay_alu instid0(VALU_DEP_2) | instskip(NEXT) | instid1(VALU_DEP_2)
	v_dual_fmac_f32 v22, v3, v9 :: v_dual_add_nc_u32 v7, 2, v7
	v_fma_f32 v23, v2, -v9, v23
	s_delay_alu instid0(VALU_DEP_2) | instskip(SKIP_3) | instid1(SALU_CYCLE_1)
	v_cmp_le_i32_e32 vcc_lo, s29, v7
	ds_store_b64 v4, v[22:23]
	v_add_nc_u32_e32 v4, 16, v4
	s_or_b32 s22, vcc_lo, s22
	s_and_not1_b32 exec_lo, exec_lo, s22
	s_cbranch_execnz .LBB49_69
	s_branch .LBB49_57
.LBB49_70:                              ;   in Loop: Header=BB49_10 Depth=1
	s_and_saveexec_b32 s3, s0
	s_cbranch_execz .LBB49_9
; %bb.71:                               ;   in Loop: Header=BB49_10 Depth=1
	v_dual_mov_b32 v4, v21 :: v_dual_mov_b32 v5, v10
	s_mov_b32 s22, 0
	s_set_inst_prefetch_distance 0x1
	s_branch .LBB49_74
	.p2align	6
.LBB49_72:                              ;   in Loop: Header=BB49_74 Depth=2
	ds_load_b64 v[6:7], v4
	v_ashrrev_i32_e32 v3, 31, v2
	s_delay_alu instid0(VALU_DEP_1) | instskip(NEXT) | instid1(VALU_DEP_1)
	v_lshlrev_b64 v[2:3], 3, v[2:3]
	v_add_co_u32 v2, vcc_lo, s18, v2
	s_delay_alu instid0(VALU_DEP_2)
	v_add_co_ci_u32_e32 v3, vcc_lo, s19, v3, vcc_lo
	s_waitcnt lgkmcnt(0)
	global_store_b64 v[2:3], v[6:7], off
.LBB49_73:                              ;   in Loop: Header=BB49_74 Depth=2
	s_or_b32 exec_lo, exec_lo, s23
	v_add_nc_u32_e32 v5, 2, v5
	v_add_nc_u32_e32 v4, 16, v4
	s_delay_alu instid0(VALU_DEP_2) | instskip(SKIP_1) | instid1(SALU_CYCLE_1)
	v_cmp_le_i32_e32 vcc_lo, s29, v5
	s_or_b32 s22, vcc_lo, s22
	s_and_not1_b32 exec_lo, exec_lo, s22
	s_cbranch_execz .LBB49_9
.LBB49_74:                              ;   Parent Loop BB49_10 Depth=1
                                        ; =>  This Inner Loop Header: Depth=2
	s_and_saveexec_b32 s23, s1
	s_cbranch_execz .LBB49_73
; %bb.75:                               ;   in Loop: Header=BB49_74 Depth=2
	s_and_b32 vcc_lo, exec_lo, s34
	s_cbranch_vccz .LBB49_77
; %bb.76:                               ;   in Loop: Header=BB49_74 Depth=2
	v_add_nc_u32_e32 v6, s21, v5
	s_delay_alu instid0(VALU_DEP_1)
	v_mad_u64_u32 v[2:3], null, v6, s29, v[0:1]
	s_cbranch_execnz .LBB49_72
	s_branch .LBB49_78
	.p2align	6
.LBB49_77:                              ;   in Loop: Header=BB49_74 Depth=2
                                        ; implicit-def: $vgpr2
.LBB49_78:                              ;   in Loop: Header=BB49_74 Depth=2
	v_add_nc_u32_e32 v2, v18, v5
	s_branch .LBB49_72
.LBB49_79:                              ;   in Loop: Header=BB49_10 Depth=1
                                        ; implicit-def: $sgpr20
                                        ; implicit-def: $vgpr18
	s_cbranch_execz .LBB49_10
.LBB49_80:
	v_cmp_gt_i32_e64 s0, s29, v10
	s_delay_alu instid0(VALU_DEP_1)
	s_and_saveexec_b32 s2, s0
	s_cbranch_execz .LBB49_93
; %bb.81:
	s_mul_i32 s3, s28, s29
	v_cmp_gt_i32_e64 s1, s29, v0
	v_dual_mov_b32 v6, v10 :: v_dual_add_nc_u32 v1, s3, v0
	v_add3_u32 v5, v11, v12, 0x2100
	s_cmp_lg_u32 s30, 0
	s_mov_b32 s4, 0
	s_delay_alu instid0(VALU_DEP_2)
	v_mul_lo_u32 v4, v1, s29
	s_cselect_b32 s5, -1, 0
	s_branch .LBB49_83
.LBB49_82:                              ;   in Loop: Header=BB49_83 Depth=1
	s_or_b32 exec_lo, exec_lo, s13
	v_add_nc_u32_e32 v6, 2, v6
	s_waitcnt vmcnt(0)
	ds_store_b64 v5, v[2:3]
	v_add_nc_u32_e32 v5, 16, v5
	v_cmp_le_i32_e32 vcc_lo, s29, v6
	s_or_b32 s4, vcc_lo, s4
	s_delay_alu instid0(SALU_CYCLE_1)
	s_and_not1_b32 exec_lo, exec_lo, s4
	s_cbranch_execz .LBB49_93
.LBB49_83:                              ; =>This Inner Loop Header: Depth=1
	s_and_b32 vcc_lo, exec_lo, s5
	s_cbranch_vccz .LBB49_88
; %bb.84:                               ;   in Loop: Header=BB49_83 Depth=1
	s_mov_b32 s13, 0
	s_mov_b32 s12, 0
                                        ; implicit-def: $vgpr1
	s_and_saveexec_b32 s14, s1
	s_delay_alu instid0(SALU_CYCLE_1)
	s_xor_b32 s14, exec_lo, s14
; %bb.85:                               ;   in Loop: Header=BB49_83 Depth=1
	v_add_nc_u32_e32 v3, s3, v6
	s_mov_b32 s12, exec_lo
	s_delay_alu instid0(VALU_DEP_1)
	v_mad_u64_u32 v[1:2], null, v3, s29, v[0:1]
; %bb.86:                               ;   in Loop: Header=BB49_83 Depth=1
	s_or_b32 exec_lo, exec_lo, s14
	s_delay_alu instid0(SALU_CYCLE_1)
	s_and_b32 vcc_lo, exec_lo, s13
	s_cbranch_vccnz .LBB49_89
.LBB49_87:                              ;   in Loop: Header=BB49_83 Depth=1
	v_dual_mov_b32 v2, s13 :: v_dual_mov_b32 v3, s13
	s_and_saveexec_b32 s13, s12
	s_cbranch_execz .LBB49_82
	s_branch .LBB49_92
.LBB49_88:                              ;   in Loop: Header=BB49_83 Depth=1
	s_mov_b32 s13, -1
	s_mov_b32 s12, 0
                                        ; implicit-def: $vgpr1
	s_cbranch_execz .LBB49_87
.LBB49_89:                              ;   in Loop: Header=BB49_83 Depth=1
                                        ; implicit-def: $vgpr1
	s_and_saveexec_b32 s13, s1
; %bb.90:                               ;   in Loop: Header=BB49_83 Depth=1
	v_add_nc_u32_e32 v1, v4, v6
	s_or_b32 s12, s12, exec_lo
; %bb.91:                               ;   in Loop: Header=BB49_83 Depth=1
	s_or_b32 exec_lo, exec_lo, s13
	s_mov_b32 s13, 0
	s_delay_alu instid0(SALU_CYCLE_1)
	v_dual_mov_b32 v2, s13 :: v_dual_mov_b32 v3, s13
	s_and_saveexec_b32 s13, s12
	s_cbranch_execz .LBB49_82
.LBB49_92:                              ;   in Loop: Header=BB49_83 Depth=1
	v_ashrrev_i32_e32 v2, 31, v1
	s_delay_alu instid0(VALU_DEP_1) | instskip(NEXT) | instid1(VALU_DEP_1)
	v_lshlrev_b64 v[1:2], 3, v[1:2]
	v_add_co_u32 v1, vcc_lo, s18, v1
	s_delay_alu instid0(VALU_DEP_2)
	v_add_co_ci_u32_e32 v2, vcc_lo, s19, v2, vcc_lo
	global_load_b64 v[2:3], v[1:2], off
	s_branch .LBB49_82
.LBB49_93:
	s_or_b32 exec_lo, exec_lo, s2
; %bb.94:
	s_cmp_lt_i32 s29, 1
	s_waitcnt lgkmcnt(0)
	buffer_gl0_inv
	s_cbranch_scc1 .LBB49_113
; %bb.95:
	v_or_b32_e32 v1, v10, v0
	v_mad_u32_u24 v2, 0x108, v0, v13
	s_movk_i32 s2, 0x2100
	v_add3_u32 v8, v11, v12, 0x4200
	v_mad_u32_u24 v7, 0x108, v10, s2
	v_cmp_ne_u32_e64 s1, 0, v1
	v_add_nc_u32_e32 v5, 0x2100, v2
	v_add_nc_u32_e32 v6, 0x4200, v2
	v_mov_b32_e32 v2, 0
	s_mov_b32 s3, 0
	s_add_i32 s4, s16, s17
	s_branch .LBB49_97
.LBB49_96:                              ;   in Loop: Header=BB49_97 Depth=1
	s_or_b32 exec_lo, exec_lo, s2
	v_add_nc_u32_e32 v7, 8, v7
	s_add_i32 s3, s3, 1
	s_waitcnt lgkmcnt(0)
	s_waitcnt_vscnt null, 0x0
	buffer_gl0_inv
	s_cmp_eq_u32 s3, s29
	s_cbranch_scc1 .LBB49_113
.LBB49_97:                              ; =>This Loop Header: Depth=1
                                        ;     Child Loop BB49_112 Depth 2
	s_mov_b32 s5, exec_lo
	v_cmpx_eq_u32_e64 s3, v0
	s_cbranch_execz .LBB49_105
; %bb.98:                               ;   in Loop: Header=BB49_97 Depth=1
	ds_load_b64 v[3:4], v5
	ds_load_b64 v[13:14], v6
	s_mov_b32 s2, exec_lo
	s_waitcnt lgkmcnt(0)
	v_sub_f32_e32 v1, v3, v13
	v_sub_f32_e32 v9, v4, v14
                                        ; implicit-def: $vgpr4
	s_delay_alu instid0(VALU_DEP_2) | instskip(SKIP_1) | instid1(VALU_DEP_3)
	v_cmp_gt_f32_e32 vcc_lo, 0, v1
	v_cndmask_b32_e64 v1, v1, -v1, vcc_lo
	v_cmp_gt_f32_e32 vcc_lo, 0, v9
	v_cndmask_b32_e64 v3, v9, -v9, vcc_lo
	s_delay_alu instid0(VALU_DEP_1)
	v_cmpx_ngt_f32_e32 v1, v3
	s_xor_b32 s12, exec_lo, s2
	s_cbranch_execz .LBB49_102
; %bb.99:                               ;   in Loop: Header=BB49_97 Depth=1
	v_mov_b32_e32 v4, 0
	s_mov_b32 s13, exec_lo
	v_cmpx_neq_f32_e32 0, v9
	s_cbranch_execz .LBB49_101
; %bb.100:                              ;   in Loop: Header=BB49_97 Depth=1
	v_div_scale_f32 v4, null, v3, v3, v1
	v_div_scale_f32 v14, vcc_lo, v1, v3, v1
	s_delay_alu instid0(VALU_DEP_2) | instskip(SKIP_2) | instid1(VALU_DEP_1)
	v_rcp_f32_e32 v9, v4
	s_waitcnt_depctr 0xfff
	v_fma_f32 v13, -v4, v9, 1.0
	v_fmac_f32_e32 v9, v13, v9
	s_delay_alu instid0(VALU_DEP_1) | instskip(NEXT) | instid1(VALU_DEP_1)
	v_mul_f32_e32 v13, v14, v9
	v_fma_f32 v15, -v4, v13, v14
	s_delay_alu instid0(VALU_DEP_1) | instskip(NEXT) | instid1(VALU_DEP_1)
	v_fmac_f32_e32 v13, v15, v9
	v_fma_f32 v4, -v4, v13, v14
	s_delay_alu instid0(VALU_DEP_1) | instskip(NEXT) | instid1(VALU_DEP_1)
	v_div_fmas_f32 v4, v4, v9, v13
	v_div_fixup_f32 v1, v4, v3, v1
	s_delay_alu instid0(VALU_DEP_1) | instskip(NEXT) | instid1(VALU_DEP_1)
	v_fma_f32 v1, v1, v1, 1.0
	v_mul_f32_e32 v4, 0x4f800000, v1
	v_cmp_gt_f32_e32 vcc_lo, 0xf800000, v1
	s_delay_alu instid0(VALU_DEP_2) | instskip(NEXT) | instid1(VALU_DEP_1)
	v_cndmask_b32_e32 v1, v1, v4, vcc_lo
	v_sqrt_f32_e32 v4, v1
	s_waitcnt_depctr 0xfff
	v_add_nc_u32_e32 v9, -1, v4
	v_add_nc_u32_e32 v13, 1, v4
	s_delay_alu instid0(VALU_DEP_2) | instskip(NEXT) | instid1(VALU_DEP_2)
	v_fma_f32 v14, -v9, v4, v1
	v_fma_f32 v15, -v13, v4, v1
	s_delay_alu instid0(VALU_DEP_2) | instskip(NEXT) | instid1(VALU_DEP_1)
	v_cmp_ge_f32_e64 s2, 0, v14
	v_cndmask_b32_e64 v4, v4, v9, s2
	s_delay_alu instid0(VALU_DEP_3) | instskip(NEXT) | instid1(VALU_DEP_1)
	v_cmp_lt_f32_e64 s2, 0, v15
	v_cndmask_b32_e64 v4, v4, v13, s2
	s_delay_alu instid0(VALU_DEP_1) | instskip(NEXT) | instid1(VALU_DEP_1)
	v_mul_f32_e32 v9, 0x37800000, v4
	v_cndmask_b32_e32 v4, v4, v9, vcc_lo
	v_cmp_class_f32_e64 vcc_lo, v1, 0x260
	s_delay_alu instid0(VALU_DEP_2) | instskip(NEXT) | instid1(VALU_DEP_1)
	v_cndmask_b32_e32 v1, v4, v1, vcc_lo
	v_mul_f32_e32 v4, v3, v1
.LBB49_101:                             ;   in Loop: Header=BB49_97 Depth=1
	s_or_b32 exec_lo, exec_lo, s13
                                        ; implicit-def: $vgpr1
                                        ; implicit-def: $vgpr3
.LBB49_102:                             ;   in Loop: Header=BB49_97 Depth=1
	s_and_not1_saveexec_b32 s12, s12
	s_cbranch_execz .LBB49_104
; %bb.103:                              ;   in Loop: Header=BB49_97 Depth=1
	v_div_scale_f32 v4, null, v1, v1, v3
	v_div_scale_f32 v14, vcc_lo, v3, v1, v3
	s_delay_alu instid0(VALU_DEP_2) | instskip(SKIP_2) | instid1(VALU_DEP_1)
	v_rcp_f32_e32 v9, v4
	s_waitcnt_depctr 0xfff
	v_fma_f32 v13, -v4, v9, 1.0
	v_fmac_f32_e32 v9, v13, v9
	s_delay_alu instid0(VALU_DEP_1) | instskip(NEXT) | instid1(VALU_DEP_1)
	v_mul_f32_e32 v13, v14, v9
	v_fma_f32 v15, -v4, v13, v14
	s_delay_alu instid0(VALU_DEP_1) | instskip(NEXT) | instid1(VALU_DEP_1)
	v_fmac_f32_e32 v13, v15, v9
	v_fma_f32 v4, -v4, v13, v14
	s_delay_alu instid0(VALU_DEP_1) | instskip(NEXT) | instid1(VALU_DEP_1)
	v_div_fmas_f32 v4, v4, v9, v13
	v_div_fixup_f32 v3, v4, v1, v3
	s_delay_alu instid0(VALU_DEP_1) | instskip(NEXT) | instid1(VALU_DEP_1)
	v_fma_f32 v3, v3, v3, 1.0
	v_mul_f32_e32 v4, 0x4f800000, v3
	v_cmp_gt_f32_e32 vcc_lo, 0xf800000, v3
	s_delay_alu instid0(VALU_DEP_2) | instskip(NEXT) | instid1(VALU_DEP_1)
	v_cndmask_b32_e32 v3, v3, v4, vcc_lo
	v_sqrt_f32_e32 v4, v3
	s_waitcnt_depctr 0xfff
	v_add_nc_u32_e32 v9, -1, v4
	v_add_nc_u32_e32 v13, 1, v4
	s_delay_alu instid0(VALU_DEP_2) | instskip(NEXT) | instid1(VALU_DEP_2)
	v_fma_f32 v14, -v9, v4, v3
	v_fma_f32 v15, -v13, v4, v3
	s_delay_alu instid0(VALU_DEP_2) | instskip(NEXT) | instid1(VALU_DEP_1)
	v_cmp_ge_f32_e64 s2, 0, v14
	v_cndmask_b32_e64 v4, v4, v9, s2
	s_delay_alu instid0(VALU_DEP_3) | instskip(NEXT) | instid1(VALU_DEP_1)
	v_cmp_lt_f32_e64 s2, 0, v15
	v_cndmask_b32_e64 v4, v4, v13, s2
	s_delay_alu instid0(VALU_DEP_1) | instskip(NEXT) | instid1(VALU_DEP_1)
	v_mul_f32_e32 v9, 0x37800000, v4
	v_cndmask_b32_e32 v4, v4, v9, vcc_lo
	v_cmp_class_f32_e64 vcc_lo, v3, 0x260
	s_delay_alu instid0(VALU_DEP_2) | instskip(NEXT) | instid1(VALU_DEP_1)
	v_cndmask_b32_e32 v3, v4, v3, vcc_lo
	v_mul_f32_e32 v4, v1, v3
.LBB49_104:                             ;   in Loop: Header=BB49_97 Depth=1
	s_or_b32 exec_lo, exec_lo, s12
	s_delay_alu instid0(VALU_DEP_1) | instskip(SKIP_1) | instid1(VALU_DEP_2)
	v_mul_f32_e32 v1, 0x4f800000, v4
	v_cmp_gt_f32_e32 vcc_lo, 0xf800000, v4
	v_cndmask_b32_e32 v1, v4, v1, vcc_lo
	s_delay_alu instid0(VALU_DEP_1) | instskip(SKIP_3) | instid1(VALU_DEP_2)
	v_sqrt_f32_e32 v3, v1
	s_waitcnt_depctr 0xfff
	v_add_nc_u32_e32 v4, -1, v3
	v_add_nc_u32_e32 v9, 1, v3
	v_fma_f32 v13, -v4, v3, v1
	s_delay_alu instid0(VALU_DEP_2) | instskip(NEXT) | instid1(VALU_DEP_2)
	v_fma_f32 v14, -v9, v3, v1
	v_cmp_ge_f32_e64 s2, 0, v13
	s_delay_alu instid0(VALU_DEP_1) | instskip(NEXT) | instid1(VALU_DEP_3)
	v_cndmask_b32_e64 v3, v3, v4, s2
	v_cmp_lt_f32_e64 s2, 0, v14
	s_delay_alu instid0(VALU_DEP_1) | instskip(NEXT) | instid1(VALU_DEP_1)
	v_cndmask_b32_e64 v3, v3, v9, s2
	v_mul_f32_e32 v4, 0x37800000, v3
	s_delay_alu instid0(VALU_DEP_1) | instskip(SKIP_1) | instid1(VALU_DEP_2)
	v_cndmask_b32_e32 v3, v3, v4, vcc_lo
	v_cmp_class_f32_e64 vcc_lo, v1, 0x260
	v_cndmask_b32_e32 v1, v3, v1, vcc_lo
	ds_store_b64 v5, v[1:2]
.LBB49_105:                             ;   in Loop: Header=BB49_97 Depth=1
	s_or_b32 exec_lo, exec_lo, s5
	s_lshl_b32 s2, s3, 3
	s_mul_i32 s5, s3, 0x108
	s_waitcnt lgkmcnt(0)
	buffer_gl0_inv
	s_add_i32 s5, s5, s2
	s_delay_alu instid0(SALU_CYCLE_1)
	v_mov_b32_e32 v1, s5
	ds_load_b64 v[14:15], v1 offset:8448
	v_mad_u32_u24 v1, 0x108, v0, s2
	ds_load_b64 v[3:4], v1 offset:8448
	s_waitcnt lgkmcnt(1)
	v_cmp_neq_f32_e32 vcc_lo, 0, v14
	v_cmp_neq_f32_e64 s2, 0, v15
	s_delay_alu instid0(VALU_DEP_1) | instskip(SKIP_3) | instid1(SALU_CYCLE_1)
	s_or_b32 vcc_lo, vcc_lo, s2
	v_cndmask_b32_e32 v13, 0, v15, vcc_lo
	v_cndmask_b32_e32 v9, 1.0, v14, vcc_lo
	s_or_b32 s2, vcc_lo, s1
	s_xor_b32 s5, s2, -1
	s_delay_alu instid0(SALU_CYCLE_1)
	s_and_saveexec_b32 s2, s5
	s_cbranch_execz .LBB49_109
; %bb.106:                              ;   in Loop: Header=BB49_97 Depth=1
	v_mbcnt_lo_u32_b32 v9, exec_lo, 0
	s_mov_b32 s5, exec_lo
	s_delay_alu instid0(VALU_DEP_1)
	v_cmpx_eq_u32_e32 0, v9
	s_cbranch_execz .LBB49_108
; %bb.107:                              ;   in Loop: Header=BB49_97 Depth=1
	v_mov_b32_e32 v9, s4
	global_atomic_min_i32 v2, v9, s[10:11]
.LBB49_108:                             ;   in Loop: Header=BB49_97 Depth=1
	s_or_b32 exec_lo, exec_lo, s5
	v_mov_b32_e32 v13, 0
	v_mov_b32_e32 v9, 1.0
.LBB49_109:                             ;   in Loop: Header=BB49_97 Depth=1
	s_or_b32 exec_lo, exec_lo, s2
	s_delay_alu instid0(SALU_CYCLE_1)
	s_mov_b32 s2, exec_lo
	v_cmpx_lt_u32_e64 s3, v0
	s_cbranch_execz .LBB49_96
; %bb.110:                              ;   in Loop: Header=BB49_97 Depth=1
	v_lshl_add_u32 v14, s3, 3, v11
	v_mul_f32_e32 v16, v13, v13
	v_add_nc_u32_e32 v1, 0x2100, v1
	ds_load_b64 v[14:15], v14 offset:16896
	s_waitcnt lgkmcnt(0)
	v_dual_fmac_f32 v16, v9, v9 :: v_dual_sub_f32 v3, v3, v14
	s_delay_alu instid0(VALU_DEP_1) | instskip(SKIP_2) | instid1(VALU_DEP_3)
	v_div_scale_f32 v17, null, v16, v16, 1.0
	v_sub_f32_e32 v4, v4, v15
	v_div_scale_f32 v20, vcc_lo, 1.0, v16, 1.0
	v_rcp_f32_e32 v18, v17
	s_delay_alu instid0(VALU_DEP_2) | instskip(SKIP_1) | instid1(VALU_DEP_2)
	v_mul_f32_e32 v14, v13, v4
	v_mul_f32_e64 v13, v13, -v3
	v_fmac_f32_e32 v14, v3, v9
	s_delay_alu instid0(VALU_DEP_2) | instskip(SKIP_2) | instid1(VALU_DEP_1)
	v_fmac_f32_e32 v13, v4, v9
	s_waitcnt_depctr 0xfff
	v_fma_f32 v19, -v17, v18, 1.0
	v_fmac_f32_e32 v18, v19, v18
	s_delay_alu instid0(VALU_DEP_1) | instskip(NEXT) | instid1(VALU_DEP_1)
	v_mul_f32_e32 v19, v20, v18
	v_fma_f32 v21, -v17, v19, v20
	s_delay_alu instid0(VALU_DEP_1) | instskip(NEXT) | instid1(VALU_DEP_1)
	v_fmac_f32_e32 v19, v21, v18
	v_fma_f32 v15, -v17, v19, v20
	s_delay_alu instid0(VALU_DEP_1) | instskip(NEXT) | instid1(VALU_DEP_1)
	v_div_fmas_f32 v15, v15, v18, v19
	v_div_fixup_f32 v15, v15, v16, 1.0
	s_delay_alu instid0(VALU_DEP_1)
	v_mul_f32_e32 v3, v15, v14
	v_mul_f32_e32 v4, v15, v13
	ds_store_b64 v1, v[3:4]
	s_waitcnt lgkmcnt(0)
	s_waitcnt_vscnt null, 0x0
	buffer_gl0_inv
	s_and_b32 exec_lo, exec_lo, s0
	s_cbranch_execz .LBB49_96
; %bb.111:                              ;   in Loop: Header=BB49_97 Depth=1
	v_mov_b32_e32 v1, v8
	v_mov_b32_e32 v9, v7
	;; [unrolled: 1-line block ×3, first 2 shown]
	s_mov_b32 s5, 0
	.p2align	6
.LBB49_112:                             ;   Parent Loop BB49_97 Depth=1
                                        ; =>  This Inner Loop Header: Depth=2
	ds_load_b64 v[14:15], v9
	ds_load_b64 v[16:17], v1
	v_add_nc_u32_e32 v9, 0x210, v9
	s_waitcnt lgkmcnt(0)
	v_fma_f32 v16, v3, v14, v16
	v_fmac_f32_e32 v17, v4, v14
	s_delay_alu instid0(VALU_DEP_2) | instskip(NEXT) | instid1(VALU_DEP_2)
	v_dual_fmac_f32 v16, v4, v15 :: v_dual_add_nc_u32 v13, 2, v13
	v_fma_f32 v17, v3, -v15, v17
	s_delay_alu instid0(VALU_DEP_2) | instskip(SKIP_3) | instid1(SALU_CYCLE_1)
	v_cmp_le_i32_e32 vcc_lo, s29, v13
	ds_store_b64 v1, v[16:17]
	v_add_nc_u32_e32 v1, 16, v1
	s_or_b32 s5, vcc_lo, s5
	s_and_not1_b32 exec_lo, exec_lo, s5
	s_cbranch_execnz .LBB49_112
	s_branch .LBB49_96
.LBB49_113:
	s_and_saveexec_b32 s1, s0
	s_cbranch_execz .LBB49_122
; %bb.114:
	s_mul_i32 s28, s28, s29
	v_cmp_gt_i32_e64 s0, s29, v0
	v_add_nc_u32_e32 v1, s28, v0
	v_add3_u32 v4, v11, v12, 0x2100
	v_mov_b32_e32 v5, v10
	s_cmp_lg_u32 s30, 0
	s_mov_b32 s2, 0
	v_mul_lo_u32 v3, v1, s29
	s_cselect_b32 s3, -1, 0
	s_set_inst_prefetch_distance 0x1
	s_branch .LBB49_117
	.p2align	6
.LBB49_115:                             ;   in Loop: Header=BB49_117 Depth=1
	ds_load_b64 v[6:7], v4
	v_ashrrev_i32_e32 v2, 31, v1
	s_delay_alu instid0(VALU_DEP_1) | instskip(NEXT) | instid1(VALU_DEP_1)
	v_lshlrev_b64 v[1:2], 3, v[1:2]
	v_add_co_u32 v1, vcc_lo, s18, v1
	s_delay_alu instid0(VALU_DEP_2)
	v_add_co_ci_u32_e32 v2, vcc_lo, s19, v2, vcc_lo
	s_waitcnt lgkmcnt(0)
	global_store_b64 v[1:2], v[6:7], off
.LBB49_116:                             ;   in Loop: Header=BB49_117 Depth=1
	s_or_b32 exec_lo, exec_lo, s4
	v_add_nc_u32_e32 v5, 2, v5
	v_add_nc_u32_e32 v4, 16, v4
	s_delay_alu instid0(VALU_DEP_2) | instskip(SKIP_1) | instid1(SALU_CYCLE_1)
	v_cmp_le_i32_e32 vcc_lo, s29, v5
	s_or_b32 s2, vcc_lo, s2
	s_and_not1_b32 exec_lo, exec_lo, s2
	s_cbranch_execz .LBB49_122
.LBB49_117:                             ; =>This Inner Loop Header: Depth=1
	s_and_saveexec_b32 s4, s0
	s_cbranch_execz .LBB49_116
; %bb.118:                              ;   in Loop: Header=BB49_117 Depth=1
	s_and_b32 vcc_lo, exec_lo, s3
	s_cbranch_vccz .LBB49_120
; %bb.119:                              ;   in Loop: Header=BB49_117 Depth=1
	v_add_nc_u32_e32 v6, s28, v5
	s_delay_alu instid0(VALU_DEP_1)
	v_mad_u64_u32 v[1:2], null, v6, s29, v[0:1]
	s_cbranch_execnz .LBB49_115
	s_branch .LBB49_121
.LBB49_120:                             ;   in Loop: Header=BB49_117 Depth=1
                                        ; implicit-def: $vgpr1
.LBB49_121:                             ;   in Loop: Header=BB49_117 Depth=1
	v_add_nc_u32_e32 v1, v3, v5
	s_branch .LBB49_115
.LBB49_122:
	s_set_inst_prefetch_distance 0x2
	s_or_b32 exec_lo, exec_lo, s1
	v_or_b32_e32 v1, v10, v0
	s_delay_alu instid0(VALU_DEP_1)
	v_cmp_eq_u32_e64 s3, 0, v1
.LBB49_123:
	s_delay_alu instid0(VALU_DEP_1)
	s_and_saveexec_b32 s0, s3
	s_cbranch_execnz .LBB49_131
.LBB49_124:
	s_nop 0
	s_sendmsg sendmsg(MSG_DEALLOC_VGPRS)
	s_endpgm
.LBB49_125:
	s_cbranch_execz .LBB49_123
; %bb.126:
	v_or_b32_e32 v0, v10, v0
	s_mov_b32 s0, exec_lo
	s_delay_alu instid0(VALU_DEP_1)
	v_cmpx_eq_u32_e32 0, v0
	s_cbranch_execz .LBB49_130
; %bb.127:
	v_mbcnt_lo_u32_b32 v0, exec_lo, 0
	s_mov_b32 s1, exec_lo
	s_delay_alu instid0(VALU_DEP_1)
	v_cmpx_eq_u32_e32 0, v0
	s_cbranch_execz .LBB49_129
; %bb.128:
	s_add_i32 s2, s16, s17
	s_delay_alu instid0(SALU_CYCLE_1)
	v_dual_mov_b32 v0, 0 :: v_dual_mov_b32 v1, s2
	global_atomic_min_i32 v0, v1, s[10:11]
.LBB49_129:
	s_or_b32 exec_lo, exec_lo, s1
	s_delay_alu instid0(SALU_CYCLE_1)
	s_or_b32 s3, s3, exec_lo
.LBB49_130:
	s_or_b32 exec_lo, exec_lo, s0
	s_and_saveexec_b32 s0, s3
	s_cbranch_execz .LBB49_124
.LBB49_131:
	v_dual_mov_b32 v0, 0 :: v_dual_mov_b32 v1, 1
	s_add_u32 s0, s6, s8
	s_addc_u32 s1, s7, s9
	s_waitcnt_vscnt null, 0x0
	global_store_b32 v0, v1, s[0:1]
	s_nop 0
	s_sendmsg sendmsg(MSG_DEALLOC_VGPRS)
	s_endpgm
	.section	.rodata,"a",@progbits
	.p2align	6, 0x0
	.amdhsa_kernel _ZN9rocsparseL19bsric0_17_32_kernelILi64ELi32ELi32E21rocsparse_complex_numIfEEEv20rocsparse_direction_iiPKiS5_PT2_S5_PiS5_S8_21rocsparse_index_base_
		.amdhsa_group_segment_fixed_size 25728
		.amdhsa_private_segment_fixed_size 0
		.amdhsa_kernarg_size 76
		.amdhsa_user_sgpr_count 15
		.amdhsa_user_sgpr_dispatch_ptr 0
		.amdhsa_user_sgpr_queue_ptr 0
		.amdhsa_user_sgpr_kernarg_segment_ptr 1
		.amdhsa_user_sgpr_dispatch_id 0
		.amdhsa_user_sgpr_private_segment_size 0
		.amdhsa_wavefront_size32 1
		.amdhsa_uses_dynamic_stack 0
		.amdhsa_enable_private_segment 0
		.amdhsa_system_sgpr_workgroup_id_x 1
		.amdhsa_system_sgpr_workgroup_id_y 0
		.amdhsa_system_sgpr_workgroup_id_z 0
		.amdhsa_system_sgpr_workgroup_info 0
		.amdhsa_system_vgpr_workitem_id 1
		.amdhsa_next_free_vgpr 29
		.amdhsa_next_free_sgpr 45
		.amdhsa_reserve_vcc 1
		.amdhsa_float_round_mode_32 0
		.amdhsa_float_round_mode_16_64 0
		.amdhsa_float_denorm_mode_32 3
		.amdhsa_float_denorm_mode_16_64 3
		.amdhsa_dx10_clamp 1
		.amdhsa_ieee_mode 1
		.amdhsa_fp16_overflow 0
		.amdhsa_workgroup_processor_mode 1
		.amdhsa_memory_ordered 1
		.amdhsa_forward_progress 0
		.amdhsa_shared_vgpr_count 0
		.amdhsa_exception_fp_ieee_invalid_op 0
		.amdhsa_exception_fp_denorm_src 0
		.amdhsa_exception_fp_ieee_div_zero 0
		.amdhsa_exception_fp_ieee_overflow 0
		.amdhsa_exception_fp_ieee_underflow 0
		.amdhsa_exception_fp_ieee_inexact 0
		.amdhsa_exception_int_div_zero 0
	.end_amdhsa_kernel
	.section	.text._ZN9rocsparseL19bsric0_17_32_kernelILi64ELi32ELi32E21rocsparse_complex_numIfEEEv20rocsparse_direction_iiPKiS5_PT2_S5_PiS5_S8_21rocsparse_index_base_,"axG",@progbits,_ZN9rocsparseL19bsric0_17_32_kernelILi64ELi32ELi32E21rocsparse_complex_numIfEEEv20rocsparse_direction_iiPKiS5_PT2_S5_PiS5_S8_21rocsparse_index_base_,comdat
.Lfunc_end49:
	.size	_ZN9rocsparseL19bsric0_17_32_kernelILi64ELi32ELi32E21rocsparse_complex_numIfEEEv20rocsparse_direction_iiPKiS5_PT2_S5_PiS5_S8_21rocsparse_index_base_, .Lfunc_end49-_ZN9rocsparseL19bsric0_17_32_kernelILi64ELi32ELi32E21rocsparse_complex_numIfEEEv20rocsparse_direction_iiPKiS5_PT2_S5_PiS5_S8_21rocsparse_index_base_
                                        ; -- End function
	.section	.AMDGPU.csdata,"",@progbits
; Kernel info:
; codeLenInByte = 4860
; NumSgprs: 47
; NumVgprs: 29
; ScratchSize: 0
; MemoryBound: 0
; FloatMode: 240
; IeeeMode: 1
; LDSByteSize: 25728 bytes/workgroup (compile time only)
; SGPRBlocks: 5
; VGPRBlocks: 3
; NumSGPRsForWavesPerEU: 47
; NumVGPRsForWavesPerEU: 29
; Occupancy: 3
; WaveLimiterHint : 1
; COMPUTE_PGM_RSRC2:SCRATCH_EN: 0
; COMPUTE_PGM_RSRC2:USER_SGPR: 15
; COMPUTE_PGM_RSRC2:TRAP_HANDLER: 0
; COMPUTE_PGM_RSRC2:TGID_X_EN: 1
; COMPUTE_PGM_RSRC2:TGID_Y_EN: 0
; COMPUTE_PGM_RSRC2:TGID_Z_EN: 0
; COMPUTE_PGM_RSRC2:TIDIG_COMP_CNT: 1
	.section	.text._ZN9rocsparseL23bsric0_binsearch_kernelILj64ELj64ELb0E21rocsparse_complex_numIfEEEv20rocsparse_direction_iiPKiS5_PT2_S5_PiS5_S8_21rocsparse_index_base_,"axG",@progbits,_ZN9rocsparseL23bsric0_binsearch_kernelILj64ELj64ELb0E21rocsparse_complex_numIfEEEv20rocsparse_direction_iiPKiS5_PT2_S5_PiS5_S8_21rocsparse_index_base_,comdat
	.globl	_ZN9rocsparseL23bsric0_binsearch_kernelILj64ELj64ELb0E21rocsparse_complex_numIfEEEv20rocsparse_direction_iiPKiS5_PT2_S5_PiS5_S8_21rocsparse_index_base_ ; -- Begin function _ZN9rocsparseL23bsric0_binsearch_kernelILj64ELj64ELb0E21rocsparse_complex_numIfEEEv20rocsparse_direction_iiPKiS5_PT2_S5_PiS5_S8_21rocsparse_index_base_
	.p2align	8
	.type	_ZN9rocsparseL23bsric0_binsearch_kernelILj64ELj64ELb0E21rocsparse_complex_numIfEEEv20rocsparse_direction_iiPKiS5_PT2_S5_PiS5_S8_21rocsparse_index_base_,@function
_ZN9rocsparseL23bsric0_binsearch_kernelILj64ELj64ELb0E21rocsparse_complex_numIfEEEv20rocsparse_direction_iiPKiS5_PT2_S5_PiS5_S8_21rocsparse_index_base_: ; @_ZN9rocsparseL23bsric0_binsearch_kernelILj64ELj64ELb0E21rocsparse_complex_numIfEEEv20rocsparse_direction_iiPKiS5_PT2_S5_PiS5_S8_21rocsparse_index_base_
; %bb.0:
	s_mov_b32 s2, s15
	s_load_b256 s[8:15], s[0:1], 0x28
	s_ashr_i32 s3, s2, 31
	s_delay_alu instid0(SALU_CYCLE_1)
	s_lshl_b64 s[2:3], s[2:3], 2
	s_waitcnt lgkmcnt(0)
	s_add_u32 s2, s12, s2
	s_addc_u32 s3, s13, s3
	s_load_b32 s12, s[2:3], 0x0
	s_waitcnt lgkmcnt(0)
	s_ashr_i32 s13, s12, 31
	s_delay_alu instid0(SALU_CYCLE_1) | instskip(SKIP_1) | instid1(SALU_CYCLE_1)
	v_dual_mov_b32 v2, s12 :: v_dual_mov_b32 v3, s13
	s_lshl_b64 s[2:3], s[12:13], 2
	s_add_u32 s2, s8, s2
	s_addc_u32 s3, s9, s3
	s_load_b32 s24, s[2:3], 0x0
	s_load_b32 s7, s[0:1], 0x48
	s_mov_b32 s2, 0
	s_waitcnt lgkmcnt(0)
	s_cmp_lg_u32 s24, -1
	s_cselect_b32 s3, -1, 0
	s_delay_alu instid0(SALU_CYCLE_1) | instskip(NEXT) | instid1(SALU_CYCLE_1)
	s_and_saveexec_b32 s4, s3
	s_xor_b32 s23, exec_lo, s4
	s_cbranch_execnz .LBB50_4
; %bb.1:
	s_and_not1_saveexec_b32 s0, s23
	s_cbranch_execnz .LBB50_77
.LBB50_2:
	s_or_b32 exec_lo, exec_lo, s0
	s_and_saveexec_b32 s0, s2
	s_cbranch_execnz .LBB50_84
.LBB50_3:
	s_nop 0
	s_sendmsg sendmsg(MSG_DEALLOC_VGPRS)
	s_endpgm
.LBB50_4:
	s_load_b32 s25, s[0:1], 0x8
	s_mov_b32 s26, exec_lo
	s_waitcnt lgkmcnt(0)
	v_cmpx_gt_i32_e64 s25, v0
	s_cbranch_execz .LBB50_76
; %bb.5:
	s_clause 0x1
	s_load_b128 s[16:19], s[0:1], 0x10
	s_load_b32 s5, s[0:1], 0x0
	v_lshlrev_b64 v[3:4], 2, s[12:13]
	s_load_b64 s[20:21], s[0:1], 0x20
	v_add_nc_u32_e32 v19, s7, v2
	s_mul_i32 s27, s25, s25
	v_cmp_ne_u32_e64 s0, 0, v0
	v_mul_lo_u32 v21, s24, s27
	v_mov_b32_e32 v23, v0
	s_mov_b32 s28, 0
	s_waitcnt lgkmcnt(0)
	v_add_co_u32 v3, vcc_lo, s16, v3
	v_add_co_ci_u32_e32 v4, vcc_lo, s17, v4, vcc_lo
	s_cmp_eq_u32 s5, 0
	s_cselect_b32 s1, -1, 0
	global_load_b64 v[3:4], v[3:4], off
	s_cmp_lg_u32 s5, 0
	s_cselect_b32 s29, -1, 0
	s_waitcnt vmcnt(0)
	v_subrev_nc_u32_e32 v17, s7, v3
	v_xad_u32 v18, s7, -1, v4
	s_delay_alu instid0(VALU_DEP_2) | instskip(NEXT) | instid1(VALU_DEP_2)
	v_mul_lo_u32 v20, s27, v17
	v_add_nc_u32_e32 v1, v18, v17
	v_mov_b32_e32 v3, 0
	v_cmp_gt_i32_e64 s2, s24, v17
	v_cmp_le_i32_e64 s3, s24, v17
	v_cmp_lt_i32_e64 s4, v17, v18
	v_ashrrev_i32_e32 v1, 1, v1
	v_add_nc_u32_e32 v22, v20, v0
	s_delay_alu instid0(VALU_DEP_2) | instskip(NEXT) | instid1(VALU_DEP_1)
	v_ashrrev_i32_e32 v2, 31, v1
	v_lshlrev_b64 v[4:5], 2, v[1:2]
	s_delay_alu instid0(VALU_DEP_1) | instskip(NEXT) | instid1(VALU_DEP_2)
	v_add_co_u32 v4, vcc_lo, s18, v4
	v_add_co_ci_u32_e32 v5, vcc_lo, s19, v5, vcc_lo
	s_branch .LBB50_7
.LBB50_6:                               ;   in Loop: Header=BB50_7 Depth=1
	v_add_nc_u32_e32 v23, 64, v23
	v_add_nc_u32_e32 v22, 64, v22
	s_delay_alu instid0(VALU_DEP_2) | instskip(SKIP_1) | instid1(SALU_CYCLE_1)
	v_cmp_le_i32_e32 vcc_lo, s25, v23
	s_or_b32 s28, vcc_lo, s28
	s_and_not1_b32 exec_lo, exec_lo, s28
	s_cbranch_execz .LBB50_76
.LBB50_7:                               ; =>This Loop Header: Depth=1
                                        ;     Child Loop BB50_13 Depth 2
                                        ;       Child Loop BB50_16 Depth 3
                                        ;       Child Loop BB50_20 Depth 3
                                        ;         Child Loop BB50_22 Depth 4
                                        ;         Child Loop BB50_29 Depth 4
                                        ;           Child Loop BB50_31 Depth 5
                                        ;           Child Loop BB50_37 Depth 5
                                        ;     Child Loop BB50_44 Depth 2
                                        ;       Child Loop BB50_54 Depth 3
                                        ;       Child Loop BB50_62 Depth 3
                                        ;         Child Loop BB50_64 Depth 4
                                        ;       Child Loop BB50_72 Depth 3
	v_mul_lo_u32 v24, v23, s25
                                        ; implicit-def: $sgpr5
	s_and_saveexec_b32 s6, s3
	s_delay_alu instid0(SALU_CYCLE_1)
	s_xor_b32 s6, exec_lo, s6
; %bb.8:                                ;   in Loop: Header=BB50_7 Depth=1
	v_mul_lo_u32 v24, v23, s25
	s_mov_b32 s5, 0
; %bb.9:                                ;   in Loop: Header=BB50_7 Depth=1
	s_or_saveexec_b32 s30, s6
	v_dual_mov_b32 v25, s5 :: v_dual_mov_b32 v26, s5
	s_xor_b32 exec_lo, exec_lo, s30
	s_cbranch_execz .LBB50_41
; %bb.10:                               ;   in Loop: Header=BB50_7 Depth=1
	v_dual_mov_b32 v25, 0 :: v_dual_mov_b32 v6, v17
	v_mov_b32_e32 v26, 0
	s_mov_b32 s31, 0
                                        ; implicit-def: $sgpr33
	s_branch .LBB50_13
.LBB50_11:                              ;   in Loop: Header=BB50_13 Depth=2
	v_add_nc_u32_e32 v6, 1, v6
	s_and_not1_b32 s5, s33, exec_lo
	s_delay_alu instid0(VALU_DEP_1) | instskip(SKIP_1) | instid1(SALU_CYCLE_1)
	v_cmp_le_i32_e32 vcc_lo, s24, v6
	s_and_b32 s6, vcc_lo, exec_lo
	s_or_b32 s33, s5, s6
.LBB50_12:                              ;   in Loop: Header=BB50_13 Depth=2
	s_or_b32 exec_lo, exec_lo, s34
	s_delay_alu instid0(SALU_CYCLE_1) | instskip(NEXT) | instid1(SALU_CYCLE_1)
	s_and_b32 s5, exec_lo, s33
	s_or_b32 s31, s5, s31
	s_delay_alu instid0(SALU_CYCLE_1)
	s_and_not1_b32 exec_lo, exec_lo, s31
	s_cbranch_execz .LBB50_40
.LBB50_13:                              ;   Parent Loop BB50_7 Depth=1
                                        ; =>  This Loop Header: Depth=2
                                        ;       Child Loop BB50_16 Depth 3
                                        ;       Child Loop BB50_20 Depth 3
                                        ;         Child Loop BB50_22 Depth 4
                                        ;         Child Loop BB50_29 Depth 4
                                        ;           Child Loop BB50_31 Depth 5
                                        ;           Child Loop BB50_37 Depth 5
	s_delay_alu instid0(VALU_DEP_2) | instskip(SKIP_2) | instid1(VALU_DEP_1)
	v_ashrrev_i32_e32 v7, 31, v6
	s_or_b32 s33, s33, exec_lo
	s_mov_b32 s34, exec_lo
	v_lshlrev_b64 v[7:8], 2, v[6:7]
	s_delay_alu instid0(VALU_DEP_1) | instskip(NEXT) | instid1(VALU_DEP_2)
	v_add_co_u32 v7, vcc_lo, s18, v7
	v_add_co_ci_u32_e32 v8, vcc_lo, s19, v8, vcc_lo
	global_load_b32 v2, v[7:8], off
	s_waitcnt vmcnt(0)
	v_subrev_nc_u32_e32 v7, s7, v2
	s_delay_alu instid0(VALU_DEP_1) | instskip(NEXT) | instid1(VALU_DEP_1)
	v_ashrrev_i32_e32 v8, 31, v7
	v_lshlrev_b64 v[8:9], 2, v[7:8]
	s_delay_alu instid0(VALU_DEP_1) | instskip(NEXT) | instid1(VALU_DEP_2)
	v_add_co_u32 v10, vcc_lo, s8, v8
	v_add_co_ci_u32_e32 v11, vcc_lo, s9, v9, vcc_lo
	global_load_b32 v27, v[10:11], off
	s_waitcnt vmcnt(0)
	v_cmpx_ne_u32_e32 -1, v27
	s_cbranch_execz .LBB50_12
; %bb.14:                               ;   in Loop: Header=BB50_13 Depth=2
	v_add_co_u32 v10, vcc_lo, s16, v8
	v_add_co_ci_u32_e32 v11, vcc_lo, s17, v9, vcc_lo
	v_add_co_u32 v8, vcc_lo, s10, v8
	v_add_co_ci_u32_e32 v9, vcc_lo, s11, v9, vcc_lo
	s_mov_b32 s5, exec_lo
	global_load_b32 v10, v[10:11], off
	global_load_b32 v11, v[8:9], off glc
	s_waitcnt vmcnt(0)
	v_cmpx_eq_u32_e32 0, v11
	s_cbranch_execz .LBB50_17
; %bb.15:                               ;   in Loop: Header=BB50_13 Depth=2
	s_mov_b32 s6, 0
.LBB50_16:                              ;   Parent Loop BB50_7 Depth=1
                                        ;     Parent Loop BB50_13 Depth=2
                                        ; =>    This Inner Loop Header: Depth=3
	global_load_b32 v11, v[8:9], off glc
	s_waitcnt vmcnt(0)
	v_cmp_ne_u32_e32 vcc_lo, 0, v11
	s_or_b32 s6, vcc_lo, s6
	s_delay_alu instid0(SALU_CYCLE_1)
	s_and_not1_b32 exec_lo, exec_lo, s6
	s_cbranch_execnz .LBB50_16
.LBB50_17:                              ;   in Loop: Header=BB50_13 Depth=2
	s_or_b32 exec_lo, exec_lo, s5
	v_mul_lo_u32 v8, v6, s27
	v_subrev_nc_u32_e32 v28, s7, v10
	v_mul_lo_u32 v29, v7, s25
	v_mul_lo_u32 v30, v27, s27
	s_mov_b32 s35, 0
	buffer_gl1_inv
	buffer_gl0_inv
	v_mul_lo_u32 v31, s27, v28
	v_cmp_le_i32_e64 s5, v28, v27
	v_add_nc_u32_e32 v32, v8, v23
	v_add_nc_u32_e32 v33, v8, v24
	s_branch .LBB50_20
.LBB50_18:                              ;   in Loop: Header=BB50_20 Depth=3
	s_or_b32 exec_lo, exec_lo, s36
.LBB50_19:                              ;   in Loop: Header=BB50_20 Depth=3
	s_delay_alu instid0(SALU_CYCLE_1)
	s_or_b32 exec_lo, exec_lo, s6
	s_waitcnt vmcnt(0)
	v_dual_mul_f32 v11, v35, v35 :: v_dual_sub_f32 v10, v10, v36
	v_sub_f32_e32 v9, v9, v37
	v_add_nc_u32_e32 v31, 1, v31
	s_add_i32 s35, s35, 1
	s_delay_alu instid0(VALU_DEP_3) | instskip(SKIP_1) | instid1(VALU_DEP_1)
	v_fmac_f32_e32 v11, v34, v34
	s_cmp_eq_u32 s35, s25
	v_div_scale_f32 v12, null, v11, v11, 1.0
	v_div_scale_f32 v15, vcc_lo, 1.0, v11, 1.0
	s_delay_alu instid0(VALU_DEP_2) | instskip(SKIP_2) | instid1(VALU_DEP_1)
	v_rcp_f32_e32 v13, v12
	s_waitcnt_depctr 0xfff
	v_fma_f32 v14, -v12, v13, 1.0
	v_fmac_f32_e32 v13, v14, v13
	s_delay_alu instid0(VALU_DEP_1) | instskip(NEXT) | instid1(VALU_DEP_1)
	v_mul_f32_e32 v14, v15, v13
	v_fma_f32 v16, -v12, v14, v15
	s_delay_alu instid0(VALU_DEP_1) | instskip(NEXT) | instid1(VALU_DEP_1)
	v_fmac_f32_e32 v14, v16, v13
	v_fma_f32 v12, -v12, v14, v15
	v_mul_f32_e32 v15, v35, v10
	s_delay_alu instid0(VALU_DEP_2) | instskip(SKIP_1) | instid1(VALU_DEP_2)
	v_div_fmas_f32 v12, v12, v13, v14
	v_mul_f32_e64 v13, v35, -v9
	v_div_fixup_f32 v11, v12, v11, 1.0
	s_delay_alu instid0(VALU_DEP_2) | instskip(NEXT) | instid1(VALU_DEP_1)
	v_fmac_f32_e32 v13, v10, v34
	v_dual_fmac_f32 v15, v9, v34 :: v_dual_mul_f32 v10, v11, v13
	s_delay_alu instid0(VALU_DEP_1) | instskip(NEXT) | instid1(VALU_DEP_1)
	v_mul_f32_e32 v9, v11, v15
	v_fmac_f32_e32 v26, v9, v9
	s_delay_alu instid0(VALU_DEP_1)
	v_fmac_f32_e32 v26, v10, v10
	v_fmac_f32_e32 v25, v10, v9
	global_store_b64 v[7:8], v[9:10], off
	v_fma_f32 v25, v9, -v10, v25
	s_cbranch_scc1 .LBB50_11
.LBB50_20:                              ;   Parent Loop BB50_7 Depth=1
                                        ;     Parent Loop BB50_13 Depth=2
                                        ; =>    This Loop Header: Depth=3
                                        ;         Child Loop BB50_22 Depth 4
                                        ;         Child Loop BB50_29 Depth 4
                                        ;           Child Loop BB50_31 Depth 5
                                        ;           Child Loop BB50_37 Depth 5
	s_mul_i32 s22, s35, s25
	s_delay_alu instid0(SALU_CYCLE_1) | instskip(NEXT) | instid1(VALU_DEP_1)
	v_add3_u32 v7, s22, s35, v30
	v_ashrrev_i32_e32 v8, 31, v7
	s_delay_alu instid0(VALU_DEP_1) | instskip(NEXT) | instid1(VALU_DEP_1)
	v_lshlrev_b64 v[7:8], 3, v[7:8]
	v_add_co_u32 v7, vcc_lo, s20, v7
	s_delay_alu instid0(VALU_DEP_2) | instskip(SKIP_4) | instid1(VALU_DEP_1)
	v_add_co_ci_u32_e32 v8, vcc_lo, s21, v8, vcc_lo
	global_load_b64 v[7:8], v[7:8], off
	s_waitcnt vmcnt(0)
	v_cmp_neq_f32_e32 vcc_lo, 0, v7
	v_cmp_neq_f32_e64 s6, 0, v8
	s_or_b32 vcc_lo, vcc_lo, s6
	v_dual_cndmask_b32 v34, 1.0, v7 :: v_dual_cndmask_b32 v35, 0, v8
	s_or_b32 s6, vcc_lo, s0
	s_delay_alu instid0(SALU_CYCLE_1) | instskip(NEXT) | instid1(SALU_CYCLE_1)
	s_xor_b32 s36, s6, -1
	s_and_saveexec_b32 s6, s36
	s_cbranch_execz .LBB50_26
; %bb.21:                               ;   in Loop: Header=BB50_20 Depth=3
	s_mov_b32 s37, exec_lo
	s_brev_b32 s36, -2
.LBB50_22:                              ;   Parent Loop BB50_7 Depth=1
                                        ;     Parent Loop BB50_13 Depth=2
                                        ;       Parent Loop BB50_20 Depth=3
                                        ; =>      This Inner Loop Header: Depth=4
	s_ctz_i32_b32 s38, s37
	s_delay_alu instid0(SALU_CYCLE_1) | instskip(SKIP_1) | instid1(SALU_CYCLE_1)
	v_readlane_b32 s39, v2, s38
	s_lshl_b32 s38, 1, s38
	s_and_not1_b32 s37, s37, s38
	s_delay_alu instid0(VALU_DEP_1)
	s_min_i32 s36, s36, s39
	s_cmp_lg_u32 s37, 0
	s_cbranch_scc1 .LBB50_22
; %bb.23:                               ;   in Loop: Header=BB50_20 Depth=3
	v_mbcnt_lo_u32_b32 v7, exec_lo, 0
	s_mov_b32 s37, exec_lo
	s_delay_alu instid0(VALU_DEP_1)
	v_cmpx_eq_u32_e32 0, v7
	s_xor_b32 s37, exec_lo, s37
	s_cbranch_execz .LBB50_25
; %bb.24:                               ;   in Loop: Header=BB50_20 Depth=3
	v_mov_b32_e32 v7, s36
	global_atomic_min_i32 v3, v7, s[14:15]
.LBB50_25:                              ;   in Loop: Header=BB50_20 Depth=3
	s_or_b32 exec_lo, exec_lo, s37
	v_dual_mov_b32 v35, 0 :: v_dual_mov_b32 v34, 1.0
.LBB50_26:                              ;   in Loop: Header=BB50_20 Depth=3
	s_or_b32 exec_lo, exec_lo, s6
	v_dual_mov_b32 v36, 0 :: v_dual_add_nc_u32 v7, s35, v33
	v_dual_mov_b32 v37, 0 :: v_dual_add_nc_u32 v8, s22, v32
	s_delay_alu instid0(VALU_DEP_1) | instskip(NEXT) | instid1(VALU_DEP_1)
	v_cndmask_b32_e64 v7, v8, v7, s1
	v_ashrrev_i32_e32 v8, 31, v7
	s_delay_alu instid0(VALU_DEP_1) | instskip(NEXT) | instid1(VALU_DEP_1)
	v_lshlrev_b64 v[7:8], 3, v[7:8]
	v_add_co_u32 v7, vcc_lo, s20, v7
	s_delay_alu instid0(VALU_DEP_2)
	v_add_co_ci_u32_e32 v8, vcc_lo, s21, v8, vcc_lo
	global_load_b64 v[9:10], v[7:8], off
	s_and_saveexec_b32 s6, s5
	s_cbranch_execz .LBB50_19
; %bb.27:                               ;   in Loop: Header=BB50_20 Depth=3
	global_load_b32 v38, v[4:5], off
	v_dual_mov_b32 v36, 0 :: v_dual_add_nc_u32 v39, s35, v29
	v_dual_mov_b32 v40, v31 :: v_dual_mov_b32 v11, v28
	v_mov_b32_e32 v37, 0
	s_mov_b32 s36, 0
	s_branch .LBB50_29
.LBB50_28:                              ;   in Loop: Header=BB50_29 Depth=4
	s_set_inst_prefetch_distance 0x2
	s_or_b32 exec_lo, exec_lo, s37
	v_add_nc_u32_e32 v12, 1, v11
	v_cmp_ge_i32_e32 vcc_lo, v11, v27
	s_delay_alu instid0(VALU_DEP_2) | instskip(SKIP_1) | instid1(SALU_CYCLE_1)
	v_dual_mov_b32 v11, v12 :: v_dual_add_nc_u32 v40, s27, v40
	s_or_b32 s36, vcc_lo, s36
	s_and_not1_b32 exec_lo, exec_lo, s36
	s_cbranch_execz .LBB50_18
.LBB50_29:                              ;   Parent Loop BB50_7 Depth=1
                                        ;     Parent Loop BB50_13 Depth=2
                                        ;       Parent Loop BB50_20 Depth=3
                                        ; =>      This Loop Header: Depth=4
                                        ;           Child Loop BB50_31 Depth 5
                                        ;           Child Loop BB50_37 Depth 5
	s_delay_alu instid0(VALU_DEP_1) | instskip(NEXT) | instid1(VALU_DEP_1)
	v_ashrrev_i32_e32 v12, 31, v11
	v_lshlrev_b64 v[12:13], 2, v[11:12]
	s_delay_alu instid0(VALU_DEP_1) | instskip(NEXT) | instid1(VALU_DEP_2)
	v_add_co_u32 v12, vcc_lo, s18, v12
	v_add_co_ci_u32_e32 v13, vcc_lo, s19, v13, vcc_lo
	global_load_b32 v14, v[12:13], off
	s_waitcnt vmcnt(1)
	v_dual_mov_b32 v13, v38 :: v_dual_mov_b32 v12, v1
	s_and_saveexec_b32 s37, s4
	s_cbranch_execz .LBB50_33
; %bb.30:                               ;   in Loop: Header=BB50_29 Depth=4
	v_dual_mov_b32 v13, v38 :: v_dual_mov_b32 v12, v1
	v_dual_mov_b32 v15, v17 :: v_dual_mov_b32 v16, v18
	s_mov_b32 s38, 0
	.p2align	6
.LBB50_31:                              ;   Parent Loop BB50_7 Depth=1
                                        ;     Parent Loop BB50_13 Depth=2
                                        ;       Parent Loop BB50_20 Depth=3
                                        ;         Parent Loop BB50_29 Depth=4
                                        ; =>        This Inner Loop Header: Depth=5
	s_delay_alu instid0(VALU_DEP_2) | instskip(SKIP_2) | instid1(VALU_DEP_2)
	v_add_nc_u32_e32 v41, 1, v12
	s_waitcnt vmcnt(0)
	v_cmp_lt_i32_e32 vcc_lo, v13, v14
	v_dual_cndmask_b32 v16, v12, v16 :: v_dual_cndmask_b32 v15, v15, v41
	s_delay_alu instid0(VALU_DEP_1) | instskip(NEXT) | instid1(VALU_DEP_1)
	v_add_nc_u32_e32 v12, v16, v15
	v_ashrrev_i32_e32 v12, 1, v12
	s_delay_alu instid0(VALU_DEP_1) | instskip(NEXT) | instid1(VALU_DEP_1)
	v_ashrrev_i32_e32 v13, 31, v12
	v_lshlrev_b64 v[41:42], 2, v[12:13]
	s_delay_alu instid0(VALU_DEP_1) | instskip(NEXT) | instid1(VALU_DEP_2)
	v_add_co_u32 v41, vcc_lo, s18, v41
	v_add_co_ci_u32_e32 v42, vcc_lo, s19, v42, vcc_lo
	v_cmp_ge_i32_e32 vcc_lo, v15, v16
	global_load_b32 v13, v[41:42], off
	s_or_b32 s38, vcc_lo, s38
	s_delay_alu instid0(SALU_CYCLE_1)
	s_and_not1_b32 exec_lo, exec_lo, s38
	s_cbranch_execnz .LBB50_31
; %bb.32:                               ;   in Loop: Header=BB50_29 Depth=4
	s_or_b32 exec_lo, exec_lo, s38
.LBB50_33:                              ;   in Loop: Header=BB50_29 Depth=4
	s_delay_alu instid0(SALU_CYCLE_1) | instskip(NEXT) | instid1(SALU_CYCLE_1)
	s_or_b32 exec_lo, exec_lo, s37
	s_mov_b32 s37, exec_lo
	s_waitcnt vmcnt(0)
	v_cmpx_eq_u32_e64 v13, v14
	s_cbranch_execz .LBB50_28
; %bb.34:                               ;   in Loop: Header=BB50_29 Depth=4
	v_mul_lo_u32 v15, v12, s27
	v_subrev_nc_u32_e32 v14, s7, v14
	v_mad_u64_u32 v[12:13], null, v11, s27, s[22:23]
	s_mov_b32 s38, 0
	v_mov_b32_e32 v44, v40
	s_delay_alu instid0(VALU_DEP_3)
	v_mul_lo_u32 v41, v14, s25
	v_add_nc_u32_e32 v42, v15, v24
	v_add_nc_u32_e32 v43, v23, v15
	s_set_inst_prefetch_distance 0x1
	s_branch .LBB50_37
	.p2align	6
.LBB50_35:                              ;   in Loop: Header=BB50_37 Depth=5
	s_delay_alu instid0(VALU_DEP_2) | instskip(NEXT) | instid1(VALU_DEP_2)
	v_ashrrev_i32_e32 v16, 31, v15
	v_ashrrev_i32_e32 v14, 31, v13
	s_delay_alu instid0(VALU_DEP_2) | instskip(NEXT) | instid1(VALU_DEP_2)
	v_lshlrev_b64 v[15:16], 3, v[15:16]
	v_lshlrev_b64 v[13:14], 3, v[13:14]
	s_delay_alu instid0(VALU_DEP_2) | instskip(NEXT) | instid1(VALU_DEP_3)
	v_add_co_u32 v15, vcc_lo, s20, v15
	v_add_co_ci_u32_e32 v16, vcc_lo, s21, v16, vcc_lo
	s_delay_alu instid0(VALU_DEP_3) | instskip(NEXT) | instid1(VALU_DEP_4)
	v_add_co_u32 v13, vcc_lo, s20, v13
	v_add_co_ci_u32_e32 v14, vcc_lo, s21, v14, vcc_lo
	s_clause 0x1
	global_load_b64 v[15:16], v[15:16], off
	global_load_b64 v[13:14], v[13:14], off
	s_waitcnt vmcnt(0)
	v_fmac_f32_e32 v37, v15, v13
	v_fmac_f32_e32 v36, v16, v13
	s_delay_alu instid0(VALU_DEP_2) | instskip(NEXT) | instid1(VALU_DEP_2)
	v_fmac_f32_e32 v37, v16, v14
	v_fma_f32 v36, v15, -v14, v36
.LBB50_36:                              ;   in Loop: Header=BB50_37 Depth=5
	s_or_b32 exec_lo, exec_lo, s39
	v_add_nc_u32_e32 v43, s25, v43
	v_add_nc_u32_e32 v44, s25, v44
	s_add_i32 s38, s38, 1
	s_delay_alu instid0(SALU_CYCLE_1)
	s_cmp_lg_u32 s25, s38
	s_cbranch_scc0 .LBB50_28
.LBB50_37:                              ;   Parent Loop BB50_7 Depth=1
                                        ;     Parent Loop BB50_13 Depth=2
                                        ;       Parent Loop BB50_20 Depth=3
                                        ;         Parent Loop BB50_29 Depth=4
                                        ; =>        This Inner Loop Header: Depth=5
	s_delay_alu instid0(VALU_DEP_3) | instskip(SKIP_1) | instid1(VALU_DEP_1)
	v_add_nc_u32_e32 v13, s38, v41
	s_mov_b32 s39, exec_lo
	v_cmpx_lt_i32_e64 v13, v39
	s_cbranch_execz .LBB50_36
; %bb.38:                               ;   in Loop: Header=BB50_37 Depth=5
	v_mov_b32_e32 v15, v44
	v_mov_b32_e32 v13, v43
	s_and_not1_b32 vcc_lo, exec_lo, s1
	s_cbranch_vccnz .LBB50_35
; %bb.39:                               ;   in Loop: Header=BB50_37 Depth=5
	v_add_nc_u32_e32 v15, s38, v12
	v_add_nc_u32_e32 v13, s38, v42
	s_branch .LBB50_35
.LBB50_40:                              ;   in Loop: Header=BB50_7 Depth=1
	s_or_b32 exec_lo, exec_lo, s31
.LBB50_41:                              ;   in Loop: Header=BB50_7 Depth=1
	s_delay_alu instid0(SALU_CYCLE_1) | instskip(NEXT) | instid1(VALU_DEP_2)
	s_or_b32 exec_lo, exec_lo, s30
	v_add_nc_u32_e32 v14, v24, v21
	v_mov_b32_e32 v15, v20
	s_mov_b32 s6, 0
	s_branch .LBB50_44
.LBB50_42:                              ;   in Loop: Header=BB50_44 Depth=2
	s_set_inst_prefetch_distance 0x2
	v_mul_f32_e32 v10, v27, v27
	s_waitcnt vmcnt(0)
	v_dual_sub_f32 v8, v8, v28 :: v_dual_sub_f32 v9, v9, v29
	s_delay_alu instid0(VALU_DEP_2) | instskip(NEXT) | instid1(VALU_DEP_1)
	v_fmac_f32_e32 v10, v2, v2
	v_div_scale_f32 v11, null, v10, v10, 1.0
	v_div_scale_f32 v16, vcc_lo, 1.0, v10, 1.0
	s_delay_alu instid0(VALU_DEP_2) | instskip(SKIP_2) | instid1(VALU_DEP_1)
	v_rcp_f32_e32 v12, v11
	s_waitcnt_depctr 0xfff
	v_fma_f32 v13, -v11, v12, 1.0
	v_fmac_f32_e32 v12, v13, v12
	s_delay_alu instid0(VALU_DEP_1) | instskip(NEXT) | instid1(VALU_DEP_1)
	v_mul_f32_e32 v13, v16, v12
	v_fma_f32 v30, -v11, v13, v16
	s_delay_alu instid0(VALU_DEP_1) | instskip(NEXT) | instid1(VALU_DEP_1)
	v_fmac_f32_e32 v13, v30, v12
	v_fma_f32 v11, -v11, v13, v16
	v_mul_f32_e32 v16, v27, v9
	s_delay_alu instid0(VALU_DEP_2) | instskip(SKIP_1) | instid1(VALU_DEP_2)
	v_div_fmas_f32 v11, v11, v12, v13
	v_mul_f32_e64 v12, v27, -v8
	v_div_fixup_f32 v10, v11, v10, 1.0
	s_delay_alu instid0(VALU_DEP_2) | instskip(NEXT) | instid1(VALU_DEP_1)
	v_fmac_f32_e32 v12, v9, v2
	v_dual_fmac_f32 v16, v8, v2 :: v_dual_mul_f32 v9, v10, v12
	s_delay_alu instid0(VALU_DEP_1) | instskip(NEXT) | instid1(VALU_DEP_1)
	v_mul_f32_e32 v8, v10, v16
	v_fmac_f32_e32 v26, v8, v8
	s_delay_alu instid0(VALU_DEP_3)
	v_fmac_f32_e32 v25, v9, v8
	global_store_b64 v[6:7], v[8:9], off
	v_fmac_f32_e32 v26, v9, v9
	v_fma_f32 v25, v8, -v9, v25
.LBB50_43:                              ;   in Loop: Header=BB50_44 Depth=2
	s_or_b32 exec_lo, exec_lo, s5
	v_add_nc_u32_e32 v15, 1, v15
	s_add_i32 s6, s6, 1
	s_waitcnt_vscnt null, 0x0
	buffer_gl1_inv
	buffer_gl0_inv
	s_cmp_eq_u32 s6, s25
	s_cbranch_scc1 .LBB50_6
.LBB50_44:                              ;   Parent Loop BB50_7 Depth=1
                                        ; =>  This Loop Header: Depth=2
                                        ;       Child Loop BB50_54 Depth 3
                                        ;       Child Loop BB50_62 Depth 3
                                        ;         Child Loop BB50_64 Depth 4
                                        ;       Child Loop BB50_72 Depth 3
	s_mul_i32 s22, s6, s25
	s_mov_b32 s30, exec_lo
	v_add_nc_u32_e32 v16, s22, v21
	s_delay_alu instid0(VALU_DEP_1) | instskip(NEXT) | instid1(VALU_DEP_1)
	v_add_nc_u32_e32 v6, s6, v16
	v_ashrrev_i32_e32 v7, 31, v6
	s_delay_alu instid0(VALU_DEP_1)
	v_lshlrev_b64 v[6:7], 3, v[6:7]
	v_cmpx_eq_u32_e64 s6, v23
	s_cbranch_execz .LBB50_52
; %bb.45:                               ;   in Loop: Header=BB50_44 Depth=2
	s_delay_alu instid0(VALU_DEP_2) | instskip(NEXT) | instid1(VALU_DEP_3)
	v_add_co_u32 v8, vcc_lo, s20, v6
	v_add_co_ci_u32_e32 v9, vcc_lo, s21, v7, vcc_lo
	s_mov_b32 s5, exec_lo
	global_load_b64 v[10:11], v[8:9], off
	s_waitcnt vmcnt(0)
	v_sub_f32_e32 v2, v10, v26
	v_sub_f32_e32 v12, v11, v25
                                        ; implicit-def: $vgpr11
	s_delay_alu instid0(VALU_DEP_2) | instskip(SKIP_1) | instid1(VALU_DEP_3)
	v_cmp_gt_f32_e32 vcc_lo, 0, v2
	v_cndmask_b32_e64 v2, v2, -v2, vcc_lo
	v_cmp_gt_f32_e32 vcc_lo, 0, v12
	v_cndmask_b32_e64 v10, v12, -v12, vcc_lo
	s_delay_alu instid0(VALU_DEP_1)
	v_cmpx_ngt_f32_e32 v2, v10
	s_xor_b32 s31, exec_lo, s5
	s_cbranch_execz .LBB50_49
; %bb.46:                               ;   in Loop: Header=BB50_44 Depth=2
	v_mov_b32_e32 v11, 0
	s_mov_b32 s33, exec_lo
	v_cmpx_neq_f32_e32 0, v12
	s_cbranch_execz .LBB50_48
; %bb.47:                               ;   in Loop: Header=BB50_44 Depth=2
	v_div_scale_f32 v11, null, v10, v10, v2
	v_div_scale_f32 v27, vcc_lo, v2, v10, v2
	s_delay_alu instid0(VALU_DEP_2) | instskip(SKIP_2) | instid1(VALU_DEP_1)
	v_rcp_f32_e32 v12, v11
	s_waitcnt_depctr 0xfff
	v_fma_f32 v13, -v11, v12, 1.0
	v_fmac_f32_e32 v12, v13, v12
	s_delay_alu instid0(VALU_DEP_1) | instskip(NEXT) | instid1(VALU_DEP_1)
	v_mul_f32_e32 v13, v27, v12
	v_fma_f32 v28, -v11, v13, v27
	s_delay_alu instid0(VALU_DEP_1) | instskip(NEXT) | instid1(VALU_DEP_1)
	v_fmac_f32_e32 v13, v28, v12
	v_fma_f32 v11, -v11, v13, v27
	s_delay_alu instid0(VALU_DEP_1) | instskip(NEXT) | instid1(VALU_DEP_1)
	v_div_fmas_f32 v11, v11, v12, v13
	v_div_fixup_f32 v2, v11, v10, v2
	s_delay_alu instid0(VALU_DEP_1) | instskip(NEXT) | instid1(VALU_DEP_1)
	v_fma_f32 v2, v2, v2, 1.0
	v_mul_f32_e32 v11, 0x4f800000, v2
	v_cmp_gt_f32_e32 vcc_lo, 0xf800000, v2
	s_delay_alu instid0(VALU_DEP_2) | instskip(NEXT) | instid1(VALU_DEP_1)
	v_cndmask_b32_e32 v2, v2, v11, vcc_lo
	v_sqrt_f32_e32 v11, v2
	s_waitcnt_depctr 0xfff
	v_add_nc_u32_e32 v12, -1, v11
	v_add_nc_u32_e32 v13, 1, v11
	s_delay_alu instid0(VALU_DEP_2) | instskip(NEXT) | instid1(VALU_DEP_2)
	v_fma_f32 v27, -v12, v11, v2
	v_fma_f32 v28, -v13, v11, v2
	s_delay_alu instid0(VALU_DEP_2) | instskip(NEXT) | instid1(VALU_DEP_1)
	v_cmp_ge_f32_e64 s5, 0, v27
	v_cndmask_b32_e64 v11, v11, v12, s5
	s_delay_alu instid0(VALU_DEP_3) | instskip(NEXT) | instid1(VALU_DEP_1)
	v_cmp_lt_f32_e64 s5, 0, v28
	v_cndmask_b32_e64 v11, v11, v13, s5
	s_delay_alu instid0(VALU_DEP_1) | instskip(NEXT) | instid1(VALU_DEP_1)
	v_mul_f32_e32 v12, 0x37800000, v11
	v_cndmask_b32_e32 v11, v11, v12, vcc_lo
	v_cmp_class_f32_e64 vcc_lo, v2, 0x260
	s_delay_alu instid0(VALU_DEP_2) | instskip(NEXT) | instid1(VALU_DEP_1)
	v_cndmask_b32_e32 v2, v11, v2, vcc_lo
	v_mul_f32_e32 v11, v10, v2
.LBB50_48:                              ;   in Loop: Header=BB50_44 Depth=2
	s_or_b32 exec_lo, exec_lo, s33
                                        ; implicit-def: $vgpr2
                                        ; implicit-def: $vgpr10
.LBB50_49:                              ;   in Loop: Header=BB50_44 Depth=2
	s_and_not1_saveexec_b32 s31, s31
	s_cbranch_execz .LBB50_51
; %bb.50:                               ;   in Loop: Header=BB50_44 Depth=2
	v_div_scale_f32 v11, null, v2, v2, v10
	v_div_scale_f32 v27, vcc_lo, v10, v2, v10
	s_delay_alu instid0(VALU_DEP_2) | instskip(SKIP_2) | instid1(VALU_DEP_1)
	v_rcp_f32_e32 v12, v11
	s_waitcnt_depctr 0xfff
	v_fma_f32 v13, -v11, v12, 1.0
	v_fmac_f32_e32 v12, v13, v12
	s_delay_alu instid0(VALU_DEP_1) | instskip(NEXT) | instid1(VALU_DEP_1)
	v_mul_f32_e32 v13, v27, v12
	v_fma_f32 v28, -v11, v13, v27
	s_delay_alu instid0(VALU_DEP_1) | instskip(NEXT) | instid1(VALU_DEP_1)
	v_fmac_f32_e32 v13, v28, v12
	v_fma_f32 v11, -v11, v13, v27
	s_delay_alu instid0(VALU_DEP_1) | instskip(NEXT) | instid1(VALU_DEP_1)
	v_div_fmas_f32 v11, v11, v12, v13
	v_div_fixup_f32 v10, v11, v2, v10
	s_delay_alu instid0(VALU_DEP_1) | instskip(NEXT) | instid1(VALU_DEP_1)
	v_fma_f32 v10, v10, v10, 1.0
	v_mul_f32_e32 v11, 0x4f800000, v10
	v_cmp_gt_f32_e32 vcc_lo, 0xf800000, v10
	s_delay_alu instid0(VALU_DEP_2) | instskip(NEXT) | instid1(VALU_DEP_1)
	v_cndmask_b32_e32 v10, v10, v11, vcc_lo
	v_sqrt_f32_e32 v11, v10
	s_waitcnt_depctr 0xfff
	v_add_nc_u32_e32 v12, -1, v11
	v_add_nc_u32_e32 v13, 1, v11
	s_delay_alu instid0(VALU_DEP_2) | instskip(NEXT) | instid1(VALU_DEP_2)
	v_fma_f32 v27, -v12, v11, v10
	v_fma_f32 v28, -v13, v11, v10
	s_delay_alu instid0(VALU_DEP_2) | instskip(NEXT) | instid1(VALU_DEP_1)
	v_cmp_ge_f32_e64 s5, 0, v27
	v_cndmask_b32_e64 v11, v11, v12, s5
	s_delay_alu instid0(VALU_DEP_3) | instskip(NEXT) | instid1(VALU_DEP_1)
	v_cmp_lt_f32_e64 s5, 0, v28
	v_cndmask_b32_e64 v11, v11, v13, s5
	s_delay_alu instid0(VALU_DEP_1) | instskip(NEXT) | instid1(VALU_DEP_1)
	v_mul_f32_e32 v12, 0x37800000, v11
	v_cndmask_b32_e32 v11, v11, v12, vcc_lo
	v_cmp_class_f32_e64 vcc_lo, v10, 0x260
	s_delay_alu instid0(VALU_DEP_2) | instskip(NEXT) | instid1(VALU_DEP_1)
	v_cndmask_b32_e32 v10, v11, v10, vcc_lo
	v_mul_f32_e32 v11, v2, v10
.LBB50_51:                              ;   in Loop: Header=BB50_44 Depth=2
	s_or_b32 exec_lo, exec_lo, s31
	s_delay_alu instid0(VALU_DEP_1) | instskip(SKIP_1) | instid1(VALU_DEP_2)
	v_mul_f32_e32 v2, 0x4f800000, v11
	v_cmp_gt_f32_e32 vcc_lo, 0xf800000, v11
	v_cndmask_b32_e32 v2, v11, v2, vcc_lo
	s_delay_alu instid0(VALU_DEP_1) | instskip(SKIP_3) | instid1(VALU_DEP_2)
	v_sqrt_f32_e32 v10, v2
	s_waitcnt_depctr 0xfff
	v_add_nc_u32_e32 v11, -1, v10
	v_add_nc_u32_e32 v12, 1, v10
	v_fma_f32 v13, -v11, v10, v2
	s_delay_alu instid0(VALU_DEP_2) | instskip(NEXT) | instid1(VALU_DEP_2)
	v_fma_f32 v27, -v12, v10, v2
	v_cmp_ge_f32_e64 s5, 0, v13
	s_delay_alu instid0(VALU_DEP_1) | instskip(NEXT) | instid1(VALU_DEP_3)
	v_cndmask_b32_e64 v10, v10, v11, s5
	v_cmp_lt_f32_e64 s5, 0, v27
	s_delay_alu instid0(VALU_DEP_1) | instskip(NEXT) | instid1(VALU_DEP_1)
	v_cndmask_b32_e64 v10, v10, v12, s5
	v_mul_f32_e32 v11, 0x37800000, v10
	s_delay_alu instid0(VALU_DEP_1) | instskip(SKIP_1) | instid1(VALU_DEP_2)
	v_cndmask_b32_e32 v10, v10, v11, vcc_lo
	v_cmp_class_f32_e64 vcc_lo, v2, 0x260
	v_cndmask_b32_e32 v2, v10, v2, vcc_lo
	global_store_b64 v[8:9], v[2:3], off
.LBB50_52:                              ;   in Loop: Header=BB50_44 Depth=2
	s_or_b32 exec_lo, exec_lo, s30
	s_delay_alu instid0(VALU_DEP_2) | instskip(NEXT) | instid1(VALU_DEP_3)
	v_add_co_u32 v6, vcc_lo, s20, v6
	v_add_co_ci_u32_e32 v7, vcc_lo, s21, v7, vcc_lo
	s_waitcnt_vscnt null, 0x0
	buffer_gl1_inv
	buffer_gl0_inv
	global_load_b64 v[6:7], v[6:7], off
	s_waitcnt vmcnt(0)
	v_cmp_neq_f32_e32 vcc_lo, 0, v6
	v_cmp_neq_f32_e64 s5, 0, v7
	s_delay_alu instid0(VALU_DEP_1) | instskip(SKIP_2) | instid1(SALU_CYCLE_1)
	s_or_b32 vcc_lo, vcc_lo, s5
	v_dual_cndmask_b32 v27, 0, v7 :: v_dual_cndmask_b32 v2, 1.0, v6
	s_or_b32 s5, vcc_lo, s0
	s_xor_b32 s30, s5, -1
	s_delay_alu instid0(SALU_CYCLE_1)
	s_and_saveexec_b32 s5, s30
	s_cbranch_execz .LBB50_58
; %bb.53:                               ;   in Loop: Header=BB50_44 Depth=2
	s_mov_b32 s31, exec_lo
	s_brev_b32 s30, -2
.LBB50_54:                              ;   Parent Loop BB50_7 Depth=1
                                        ;     Parent Loop BB50_44 Depth=2
                                        ; =>    This Inner Loop Header: Depth=3
	s_ctz_i32_b32 s33, s31
	s_delay_alu instid0(SALU_CYCLE_1) | instskip(SKIP_1) | instid1(SALU_CYCLE_1)
	v_readlane_b32 s34, v19, s33
	s_lshl_b32 s33, 1, s33
	s_and_not1_b32 s31, s31, s33
	s_delay_alu instid0(VALU_DEP_1)
	s_min_i32 s30, s30, s34
	s_cmp_lg_u32 s31, 0
	s_cbranch_scc1 .LBB50_54
; %bb.55:                               ;   in Loop: Header=BB50_44 Depth=2
	v_mbcnt_lo_u32_b32 v2, exec_lo, 0
	s_mov_b32 s31, exec_lo
	s_delay_alu instid0(VALU_DEP_1)
	v_cmpx_eq_u32_e32 0, v2
	s_xor_b32 s31, exec_lo, s31
	s_cbranch_execz .LBB50_57
; %bb.56:                               ;   in Loop: Header=BB50_44 Depth=2
	v_mov_b32_e32 v2, s30
	global_atomic_min_i32 v3, v2, s[14:15]
.LBB50_57:                              ;   in Loop: Header=BB50_44 Depth=2
	s_or_b32 exec_lo, exec_lo, s31
	v_dual_mov_b32 v2, 1.0 :: v_dual_mov_b32 v27, 0
.LBB50_58:                              ;   in Loop: Header=BB50_44 Depth=2
	s_or_b32 exec_lo, exec_lo, s5
	s_delay_alu instid0(SALU_CYCLE_1)
	s_mov_b32 s5, exec_lo
	v_cmpx_lt_i32_e64 s6, v23
	s_cbranch_execz .LBB50_43
; %bb.59:                               ;   in Loop: Header=BB50_44 Depth=2
	v_dual_mov_b32 v29, 0 :: v_dual_add_nc_u32 v6, s6, v14
	v_dual_mov_b32 v28, 0 :: v_dual_add_nc_u32 v7, v16, v23
	s_delay_alu instid0(VALU_DEP_1) | instskip(NEXT) | instid1(VALU_DEP_1)
	v_cndmask_b32_e64 v6, v7, v6, s1
	v_ashrrev_i32_e32 v7, 31, v6
	s_delay_alu instid0(VALU_DEP_1) | instskip(NEXT) | instid1(VALU_DEP_1)
	v_lshlrev_b64 v[6:7], 3, v[6:7]
	v_add_co_u32 v6, vcc_lo, s20, v6
	s_delay_alu instid0(VALU_DEP_2)
	v_add_co_ci_u32_e32 v7, vcc_lo, s21, v7, vcc_lo
	global_load_b64 v[8:9], v[6:7], off
	s_and_saveexec_b32 s30, s2
	s_cbranch_execz .LBB50_69
; %bb.60:                               ;   in Loop: Header=BB50_44 Depth=2
	v_dual_mov_b32 v28, 0 :: v_dual_mov_b32 v31, v22
	v_dual_mov_b32 v30, v15 :: v_dual_mov_b32 v29, 0
	v_mov_b32_e32 v32, v17
	s_mov_b32 s31, 0
	s_branch .LBB50_62
.LBB50_61:                              ;   in Loop: Header=BB50_62 Depth=3
	s_set_inst_prefetch_distance 0x2
	v_add_nc_u32_e32 v32, 1, v32
	v_add_nc_u32_e32 v31, s27, v31
	;; [unrolled: 1-line block ×3, first 2 shown]
	s_delay_alu instid0(VALU_DEP_3) | instskip(SKIP_1) | instid1(SALU_CYCLE_1)
	v_cmp_le_i32_e32 vcc_lo, s24, v32
	s_or_b32 s31, vcc_lo, s31
	s_and_not1_b32 exec_lo, exec_lo, s31
	s_cbranch_execz .LBB50_68
.LBB50_62:                              ;   Parent Loop BB50_7 Depth=1
                                        ;     Parent Loop BB50_44 Depth=2
                                        ; =>    This Loop Header: Depth=3
                                        ;         Child Loop BB50_64 Depth 4
	s_delay_alu instid0(VALU_DEP_1) | instskip(SKIP_3) | instid1(VALU_DEP_1)
	v_mul_lo_u32 v10, v32, s27
	s_mov_b32 s33, s25
	s_mov_b32 s34, 0
	s_mov_b32 s35, 0
	v_add_nc_u32_e32 v33, s22, v10
	v_add_nc_u32_e32 v34, v10, v24
	s_set_inst_prefetch_distance 0x1
	s_branch .LBB50_64
	.p2align	6
.LBB50_63:                              ;   in Loop: Header=BB50_64 Depth=4
	s_delay_alu instid0(VALU_DEP_2) | instskip(NEXT) | instid1(VALU_DEP_2)
	v_ashrrev_i32_e32 v13, 31, v12
	v_ashrrev_i32_e32 v11, 31, v10
	s_add_i32 s33, s33, -1
	s_add_i32 s35, s35, 1
	s_add_i32 s34, s34, s25
	v_lshlrev_b64 v[12:13], 3, v[12:13]
	v_lshlrev_b64 v[10:11], 3, v[10:11]
	s_cmp_eq_u32 s33, 0
	s_delay_alu instid0(VALU_DEP_2) | instskip(NEXT) | instid1(VALU_DEP_3)
	v_add_co_u32 v12, vcc_lo, s20, v12
	v_add_co_ci_u32_e32 v13, vcc_lo, s21, v13, vcc_lo
	s_delay_alu instid0(VALU_DEP_3) | instskip(NEXT) | instid1(VALU_DEP_4)
	v_add_co_u32 v10, vcc_lo, s20, v10
	v_add_co_ci_u32_e32 v11, vcc_lo, s21, v11, vcc_lo
	s_clause 0x1
	global_load_b64 v[12:13], v[12:13], off
	global_load_b64 v[10:11], v[10:11], off
	s_waitcnt vmcnt(0)
	v_fmac_f32_e32 v28, v12, v10
	v_fmac_f32_e32 v29, v13, v10
	s_delay_alu instid0(VALU_DEP_2) | instskip(NEXT) | instid1(VALU_DEP_2)
	v_fmac_f32_e32 v28, v13, v11
	v_fma_f32 v29, v12, -v11, v29
	s_cbranch_scc1 .LBB50_61
.LBB50_64:                              ;   Parent Loop BB50_7 Depth=1
                                        ;     Parent Loop BB50_44 Depth=2
                                        ;       Parent Loop BB50_62 Depth=3
                                        ; =>      This Inner Loop Header: Depth=4
	s_and_b32 vcc_lo, exec_lo, s29
	s_cbranch_vccz .LBB50_66
; %bb.65:                               ;   in Loop: Header=BB50_64 Depth=4
	v_add_nc_u32_e32 v12, s34, v30
	v_add_nc_u32_e32 v10, s34, v31
	s_cbranch_execnz .LBB50_63
	s_branch .LBB50_67
	.p2align	6
.LBB50_66:                              ;   in Loop: Header=BB50_64 Depth=4
                                        ; implicit-def: $vgpr10
                                        ; implicit-def: $vgpr12
.LBB50_67:                              ;   in Loop: Header=BB50_64 Depth=4
	v_add_nc_u32_e32 v12, s35, v33
	v_add_nc_u32_e32 v10, s35, v34
	s_branch .LBB50_63
.LBB50_68:                              ;   in Loop: Header=BB50_44 Depth=2
	s_or_b32 exec_lo, exec_lo, s31
.LBB50_69:                              ;   in Loop: Header=BB50_44 Depth=2
	s_delay_alu instid0(SALU_CYCLE_1)
	s_or_b32 exec_lo, exec_lo, s30
	s_cmp_eq_u32 s6, 0
	s_cbranch_scc1 .LBB50_42
; %bb.70:                               ;   in Loop: Header=BB50_44 Depth=2
	v_mov_b32_e32 v30, v21
	s_mov_b32 s22, 0
	s_set_inst_prefetch_distance 0x1
	s_branch .LBB50_72
	.p2align	6
.LBB50_71:                              ;   in Loop: Header=BB50_72 Depth=3
	s_delay_alu instid0(VALU_DEP_2) | instskip(NEXT) | instid1(VALU_DEP_2)
	v_ashrrev_i32_e32 v13, 31, v12
	v_ashrrev_i32_e32 v11, 31, v10
	v_add_nc_u32_e32 v30, s25, v30
	s_add_i32 s22, s22, 1
	s_delay_alu instid0(SALU_CYCLE_1) | instskip(SKIP_2) | instid1(VALU_DEP_2)
	s_cmp_ge_u32 s22, s6
	v_lshlrev_b64 v[12:13], 3, v[12:13]
	v_lshlrev_b64 v[10:11], 3, v[10:11]
	v_add_co_u32 v12, vcc_lo, s20, v12
	s_delay_alu instid0(VALU_DEP_3) | instskip(NEXT) | instid1(VALU_DEP_3)
	v_add_co_ci_u32_e32 v13, vcc_lo, s21, v13, vcc_lo
	v_add_co_u32 v10, vcc_lo, s20, v10
	s_delay_alu instid0(VALU_DEP_4)
	v_add_co_ci_u32_e32 v11, vcc_lo, s21, v11, vcc_lo
	s_clause 0x1
	global_load_b64 v[12:13], v[12:13], off
	global_load_b64 v[10:11], v[10:11], off
	s_waitcnt vmcnt(0)
	v_fmac_f32_e32 v28, v12, v10
	v_fmac_f32_e32 v29, v13, v10
	s_delay_alu instid0(VALU_DEP_2) | instskip(NEXT) | instid1(VALU_DEP_2)
	v_fmac_f32_e32 v28, v13, v11
	v_fma_f32 v29, v12, -v11, v29
	s_cbranch_scc1 .LBB50_42
.LBB50_72:                              ;   Parent Loop BB50_7 Depth=1
                                        ;     Parent Loop BB50_44 Depth=2
                                        ; =>    This Inner Loop Header: Depth=3
	s_and_b32 vcc_lo, exec_lo, s29
	s_cbranch_vccz .LBB50_74
; %bb.73:                               ;   in Loop: Header=BB50_72 Depth=3
	v_add_nc_u32_e32 v12, s6, v30
	v_add_nc_u32_e32 v10, v23, v30
	s_cbranch_execnz .LBB50_71
	s_branch .LBB50_75
	.p2align	6
.LBB50_74:                              ;   in Loop: Header=BB50_72 Depth=3
                                        ; implicit-def: $vgpr10
                                        ; implicit-def: $vgpr12
.LBB50_75:                              ;   in Loop: Header=BB50_72 Depth=3
	v_add_nc_u32_e32 v12, s22, v16
	v_add_nc_u32_e32 v10, s22, v14
	s_branch .LBB50_71
.LBB50_76:
	s_or_b32 exec_lo, exec_lo, s26
	v_cmp_eq_u32_e32 vcc_lo, 63, v0
                                        ; implicit-def: $vgpr0
                                        ; implicit-def: $vgpr2_vgpr3
	s_and_b32 s2, vcc_lo, exec_lo
	s_and_not1_saveexec_b32 s0, s23
	s_cbranch_execz .LBB50_2
.LBB50_77:
	s_mov_b32 s3, s2
	s_mov_b32 s1, exec_lo
	v_cmpx_eq_u32_e32 63, v0
	s_cbranch_execz .LBB50_83
; %bb.78:
	v_add_nc_u32_e32 v0, s7, v2
	s_mov_b32 s4, exec_lo
	s_brev_b32 s3, -2
.LBB50_79:                              ; =>This Inner Loop Header: Depth=1
	s_ctz_i32_b32 s5, s4
	s_delay_alu instid0(VALU_DEP_1) | instid1(SALU_CYCLE_1)
	v_readlane_b32 s6, v0, s5
	s_lshl_b32 s5, 1, s5
	s_delay_alu instid0(SALU_CYCLE_1) | instskip(NEXT) | instid1(VALU_DEP_1)
	s_and_not1_b32 s4, s4, s5
	s_min_i32 s3, s3, s6
	s_cmp_lg_u32 s4, 0
	s_cbranch_scc1 .LBB50_79
; %bb.80:
	v_mbcnt_lo_u32_b32 v0, exec_lo, 0
	s_mov_b32 s4, exec_lo
	s_delay_alu instid0(VALU_DEP_1)
	v_cmpx_eq_u32_e32 0, v0
	s_xor_b32 s4, exec_lo, s4
	s_cbranch_execz .LBB50_82
; %bb.81:
	v_dual_mov_b32 v0, 0 :: v_dual_mov_b32 v1, s3
	global_atomic_min_i32 v0, v1, s[14:15]
.LBB50_82:
	s_or_b32 exec_lo, exec_lo, s4
	s_delay_alu instid0(SALU_CYCLE_1)
	s_or_b32 s3, s2, exec_lo
.LBB50_83:
	s_or_b32 exec_lo, exec_lo, s1
	s_delay_alu instid0(SALU_CYCLE_1) | instskip(SKIP_1) | instid1(SALU_CYCLE_1)
	s_and_not1_b32 s1, s2, exec_lo
	s_and_b32 s2, s3, exec_lo
	s_or_b32 s2, s1, s2
	s_or_b32 exec_lo, exec_lo, s0
	s_and_saveexec_b32 s0, s2
	s_cbranch_execz .LBB50_3
.LBB50_84:
	v_lshlrev_b64 v[0:1], 2, s[12:13]
	v_mov_b32_e32 v2, 1
	s_delay_alu instid0(VALU_DEP_2) | instskip(NEXT) | instid1(VALU_DEP_3)
	v_add_co_u32 v0, vcc_lo, s10, v0
	v_add_co_ci_u32_e32 v1, vcc_lo, s11, v1, vcc_lo
	s_waitcnt_vscnt null, 0x0
	global_store_b32 v[0:1], v2, off
	s_nop 0
	s_sendmsg sendmsg(MSG_DEALLOC_VGPRS)
	s_endpgm
	.section	.rodata,"a",@progbits
	.p2align	6, 0x0
	.amdhsa_kernel _ZN9rocsparseL23bsric0_binsearch_kernelILj64ELj64ELb0E21rocsparse_complex_numIfEEEv20rocsparse_direction_iiPKiS5_PT2_S5_PiS5_S8_21rocsparse_index_base_
		.amdhsa_group_segment_fixed_size 0
		.amdhsa_private_segment_fixed_size 0
		.amdhsa_kernarg_size 76
		.amdhsa_user_sgpr_count 15
		.amdhsa_user_sgpr_dispatch_ptr 0
		.amdhsa_user_sgpr_queue_ptr 0
		.amdhsa_user_sgpr_kernarg_segment_ptr 1
		.amdhsa_user_sgpr_dispatch_id 0
		.amdhsa_user_sgpr_private_segment_size 0
		.amdhsa_wavefront_size32 1
		.amdhsa_uses_dynamic_stack 0
		.amdhsa_enable_private_segment 0
		.amdhsa_system_sgpr_workgroup_id_x 1
		.amdhsa_system_sgpr_workgroup_id_y 0
		.amdhsa_system_sgpr_workgroup_id_z 0
		.amdhsa_system_sgpr_workgroup_info 0
		.amdhsa_system_vgpr_workitem_id 0
		.amdhsa_next_free_vgpr 45
		.amdhsa_next_free_sgpr 40
		.amdhsa_reserve_vcc 1
		.amdhsa_float_round_mode_32 0
		.amdhsa_float_round_mode_16_64 0
		.amdhsa_float_denorm_mode_32 3
		.amdhsa_float_denorm_mode_16_64 3
		.amdhsa_dx10_clamp 1
		.amdhsa_ieee_mode 1
		.amdhsa_fp16_overflow 0
		.amdhsa_workgroup_processor_mode 1
		.amdhsa_memory_ordered 1
		.amdhsa_forward_progress 0
		.amdhsa_shared_vgpr_count 0
		.amdhsa_exception_fp_ieee_invalid_op 0
		.amdhsa_exception_fp_denorm_src 0
		.amdhsa_exception_fp_ieee_div_zero 0
		.amdhsa_exception_fp_ieee_overflow 0
		.amdhsa_exception_fp_ieee_underflow 0
		.amdhsa_exception_fp_ieee_inexact 0
		.amdhsa_exception_int_div_zero 0
	.end_amdhsa_kernel
	.section	.text._ZN9rocsparseL23bsric0_binsearch_kernelILj64ELj64ELb0E21rocsparse_complex_numIfEEEv20rocsparse_direction_iiPKiS5_PT2_S5_PiS5_S8_21rocsparse_index_base_,"axG",@progbits,_ZN9rocsparseL23bsric0_binsearch_kernelILj64ELj64ELb0E21rocsparse_complex_numIfEEEv20rocsparse_direction_iiPKiS5_PT2_S5_PiS5_S8_21rocsparse_index_base_,comdat
.Lfunc_end50:
	.size	_ZN9rocsparseL23bsric0_binsearch_kernelILj64ELj64ELb0E21rocsparse_complex_numIfEEEv20rocsparse_direction_iiPKiS5_PT2_S5_PiS5_S8_21rocsparse_index_base_, .Lfunc_end50-_ZN9rocsparseL23bsric0_binsearch_kernelILj64ELj64ELb0E21rocsparse_complex_numIfEEEv20rocsparse_direction_iiPKiS5_PT2_S5_PiS5_S8_21rocsparse_index_base_
                                        ; -- End function
	.section	.AMDGPU.csdata,"",@progbits
; Kernel info:
; codeLenInByte = 3904
; NumSgprs: 42
; NumVgprs: 45
; ScratchSize: 0
; MemoryBound: 0
; FloatMode: 240
; IeeeMode: 1
; LDSByteSize: 0 bytes/workgroup (compile time only)
; SGPRBlocks: 5
; VGPRBlocks: 5
; NumSGPRsForWavesPerEU: 42
; NumVGPRsForWavesPerEU: 45
; Occupancy: 16
; WaveLimiterHint : 1
; COMPUTE_PGM_RSRC2:SCRATCH_EN: 0
; COMPUTE_PGM_RSRC2:USER_SGPR: 15
; COMPUTE_PGM_RSRC2:TRAP_HANDLER: 0
; COMPUTE_PGM_RSRC2:TGID_X_EN: 1
; COMPUTE_PGM_RSRC2:TGID_Y_EN: 0
; COMPUTE_PGM_RSRC2:TGID_Z_EN: 0
; COMPUTE_PGM_RSRC2:TIDIG_COMP_CNT: 0
	.section	.text._ZN9rocsparseL17bsric0_2_8_kernelILi64ELi64ELi8E21rocsparse_complex_numIfEEEv20rocsparse_direction_iiPKiS5_PT2_S5_PiS5_S8_21rocsparse_index_base_,"axG",@progbits,_ZN9rocsparseL17bsric0_2_8_kernelILi64ELi64ELi8E21rocsparse_complex_numIfEEEv20rocsparse_direction_iiPKiS5_PT2_S5_PiS5_S8_21rocsparse_index_base_,comdat
	.globl	_ZN9rocsparseL17bsric0_2_8_kernelILi64ELi64ELi8E21rocsparse_complex_numIfEEEv20rocsparse_direction_iiPKiS5_PT2_S5_PiS5_S8_21rocsparse_index_base_ ; -- Begin function _ZN9rocsparseL17bsric0_2_8_kernelILi64ELi64ELi8E21rocsparse_complex_numIfEEEv20rocsparse_direction_iiPKiS5_PT2_S5_PiS5_S8_21rocsparse_index_base_
	.p2align	8
	.type	_ZN9rocsparseL17bsric0_2_8_kernelILi64ELi64ELi8E21rocsparse_complex_numIfEEEv20rocsparse_direction_iiPKiS5_PT2_S5_PiS5_S8_21rocsparse_index_base_,@function
_ZN9rocsparseL17bsric0_2_8_kernelILi64ELi64ELi8E21rocsparse_complex_numIfEEEv20rocsparse_direction_iiPKiS5_PT2_S5_PiS5_S8_21rocsparse_index_base_: ; @_ZN9rocsparseL17bsric0_2_8_kernelILi64ELi64ELi8E21rocsparse_complex_numIfEEEv20rocsparse_direction_iiPKiS5_PT2_S5_PiS5_S8_21rocsparse_index_base_
; %bb.0:
	s_load_b256 s[4:11], s[0:1], 0x28
	s_mov_b32 s2, s15
	s_mov_b32 s3, 0
	v_and_b32_e32 v11, 0x3ff, v0
	s_lshl_b64 s[12:13], s[2:3], 2
	v_bfe_u32 v12, v0, 10, 10
	s_waitcnt lgkmcnt(0)
	s_add_u32 s8, s8, s12
	s_addc_u32 s9, s9, s13
	s_load_b32 s16, s[8:9], 0x0
	s_waitcnt lgkmcnt(0)
	s_ashr_i32 s17, s16, 31
	s_delay_alu instid0(SALU_CYCLE_1) | instskip(NEXT) | instid1(SALU_CYCLE_1)
	s_lshl_b64 s[8:9], s[16:17], 2
	s_add_u32 s12, s4, s8
	s_addc_u32 s13, s5, s9
	s_load_b32 s28, s[12:13], 0x0
	s_load_b32 s17, s[0:1], 0x48
	s_waitcnt lgkmcnt(0)
	s_cmp_lg_u32 s28, -1
	s_cbranch_scc0 .LBB51_82
; %bb.1:
	s_clause 0x1
	s_load_b128 s[12:15], s[0:1], 0x10
	s_load_b64 s[18:19], s[0:1], 0x20
	v_lshlrev_b32_e32 v15, 3, v12
	s_waitcnt lgkmcnt(0)
	s_add_u32 s2, s12, s8
	s_addc_u32 s3, s13, s9
	s_load_b32 s2, s[2:3], 0x0
	s_mov_b32 s3, exec_lo
	s_waitcnt lgkmcnt(0)
	s_sub_i32 s30, s2, s17
	s_delay_alu instid0(SALU_CYCLE_1) | instskip(NEXT) | instid1(VALU_DEP_1)
	v_add3_u32 v0, v15, v11, s30
	v_cmpx_ge_i32_e64 s28, v0
	s_cbranch_execz .LBB51_4
; %bb.2:
	v_ashrrev_i32_e32 v1, 31, v0
	v_lshlrev_b32_e32 v3, 5, v12
	v_lshlrev_b32_e32 v4, 2, v11
	s_mov_b32 s20, 0
	s_delay_alu instid0(VALU_DEP_3) | instskip(NEXT) | instid1(VALU_DEP_2)
	v_lshlrev_b64 v[1:2], 2, v[0:1]
	v_add3_u32 v3, v3, v4, 0xb00
	s_delay_alu instid0(VALU_DEP_2) | instskip(NEXT) | instid1(VALU_DEP_3)
	v_add_co_u32 v1, vcc_lo, s14, v1
	v_add_co_ci_u32_e32 v2, vcc_lo, s15, v2, vcc_lo
	.p2align	6
.LBB51_3:                               ; =>This Inner Loop Header: Depth=1
	global_load_b32 v4, v[1:2], off
	v_add_nc_u32_e32 v0, 64, v0
	v_add_co_u32 v1, vcc_lo, 0x100, v1
	v_add_co_ci_u32_e32 v2, vcc_lo, 0, v2, vcc_lo
	s_delay_alu instid0(VALU_DEP_3) | instskip(NEXT) | instid1(VALU_DEP_1)
	v_cmp_lt_i32_e64 s2, s28, v0
	s_or_b32 s20, s2, s20
	s_waitcnt vmcnt(0)
	v_subrev_nc_u32_e32 v4, s17, v4
	ds_store_b32 v3, v4
	v_add_nc_u32_e32 v3, 0x100, v3
	s_and_not1_b32 exec_lo, exec_lo, s20
	s_cbranch_execnz .LBB51_3
.LBB51_4:
	s_or_b32 exec_lo, exec_lo, s3
	s_clause 0x1
	s_load_b32 s31, s[0:1], 0x0
	s_load_b32 s29, s[0:1], 0x8
	v_mov_b32_e32 v0, 0
	v_lshlrev_b32_e32 v2, 3, v11
	s_cmp_ge_i32 s30, s28
	s_delay_alu instid0(VALU_DEP_2) | instskip(NEXT) | instid1(VALU_DEP_2)
	v_mov_b32_e32 v1, v0
	v_mad_u32_u24 v13, 0x48, v12, v2
	s_delay_alu instid0(VALU_DEP_1)
	v_add_nc_u32_e32 v14, 0x6c0, v13
	ds_store_b64 v13, v[0:1] offset:1728
	s_waitcnt lgkmcnt(0)
	buffer_gl0_inv
	s_cbranch_scc1 .LBB51_58
; %bb.5:
	s_movk_i32 s2, 0x480
	v_cmp_gt_i32_e64 s0, s29, v11
	v_cmp_gt_i32_e64 s1, s29, v12
	v_mad_u32_u24 v16, 0x48, v12, s2
	v_or_b32_e32 v1, v11, v12
	s_cmp_eq_u32 s31, 0
	v_mul_lo_u32 v18, v11, s29
	v_mul_lo_u32 v19, v12, s29
	s_cselect_b32 vcc_lo, -1, 0
	s_cmp_lg_u32 s31, 0
	v_dual_cndmask_b32 v2, v11, v12 :: v_dual_add_nc_u32 v17, v16, v2
	s_cselect_b32 s33, -1, 0
	s_and_b32 s34, s0, s1
	v_add_nc_u32_e32 v20, 0x240, v13
	v_cmp_ne_u32_e64 s2, 0, v1
	v_cndmask_b32_e32 v1, v12, v11, vcc_lo
	v_mov_b32_e32 v21, 0
	s_cmp_gt_i32 s29, 0
	s_mul_i32 s36, s29, s29
	s_cselect_b32 s35, -1, 0
	s_mov_b32 s20, s30
	s_branch .LBB51_8
.LBB51_6:                               ;   in Loop: Header=BB51_8 Depth=1
	s_or_b32 exec_lo, exec_lo, s3
	s_add_i32 s20, s20, 1
	s_waitcnt_vscnt null, 0x0
	buffer_gl1_inv
	buffer_gl0_inv
	s_cmp_ge_i32 s20, s28
	s_cselect_b32 s25, -1, 0
.LBB51_7:                               ;   in Loop: Header=BB51_8 Depth=1
	s_delay_alu instid0(SALU_CYCLE_1)
	s_and_b32 vcc_lo, exec_lo, s25
	s_cbranch_vccnz .LBB51_58
.LBB51_8:                               ; =>This Loop Header: Depth=1
                                        ;     Child Loop BB51_13 Depth 2
                                        ;     Child Loop BB51_24 Depth 2
	;; [unrolled: 1-line block ×3, first 2 shown]
                                        ;       Child Loop BB51_55 Depth 3
	s_ashr_i32 s21, s20, 31
	s_delay_alu instid0(SALU_CYCLE_1) | instskip(NEXT) | instid1(SALU_CYCLE_1)
	s_lshl_b64 s[22:23], s[20:21], 2
	s_add_u32 s22, s14, s22
	s_addc_u32 s23, s15, s23
	s_load_b32 s21, s[22:23], 0x0
	s_waitcnt lgkmcnt(0)
	s_sub_i32 s24, s21, s17
	s_delay_alu instid0(SALU_CYCLE_1) | instskip(NEXT) | instid1(SALU_CYCLE_1)
	s_ashr_i32 s25, s24, 31
	s_lshl_b64 s[22:23], s[24:25], 2
	s_mov_b32 s25, -1
	s_add_u32 s26, s4, s22
	s_addc_u32 s27, s5, s23
	s_load_b32 s3, s[26:27], 0x0
	s_waitcnt lgkmcnt(0)
	s_cmp_eq_u32 s3, -1
	s_cbranch_scc1 .LBB51_7
; %bb.9:                                ;   in Loop: Header=BB51_8 Depth=1
	v_mov_b32_e32 v3, 0
	s_add_u32 s26, s12, s22
	s_addc_u32 s27, s13, s23
	s_mov_b32 s25, 0
	s_delay_alu instid0(VALU_DEP_1)
	v_mov_b32_e32 v4, v3
	s_and_saveexec_b32 s37, s34
	s_cbranch_execz .LBB51_11
; %bb.10:                               ;   in Loop: Header=BB51_8 Depth=1
	v_mad_u64_u32 v[3:4], null, s20, s29, v[2:3]
	s_delay_alu instid0(VALU_DEP_1) | instskip(NEXT) | instid1(VALU_DEP_1)
	v_mad_u64_u32 v[4:5], null, v3, s29, v[1:2]
	v_ashrrev_i32_e32 v5, 31, v4
	s_delay_alu instid0(VALU_DEP_1) | instskip(NEXT) | instid1(VALU_DEP_1)
	v_lshlrev_b64 v[3:4], 3, v[4:5]
	v_add_co_u32 v3, vcc_lo, s18, v3
	s_delay_alu instid0(VALU_DEP_2)
	v_add_co_ci_u32_e32 v4, vcc_lo, s19, v4, vcc_lo
	global_load_b64 v[3:4], v[3:4], off
.LBB51_11:                              ;   in Loop: Header=BB51_8 Depth=1
	s_or_b32 exec_lo, exec_lo, s37
	s_load_b32 s26, s[26:27], 0x0
	ds_load_b32 v5, v21 offset:2816
	s_waitcnt vmcnt(0)
	ds_store_b64 v17, v[3:4]
	s_waitcnt lgkmcnt(0)
	s_sub_i32 s26, s26, s17
	v_cmp_ge_i32_e32 vcc_lo, s24, v5
	s_cmp_le_i32 s26, s3
	s_cselect_b32 s27, -1, 0
	s_delay_alu instid0(SALU_CYCLE_1) | instskip(NEXT) | instid1(SALU_CYCLE_1)
	s_and_b32 s27, s27, vcc_lo
	s_and_not1_b32 vcc_lo, exec_lo, s27
	s_cbranch_vccnz .LBB51_23
; %bb.12:                               ;   in Loop: Header=BB51_8 Depth=1
	s_mov_b32 s37, 0
	s_mov_b32 s38, 0
.LBB51_13:                              ;   Parent Loop BB51_8 Depth=1
                                        ; =>  This Inner Loop Header: Depth=2
	s_ashr_i32 s27, s26, 31
                                        ; implicit-def: $sgpr39
	s_delay_alu instid0(SALU_CYCLE_1) | instskip(NEXT) | instid1(SALU_CYCLE_1)
	s_lshl_b64 s[40:41], s[26:27], 2
	s_add_u32 s40, s14, s40
	s_addc_u32 s41, s15, s41
	s_lshl_b32 s25, s38, 2
	s_delay_alu instid0(SALU_CYCLE_1)
	v_mov_b32_e32 v3, s25
	s_load_b32 s25, s[40:41], 0x0
	s_mov_b32 s41, -1
                                        ; implicit-def: $sgpr40
	ds_load_b32 v3, v3 offset:2816
	s_waitcnt lgkmcnt(0)
	s_sub_i32 s42, s25, s17
                                        ; implicit-def: $sgpr25
	s_delay_alu instid0(SALU_CYCLE_1)
	v_cmp_ge_i32_e32 vcc_lo, s42, v3
	v_readfirstlane_b32 s27, v3
	s_cbranch_vccz .LBB51_19
; %bb.14:                               ;   in Loop: Header=BB51_13 Depth=2
	s_delay_alu instid0(VALU_DEP_1)
	s_cmp_le_i32 s42, s27
                                        ; implicit-def: $sgpr25
                                        ; implicit-def: $sgpr40
                                        ; implicit-def: $sgpr39
	s_cbranch_scc0 .LBB51_16
; %bb.15:                               ;   in Loop: Header=BB51_13 Depth=2
	s_add_i32 s25, s38, s30
	s_lshl_b32 s39, s37, 2
	s_mul_i32 s25, s25, s36
	s_delay_alu instid0(SALU_CYCLE_1)
	v_dual_mov_b32 v3, s39 :: v_dual_mov_b32 v4, s25
	s_mul_i32 s39, s26, s36
	s_add_i32 s40, s26, 1
	v_mov_b32_e32 v5, s39
	s_add_i32 s39, s38, 1
	s_add_i32 s25, s37, 1
	s_mov_b32 s41, 0
	ds_store_2addr_stride64_b32 v3, v5, v4 offset0:9 offset1:10
.LBB51_16:                              ;   in Loop: Header=BB51_13 Depth=2
	s_and_not1_b32 vcc_lo, exec_lo, s41
	s_cbranch_vccnz .LBB51_18
; %bb.17:                               ;   in Loop: Header=BB51_13 Depth=2
	s_add_i32 s39, s38, 1
	s_mov_b32 s25, s37
	s_mov_b32 s40, s26
.LBB51_18:                              ;   in Loop: Header=BB51_13 Depth=2
	s_mov_b32 s41, 0
.LBB51_19:                              ;   in Loop: Header=BB51_13 Depth=2
	s_delay_alu instid0(SALU_CYCLE_1)
	s_and_not1_b32 vcc_lo, exec_lo, s41
	s_cbranch_vccnz .LBB51_21
; %bb.20:                               ;   in Loop: Header=BB51_13 Depth=2
	s_add_i32 s40, s26, 1
	s_mov_b32 s39, s38
	s_mov_b32 s25, s37
.LBB51_21:                              ;   in Loop: Header=BB51_13 Depth=2
	s_cmp_le_i32 s40, s3
	s_cselect_b32 s26, -1, 0
	s_cmp_le_i32 s27, s24
	s_cselect_b32 s27, -1, 0
	s_delay_alu instid0(SALU_CYCLE_1) | instskip(NEXT) | instid1(SALU_CYCLE_1)
	s_and_b32 s26, s26, s27
	s_and_b32 vcc_lo, exec_lo, s26
	s_cbranch_vccz .LBB51_23
; %bb.22:                               ;   in Loop: Header=BB51_13 Depth=2
	s_mov_b32 s37, s25
	s_mov_b32 s26, s40
	s_mov_b32 s38, s39
	s_branch .LBB51_13
.LBB51_23:                              ;   in Loop: Header=BB51_8 Depth=1
	s_add_u32 s22, s6, s22
	s_addc_u32 s23, s7, s23
	s_waitcnt lgkmcnt(0)
	buffer_gl0_inv
.LBB51_24:                              ;   Parent Loop BB51_8 Depth=1
                                        ; =>  This Inner Loop Header: Depth=2
	global_load_b32 v3, v21, s[22:23] glc
	s_waitcnt vmcnt(0)
	v_cmp_eq_u32_e32 vcc_lo, 0, v3
	s_cbranch_vccnz .LBB51_24
; %bb.25:                               ;   in Loop: Header=BB51_8 Depth=1
	v_dual_mov_b32 v7, 0 :: v_dual_mov_b32 v4, 0
	v_mov_b32_e32 v3, 0
	buffer_gl1_inv
	buffer_gl0_inv
	s_and_saveexec_b32 s22, s34
	s_cbranch_execz .LBB51_27
; %bb.26:                               ;   in Loop: Header=BB51_8 Depth=1
	v_mad_u64_u32 v[3:4], null, s3, s29, v[2:3]
	s_delay_alu instid0(VALU_DEP_1) | instskip(NEXT) | instid1(VALU_DEP_1)
	v_mad_u64_u32 v[4:5], null, v3, s29, v[1:2]
	v_ashrrev_i32_e32 v5, 31, v4
	s_delay_alu instid0(VALU_DEP_1) | instskip(NEXT) | instid1(VALU_DEP_1)
	v_lshlrev_b64 v[3:4], 3, v[4:5]
	v_add_co_u32 v3, vcc_lo, s18, v3
	s_delay_alu instid0(VALU_DEP_2)
	v_add_co_ci_u32_e32 v4, vcc_lo, s19, v4, vcc_lo
	global_load_b64 v[3:4], v[3:4], off
.LBB51_27:                              ;   in Loop: Header=BB51_8 Depth=1
	s_or_b32 exec_lo, exec_lo, s22
	v_mov_b32_e32 v6, 0
	s_cmp_lt_i32 s25, 2
	s_waitcnt vmcnt(0)
	ds_store_b64 v13, v[3:4]
	s_waitcnt lgkmcnt(0)
	buffer_gl0_inv
	s_cbranch_scc1 .LBB51_46
; %bb.28:                               ;   in Loop: Header=BB51_8 Depth=1
	v_dual_mov_b32 v22, 0 :: v_dual_mov_b32 v23, 0
	s_add_i32 s3, s25, -2
	s_mov_b32 s22, 0
	s_and_not1_b32 vcc_lo, exec_lo, s35
	s_cbranch_vccnz .LBB51_43
.LBB51_29:                              ;   in Loop: Header=BB51_8 Depth=1
	s_lshl_b32 s23, s22, 2
	s_delay_alu instid0(SALU_CYCLE_1)
	v_mov_b32_e32 v3, s23
	s_mov_b32 s23, 0
	ds_load_2addr_stride64_b32 v[4:5], v3 offset0:9 offset1:10
	s_waitcnt lgkmcnt(0)
	v_add_nc_u32_e32 v24, v4, v18
	v_add_nc_u32_e32 v25, v5, v19
	;; [unrolled: 1-line block ×4, first 2 shown]
	s_and_b32 vcc_lo, exec_lo, s33
	s_cbranch_vccz .LBB51_35
.LBB51_30:                              ;   in Loop: Header=BB51_8 Depth=1
	v_dual_mov_b32 v7, 0 :: v_dual_mov_b32 v10, 0
	v_mov_b32_e32 v9, 0
	s_and_saveexec_b32 s24, s0
	s_cbranch_execz .LBB51_32
; %bb.31:                               ;   in Loop: Header=BB51_8 Depth=1
	v_ashrrev_i32_e32 v6, 31, v5
	s_delay_alu instid0(VALU_DEP_1) | instskip(NEXT) | instid1(VALU_DEP_1)
	v_lshlrev_b64 v[8:9], 3, v[5:6]
	v_add_co_u32 v8, vcc_lo, s18, v8
	s_delay_alu instid0(VALU_DEP_2)
	v_add_co_ci_u32_e32 v9, vcc_lo, s19, v9, vcc_lo
	global_load_b64 v[9:10], v[8:9], off
.LBB51_32:                              ;   in Loop: Header=BB51_8 Depth=1
	s_or_b32 exec_lo, exec_lo, s24
	v_mov_b32_e32 v8, 0
	s_mov_b32 s24, 0
	s_and_saveexec_b32 s25, s1
	s_cbranch_execz .LBB51_34
; %bb.33:                               ;   in Loop: Header=BB51_8 Depth=1
	v_ashrrev_i32_e32 v4, 31, v3
	s_delay_alu instid0(VALU_DEP_1) | instskip(NEXT) | instid1(VALU_DEP_1)
	v_lshlrev_b64 v[6:7], 3, v[3:4]
	v_add_co_u32 v6, vcc_lo, s18, v6
	s_delay_alu instid0(VALU_DEP_2)
	v_add_co_ci_u32_e32 v7, vcc_lo, s19, v7, vcc_lo
	global_load_b64 v[7:8], v[6:7], off
.LBB51_34:                              ;   in Loop: Header=BB51_8 Depth=1
	s_or_b32 exec_lo, exec_lo, s25
	s_waitcnt vmcnt(0)
	v_fma_f32 v6, v9, v7, v23
	v_fma_f32 v4, v10, v7, v22
	s_delay_alu instid0(VALU_DEP_2) | instskip(NEXT) | instid1(VALU_DEP_2)
	v_fmac_f32_e32 v6, v10, v8
	v_fma_f32 v7, v9, -v8, v4
	s_and_b32 vcc_lo, exec_lo, s24
	s_cbranch_vccnz .LBB51_36
	s_branch .LBB51_41
.LBB51_35:                              ;   in Loop: Header=BB51_8 Depth=1
                                        ; implicit-def: $vgpr7
	s_cbranch_execz .LBB51_41
.LBB51_36:                              ;   in Loop: Header=BB51_8 Depth=1
	v_dual_mov_b32 v6, 0 :: v_dual_mov_b32 v9, 0
	v_mov_b32_e32 v8, 0
	s_and_saveexec_b32 s24, s0
	s_cbranch_execz .LBB51_38
; %bb.37:                               ;   in Loop: Header=BB51_8 Depth=1
	v_add_nc_u32_e32 v7, s23, v24
	s_delay_alu instid0(VALU_DEP_1) | instskip(NEXT) | instid1(VALU_DEP_1)
	v_ashrrev_i32_e32 v8, 31, v7
	v_lshlrev_b64 v[7:8], 3, v[7:8]
	s_delay_alu instid0(VALU_DEP_1) | instskip(NEXT) | instid1(VALU_DEP_2)
	v_add_co_u32 v7, vcc_lo, s18, v7
	v_add_co_ci_u32_e32 v8, vcc_lo, s19, v8, vcc_lo
	global_load_b64 v[8:9], v[7:8], off
.LBB51_38:                              ;   in Loop: Header=BB51_8 Depth=1
	s_or_b32 exec_lo, exec_lo, s24
	v_mov_b32_e32 v7, 0
	s_and_saveexec_b32 s24, s1
	s_cbranch_execz .LBB51_40
; %bb.39:                               ;   in Loop: Header=BB51_8 Depth=1
	v_add_nc_u32_e32 v6, s23, v25
	s_delay_alu instid0(VALU_DEP_1) | instskip(NEXT) | instid1(VALU_DEP_1)
	v_ashrrev_i32_e32 v7, 31, v6
	v_lshlrev_b64 v[6:7], 3, v[6:7]
	s_delay_alu instid0(VALU_DEP_1) | instskip(NEXT) | instid1(VALU_DEP_2)
	v_add_co_u32 v6, vcc_lo, s18, v6
	v_add_co_ci_u32_e32 v7, vcc_lo, s19, v7, vcc_lo
	global_load_b64 v[6:7], v[6:7], off
.LBB51_40:                              ;   in Loop: Header=BB51_8 Depth=1
	s_or_b32 exec_lo, exec_lo, s24
	s_waitcnt vmcnt(0)
	v_fmac_f32_e32 v23, v8, v6
	v_fmac_f32_e32 v22, v9, v6
	s_delay_alu instid0(VALU_DEP_2) | instskip(NEXT) | instid1(VALU_DEP_2)
	v_fmac_f32_e32 v23, v9, v7
	v_fma_f32 v7, v8, -v7, v22
	s_delay_alu instid0(VALU_DEP_2)
	v_mov_b32_e32 v6, v23
.LBB51_41:                              ;   in Loop: Header=BB51_8 Depth=1
	v_add_nc_u32_e32 v3, s29, v3
	v_add_nc_u32_e32 v5, s29, v5
	s_add_i32 s23, s23, 1
	s_delay_alu instid0(SALU_CYCLE_1)
	s_cmp_eq_u32 s29, s23
	s_cbranch_scc1 .LBB51_44
; %bb.42:                               ;   in Loop: Header=BB51_8 Depth=1
	v_dual_mov_b32 v22, v7 :: v_dual_mov_b32 v23, v6
	s_and_b32 vcc_lo, exec_lo, s33
	s_cbranch_vccz .LBB51_35
	s_branch .LBB51_30
.LBB51_43:                              ;   in Loop: Header=BB51_8 Depth=1
	v_dual_mov_b32 v7, v22 :: v_dual_mov_b32 v6, v23
.LBB51_44:                              ;   in Loop: Header=BB51_8 Depth=1
	s_add_i32 s23, s22, 1
	s_cmp_eq_u32 s22, s3
	s_cbranch_scc1 .LBB51_46
; %bb.45:                               ;   in Loop: Header=BB51_8 Depth=1
	s_delay_alu instid0(VALU_DEP_1)
	v_dual_mov_b32 v22, v7 :: v_dual_mov_b32 v23, v6
	s_mov_b32 s22, s23
	s_and_not1_b32 vcc_lo, exec_lo, s35
	s_cbranch_vccz .LBB51_29
	s_branch .LBB51_43
.LBB51_46:                              ;   in Loop: Header=BB51_8 Depth=1
	s_and_not1_b32 vcc_lo, exec_lo, s35
	ds_store_b64 v20, v[6:7]
	s_waitcnt lgkmcnt(0)
	buffer_gl0_inv
	s_cbranch_vccnz .LBB51_56
; %bb.47:                               ;   in Loop: Header=BB51_8 Depth=1
	s_mov_b32 s22, 0
	s_mov_b32 s23, 0
	s_branch .LBB51_49
.LBB51_48:                              ;   in Loop: Header=BB51_49 Depth=2
	v_dual_mul_f32 v10, v8, v8 :: v_dual_add_nc_u32 v9, 0x480, v9
	s_waitcnt lgkmcnt(0)
	v_dual_sub_f32 v4, v4, v6 :: v_dual_sub_f32 v3, v3, v5
	s_addk_i32 s22, 0x48
	s_delay_alu instid0(VALU_DEP_1) | instskip(NEXT) | instid1(VALU_DEP_2)
	v_dual_fmac_f32 v10, v7, v7 :: v_dual_mul_f32 v5, v8, v4
	v_mul_f32_e64 v8, v8, -v3
	s_delay_alu instid0(VALU_DEP_2) | instskip(SKIP_1) | instid1(VALU_DEP_3)
	v_div_scale_f32 v22, null, v10, v10, 1.0
	v_div_scale_f32 v25, vcc_lo, 1.0, v10, 1.0
	v_fmac_f32_e32 v8, v4, v7
	s_delay_alu instid0(VALU_DEP_3) | instskip(SKIP_4) | instid1(VALU_DEP_1)
	v_rcp_f32_e32 v23, v22
	v_fmac_f32_e32 v5, v3, v7
	v_mul_u32_u24_e32 v7, 0x48, v11
	s_waitcnt_depctr 0xfff
	v_fma_f32 v24, -v22, v23, 1.0
	v_fmac_f32_e32 v23, v24, v23
	s_delay_alu instid0(VALU_DEP_1) | instskip(NEXT) | instid1(VALU_DEP_1)
	v_mul_f32_e32 v24, v25, v23
	v_fma_f32 v26, -v22, v24, v25
	s_delay_alu instid0(VALU_DEP_1) | instskip(NEXT) | instid1(VALU_DEP_1)
	v_fmac_f32_e32 v24, v26, v23
	v_fma_f32 v6, -v22, v24, v25
	s_delay_alu instid0(VALU_DEP_1) | instskip(NEXT) | instid1(VALU_DEP_1)
	v_div_fmas_f32 v6, v6, v23, v24
	v_div_fixup_f32 v6, v6, v10, 1.0
	s_delay_alu instid0(VALU_DEP_1) | instskip(SKIP_3) | instid1(SALU_CYCLE_1)
	v_mul_f32_e32 v3, v6, v5
	v_mul_f32_e32 v4, v6, v8
	v_lshl_add_u32 v5, s23, 3, v7
	s_add_i32 s23, s23, 1
	s_cmp_eq_u32 s23, s29
	ds_store_b64 v9, v[3:4]
	s_waitcnt lgkmcnt(0)
	s_waitcnt_vscnt null, 0x0
	buffer_gl0_inv
	ds_load_b64 v[5:6], v5 offset:1152
	ds_load_b64 v[7:8], v14
	s_waitcnt lgkmcnt(0)
	v_fma_f32 v7, v3, v5, v7
	v_fmac_f32_e32 v8, v4, v5
	s_delay_alu instid0(VALU_DEP_2) | instskip(NEXT) | instid1(VALU_DEP_2)
	v_fmac_f32_e32 v7, v4, v6
	v_fma_f32 v8, v3, -v6, v8
	ds_store_b64 v14, v[7:8]
	s_waitcnt lgkmcnt(0)
	buffer_gl0_inv
	s_cbranch_scc1 .LBB51_56
.LBB51_49:                              ;   Parent Loop BB51_8 Depth=1
                                        ; =>  This Loop Header: Depth=2
                                        ;       Child Loop BB51_55 Depth 3
	s_lshl_b32 s3, s23, 3
	s_mul_i32 s24, s23, 0x48
	v_mad_u32_u24 v9, 0x48, v12, s3
	s_add_i32 s24, s3, s24
	s_delay_alu instid0(SALU_CYCLE_1)
	v_mov_b32_e32 v3, s24
	ds_load_b64 v[5:6], v3
	ds_load_b64 v[3:4], v9 offset:1152
	s_waitcnt lgkmcnt(1)
	v_cmp_neq_f32_e32 vcc_lo, 0, v5
	v_cmp_neq_f32_e64 s3, 0, v6
	s_delay_alu instid0(VALU_DEP_1) | instskip(SKIP_2) | instid1(SALU_CYCLE_1)
	s_or_b32 vcc_lo, vcc_lo, s3
	v_dual_cndmask_b32 v8, 0, v6 :: v_dual_cndmask_b32 v7, 1.0, v5
	s_or_b32 s3, vcc_lo, s2
	s_xor_b32 s24, s3, -1
	s_delay_alu instid0(SALU_CYCLE_1)
	s_and_saveexec_b32 s3, s24
	s_cbranch_execz .LBB51_53
; %bb.50:                               ;   in Loop: Header=BB51_49 Depth=2
	v_mbcnt_lo_u32_b32 v5, exec_lo, 0
	s_mov_b32 s24, exec_lo
	s_delay_alu instid0(VALU_DEP_1)
	v_cmpx_eq_u32_e32 0, v5
	s_cbranch_execz .LBB51_52
; %bb.51:                               ;   in Loop: Header=BB51_49 Depth=2
	v_mov_b32_e32 v5, s21
	global_atomic_min_i32 v21, v5, s[10:11]
.LBB51_52:                              ;   in Loop: Header=BB51_49 Depth=2
	s_or_b32 exec_lo, exec_lo, s24
	v_dual_mov_b32 v8, 0 :: v_dual_mov_b32 v7, 1.0
.LBB51_53:                              ;   in Loop: Header=BB51_49 Depth=2
	s_or_b32 exec_lo, exec_lo, s3
	v_mul_u32_u24_e32 v5, 0x48, v12
	s_cmp_eq_u32 s23, 0
	s_delay_alu instid0(VALU_DEP_1)
	v_lshl_add_u32 v5, s23, 3, v5
	ds_load_b64 v[5:6], v5 offset:576
	s_cbranch_scc1 .LBB51_48
; %bb.54:                               ;   in Loop: Header=BB51_49 Depth=2
	v_mov_b32_e32 v10, v16
	s_mov_b32 s3, 0
	s_mov_b32 s24, s22
.LBB51_55:                              ;   Parent Loop BB51_8 Depth=1
                                        ;     Parent Loop BB51_49 Depth=2
                                        ; =>    This Inner Loop Header: Depth=3
	s_delay_alu instid0(SALU_CYCLE_1)
	v_mov_b32_e32 v24, s24
	s_add_i32 s3, s3, 1
	s_add_i32 s24, s24, 8
	s_cmp_ge_u32 s3, s23
	ds_load_b64 v[22:23], v10
	ds_load_b64 v[24:25], v24
	v_add_nc_u32_e32 v10, 8, v10
	s_waitcnt lgkmcnt(0)
	v_fmac_f32_e32 v5, v24, v22
	v_fmac_f32_e32 v6, v25, v22
	s_delay_alu instid0(VALU_DEP_2) | instskip(NEXT) | instid1(VALU_DEP_2)
	v_fmac_f32_e32 v5, v25, v23
	v_fma_f32 v6, v24, -v23, v6
	s_cbranch_scc0 .LBB51_55
	s_branch .LBB51_48
.LBB51_56:                              ;   in Loop: Header=BB51_8 Depth=1
	s_and_saveexec_b32 s3, s34
	s_cbranch_execz .LBB51_6
; %bb.57:                               ;   in Loop: Header=BB51_8 Depth=1
	v_mad_u64_u32 v[3:4], null, s20, s29, v[2:3]
	ds_load_b64 v[6:7], v17
	v_mad_u64_u32 v[4:5], null, v3, s29, v[1:2]
	s_delay_alu instid0(VALU_DEP_1) | instskip(NEXT) | instid1(VALU_DEP_1)
	v_ashrrev_i32_e32 v5, 31, v4
	v_lshlrev_b64 v[3:4], 3, v[4:5]
	s_delay_alu instid0(VALU_DEP_1) | instskip(NEXT) | instid1(VALU_DEP_2)
	v_add_co_u32 v3, vcc_lo, s18, v3
	v_add_co_ci_u32_e32 v4, vcc_lo, s19, v4, vcc_lo
	s_waitcnt lgkmcnt(0)
	global_store_b64 v[3:4], v[6:7], off
	s_branch .LBB51_6
.LBB51_58:
	v_max_i32_e32 v1, v11, v12
	s_cmp_eq_u32 s31, 0
	s_cselect_b32 vcc_lo, -1, 0
	v_dual_cndmask_b32 v2, v12, v11 :: v_dual_cndmask_b32 v3, v11, v12
	s_delay_alu instid0(VALU_DEP_2) | instskip(SKIP_1) | instid1(VALU_DEP_2)
	v_cmp_gt_i32_e64 s0, s29, v1
	v_mov_b32_e32 v1, 0
	s_and_saveexec_b32 s1, s0
	s_cbranch_execz .LBB51_60
; %bb.59:
	v_mad_u64_u32 v[0:1], null, s28, s29, v[3:4]
	s_delay_alu instid0(VALU_DEP_1) | instskip(NEXT) | instid1(VALU_DEP_1)
	v_mad_u64_u32 v[4:5], null, v0, s29, v[2:3]
	v_ashrrev_i32_e32 v5, 31, v4
	s_delay_alu instid0(VALU_DEP_1) | instskip(NEXT) | instid1(VALU_DEP_1)
	v_lshlrev_b64 v[0:1], 3, v[4:5]
	v_add_co_u32 v0, vcc_lo, s18, v0
	s_delay_alu instid0(VALU_DEP_2)
	v_add_co_ci_u32_e32 v1, vcc_lo, s19, v1, vcc_lo
	global_load_b64 v[0:1], v[0:1], off
.LBB51_60:
	s_or_b32 exec_lo, exec_lo, s1
	s_movk_i32 s3, 0x480
	s_cmp_lt_i32 s29, 1
	s_waitcnt vmcnt(0)
	ds_store_b64 v13, v[0:1] offset:1152
	s_waitcnt lgkmcnt(0)
	buffer_gl0_inv
	s_cbranch_scc1 .LBB51_77
; %bb.61:
	v_or_b32_e32 v0, v11, v12
	v_mad_u32_u24 v4, 0x48, v12, s3
	v_mul_u32_u24_e32 v1, 0x48, v12
	v_mad_u32_u24 v7, 0x48, v11, s3
	s_mov_b32 s4, 0
	v_cmp_ne_u32_e64 s1, 0, v0
	v_add_nc_u32_e32 v5, v4, v15
	v_add3_u32 v6, v1, v15, 0x6c0
	v_mov_b32_e32 v1, 0
	s_add_i32 s5, s16, s17
	s_branch .LBB51_63
.LBB51_62:                              ;   in Loop: Header=BB51_63 Depth=1
	s_or_b32 exec_lo, exec_lo, s2
	v_add_nc_u32_e32 v4, 8, v4
	v_add_nc_u32_e32 v7, 8, v7
	s_add_i32 s4, s4, 1
	s_addk_i32 s3, 0x50
	s_cmp_eq_u32 s29, s4
	s_waitcnt lgkmcnt(0)
	s_waitcnt_vscnt null, 0x0
	buffer_gl0_inv
	s_cbranch_scc1 .LBB51_77
.LBB51_63:                              ; =>This Inner Loop Header: Depth=1
	s_mov_b32 s12, exec_lo
	v_cmpx_eq_u32_e64 s4, v12
	s_cbranch_execz .LBB51_71
; %bb.64:                               ;   in Loop: Header=BB51_63 Depth=1
	ds_load_b64 v[8:9], v5
	ds_load_b64 v[15:16], v6
	s_mov_b32 s2, exec_lo
	s_waitcnt lgkmcnt(0)
	v_sub_f32_e32 v0, v8, v15
	v_sub_f32_e32 v10, v9, v16
                                        ; implicit-def: $vgpr9
	s_delay_alu instid0(VALU_DEP_2) | instskip(SKIP_1) | instid1(VALU_DEP_3)
	v_cmp_gt_f32_e32 vcc_lo, 0, v0
	v_cndmask_b32_e64 v0, v0, -v0, vcc_lo
	v_cmp_gt_f32_e32 vcc_lo, 0, v10
	v_cndmask_b32_e64 v8, v10, -v10, vcc_lo
	s_delay_alu instid0(VALU_DEP_1)
	v_cmpx_ngt_f32_e32 v0, v8
	s_xor_b32 s13, exec_lo, s2
	s_cbranch_execz .LBB51_68
; %bb.65:                               ;   in Loop: Header=BB51_63 Depth=1
	v_mov_b32_e32 v9, 0
	s_mov_b32 s14, exec_lo
	v_cmpx_neq_f32_e32 0, v10
	s_cbranch_execz .LBB51_67
; %bb.66:                               ;   in Loop: Header=BB51_63 Depth=1
	v_div_scale_f32 v9, null, v8, v8, v0
	v_div_scale_f32 v16, vcc_lo, v0, v8, v0
	s_delay_alu instid0(VALU_DEP_2) | instskip(SKIP_2) | instid1(VALU_DEP_1)
	v_rcp_f32_e32 v10, v9
	s_waitcnt_depctr 0xfff
	v_fma_f32 v15, -v9, v10, 1.0
	v_fmac_f32_e32 v10, v15, v10
	s_delay_alu instid0(VALU_DEP_1) | instskip(NEXT) | instid1(VALU_DEP_1)
	v_mul_f32_e32 v15, v16, v10
	v_fma_f32 v17, -v9, v15, v16
	s_delay_alu instid0(VALU_DEP_1) | instskip(NEXT) | instid1(VALU_DEP_1)
	v_fmac_f32_e32 v15, v17, v10
	v_fma_f32 v9, -v9, v15, v16
	s_delay_alu instid0(VALU_DEP_1) | instskip(NEXT) | instid1(VALU_DEP_1)
	v_div_fmas_f32 v9, v9, v10, v15
	v_div_fixup_f32 v0, v9, v8, v0
	s_delay_alu instid0(VALU_DEP_1) | instskip(NEXT) | instid1(VALU_DEP_1)
	v_fma_f32 v0, v0, v0, 1.0
	v_mul_f32_e32 v9, 0x4f800000, v0
	v_cmp_gt_f32_e32 vcc_lo, 0xf800000, v0
	s_delay_alu instid0(VALU_DEP_2) | instskip(NEXT) | instid1(VALU_DEP_1)
	v_cndmask_b32_e32 v0, v0, v9, vcc_lo
	v_sqrt_f32_e32 v9, v0
	s_waitcnt_depctr 0xfff
	v_add_nc_u32_e32 v10, -1, v9
	v_add_nc_u32_e32 v15, 1, v9
	s_delay_alu instid0(VALU_DEP_2) | instskip(NEXT) | instid1(VALU_DEP_2)
	v_fma_f32 v16, -v10, v9, v0
	v_fma_f32 v17, -v15, v9, v0
	s_delay_alu instid0(VALU_DEP_2) | instskip(NEXT) | instid1(VALU_DEP_1)
	v_cmp_ge_f32_e64 s2, 0, v16
	v_cndmask_b32_e64 v9, v9, v10, s2
	s_delay_alu instid0(VALU_DEP_3) | instskip(NEXT) | instid1(VALU_DEP_1)
	v_cmp_lt_f32_e64 s2, 0, v17
	v_cndmask_b32_e64 v9, v9, v15, s2
	s_delay_alu instid0(VALU_DEP_1) | instskip(NEXT) | instid1(VALU_DEP_1)
	v_mul_f32_e32 v10, 0x37800000, v9
	v_cndmask_b32_e32 v9, v9, v10, vcc_lo
	v_cmp_class_f32_e64 vcc_lo, v0, 0x260
	s_delay_alu instid0(VALU_DEP_2) | instskip(NEXT) | instid1(VALU_DEP_1)
	v_cndmask_b32_e32 v0, v9, v0, vcc_lo
	v_mul_f32_e32 v9, v8, v0
.LBB51_67:                              ;   in Loop: Header=BB51_63 Depth=1
	s_or_b32 exec_lo, exec_lo, s14
                                        ; implicit-def: $vgpr0
                                        ; implicit-def: $vgpr8
.LBB51_68:                              ;   in Loop: Header=BB51_63 Depth=1
	s_and_not1_saveexec_b32 s13, s13
	s_cbranch_execz .LBB51_70
; %bb.69:                               ;   in Loop: Header=BB51_63 Depth=1
	v_div_scale_f32 v9, null, v0, v0, v8
	v_div_scale_f32 v16, vcc_lo, v8, v0, v8
	s_delay_alu instid0(VALU_DEP_2) | instskip(SKIP_2) | instid1(VALU_DEP_1)
	v_rcp_f32_e32 v10, v9
	s_waitcnt_depctr 0xfff
	v_fma_f32 v15, -v9, v10, 1.0
	v_fmac_f32_e32 v10, v15, v10
	s_delay_alu instid0(VALU_DEP_1) | instskip(NEXT) | instid1(VALU_DEP_1)
	v_mul_f32_e32 v15, v16, v10
	v_fma_f32 v17, -v9, v15, v16
	s_delay_alu instid0(VALU_DEP_1) | instskip(NEXT) | instid1(VALU_DEP_1)
	v_fmac_f32_e32 v15, v17, v10
	v_fma_f32 v9, -v9, v15, v16
	s_delay_alu instid0(VALU_DEP_1) | instskip(NEXT) | instid1(VALU_DEP_1)
	v_div_fmas_f32 v9, v9, v10, v15
	v_div_fixup_f32 v8, v9, v0, v8
	s_delay_alu instid0(VALU_DEP_1) | instskip(NEXT) | instid1(VALU_DEP_1)
	v_fma_f32 v8, v8, v8, 1.0
	v_mul_f32_e32 v9, 0x4f800000, v8
	v_cmp_gt_f32_e32 vcc_lo, 0xf800000, v8
	s_delay_alu instid0(VALU_DEP_2) | instskip(NEXT) | instid1(VALU_DEP_1)
	v_cndmask_b32_e32 v8, v8, v9, vcc_lo
	v_sqrt_f32_e32 v9, v8
	s_waitcnt_depctr 0xfff
	v_add_nc_u32_e32 v10, -1, v9
	v_add_nc_u32_e32 v15, 1, v9
	s_delay_alu instid0(VALU_DEP_2) | instskip(NEXT) | instid1(VALU_DEP_2)
	v_fma_f32 v16, -v10, v9, v8
	v_fma_f32 v17, -v15, v9, v8
	s_delay_alu instid0(VALU_DEP_2) | instskip(NEXT) | instid1(VALU_DEP_1)
	v_cmp_ge_f32_e64 s2, 0, v16
	v_cndmask_b32_e64 v9, v9, v10, s2
	s_delay_alu instid0(VALU_DEP_3) | instskip(NEXT) | instid1(VALU_DEP_1)
	v_cmp_lt_f32_e64 s2, 0, v17
	v_cndmask_b32_e64 v9, v9, v15, s2
	s_delay_alu instid0(VALU_DEP_1) | instskip(NEXT) | instid1(VALU_DEP_1)
	v_mul_f32_e32 v10, 0x37800000, v9
	v_cndmask_b32_e32 v9, v9, v10, vcc_lo
	v_cmp_class_f32_e64 vcc_lo, v8, 0x260
	s_delay_alu instid0(VALU_DEP_2) | instskip(NEXT) | instid1(VALU_DEP_1)
	v_cndmask_b32_e32 v8, v9, v8, vcc_lo
	v_mul_f32_e32 v9, v0, v8
.LBB51_70:                              ;   in Loop: Header=BB51_63 Depth=1
	s_or_b32 exec_lo, exec_lo, s13
	s_delay_alu instid0(VALU_DEP_1) | instskip(SKIP_1) | instid1(VALU_DEP_2)
	v_mul_f32_e32 v0, 0x4f800000, v9
	v_cmp_gt_f32_e32 vcc_lo, 0xf800000, v9
	v_cndmask_b32_e32 v0, v9, v0, vcc_lo
	s_delay_alu instid0(VALU_DEP_1) | instskip(SKIP_3) | instid1(VALU_DEP_2)
	v_sqrt_f32_e32 v8, v0
	s_waitcnt_depctr 0xfff
	v_add_nc_u32_e32 v9, -1, v8
	v_add_nc_u32_e32 v10, 1, v8
	v_fma_f32 v15, -v9, v8, v0
	s_delay_alu instid0(VALU_DEP_2) | instskip(NEXT) | instid1(VALU_DEP_2)
	v_fma_f32 v16, -v10, v8, v0
	v_cmp_ge_f32_e64 s2, 0, v15
	s_delay_alu instid0(VALU_DEP_1) | instskip(NEXT) | instid1(VALU_DEP_3)
	v_cndmask_b32_e64 v8, v8, v9, s2
	v_cmp_lt_f32_e64 s2, 0, v16
	s_delay_alu instid0(VALU_DEP_1) | instskip(NEXT) | instid1(VALU_DEP_1)
	v_cndmask_b32_e64 v8, v8, v10, s2
	v_mul_f32_e32 v9, 0x37800000, v8
	s_delay_alu instid0(VALU_DEP_1) | instskip(SKIP_1) | instid1(VALU_DEP_2)
	v_cndmask_b32_e32 v8, v8, v9, vcc_lo
	v_cmp_class_f32_e64 vcc_lo, v0, 0x260
	v_cndmask_b32_e32 v0, v8, v0, vcc_lo
	ds_store_b64 v5, v[0:1]
.LBB51_71:                              ;   in Loop: Header=BB51_63 Depth=1
	s_or_b32 exec_lo, exec_lo, s12
	v_mov_b32_e32 v0, s3
	s_waitcnt lgkmcnt(0)
	buffer_gl0_inv
	ds_load_b64 v[9:10], v0
	s_waitcnt lgkmcnt(0)
	v_cmp_neq_f32_e32 vcc_lo, 0, v9
	v_cmp_neq_f32_e64 s2, 0, v10
	s_delay_alu instid0(VALU_DEP_1) | instskip(SKIP_3) | instid1(SALU_CYCLE_1)
	s_or_b32 vcc_lo, vcc_lo, s2
	v_cndmask_b32_e32 v8, 0, v10, vcc_lo
	v_cndmask_b32_e32 v0, 1.0, v9, vcc_lo
	s_or_b32 s2, vcc_lo, s1
	s_xor_b32 s12, s2, -1
	s_delay_alu instid0(SALU_CYCLE_1)
	s_and_saveexec_b32 s2, s12
	s_cbranch_execz .LBB51_75
; %bb.72:                               ;   in Loop: Header=BB51_63 Depth=1
	v_mbcnt_lo_u32_b32 v0, exec_lo, 0
	s_mov_b32 s12, exec_lo
	s_delay_alu instid0(VALU_DEP_1)
	v_cmpx_eq_u32_e32 0, v0
	s_cbranch_execz .LBB51_74
; %bb.73:                               ;   in Loop: Header=BB51_63 Depth=1
	v_mov_b32_e32 v0, s5
	global_atomic_min_i32 v1, v0, s[10:11]
.LBB51_74:                              ;   in Loop: Header=BB51_63 Depth=1
	s_or_b32 exec_lo, exec_lo, s12
	v_mov_b32_e32 v8, 0
	v_mov_b32_e32 v0, 1.0
.LBB51_75:                              ;   in Loop: Header=BB51_63 Depth=1
	s_or_b32 exec_lo, exec_lo, s2
	s_delay_alu instid0(SALU_CYCLE_1)
	s_mov_b32 s2, exec_lo
	v_cmpx_lt_u32_e64 s4, v12
	s_cbranch_execz .LBB51_62
; %bb.76:                               ;   in Loop: Header=BB51_63 Depth=1
	v_mul_f32_e32 v9, v8, v8
	ds_load_2addr_b64 v[15:18], v4 offset1:72
	v_fmac_f32_e32 v9, v0, v0
	s_delay_alu instid0(VALU_DEP_1) | instskip(SKIP_1) | instid1(VALU_DEP_2)
	v_div_scale_f32 v10, null, v9, v9, 1.0
	v_div_scale_f32 v21, vcc_lo, 1.0, v9, 1.0
	v_rcp_f32_e32 v19, v10
	s_waitcnt lgkmcnt(0)
	v_dual_sub_f32 v16, v16, v18 :: v_dual_sub_f32 v15, v15, v17
	s_waitcnt_depctr 0xfff
	v_fma_f32 v20, -v10, v19, 1.0
	v_mul_f32_e32 v17, v8, v16
	v_mul_f32_e64 v18, v8, -v15
	s_delay_alu instid0(VALU_DEP_2) | instskip(NEXT) | instid1(VALU_DEP_4)
	v_fmac_f32_e32 v17, v15, v0
	v_fmac_f32_e32 v19, v20, v19
	s_delay_alu instid0(VALU_DEP_3) | instskip(NEXT) | instid1(VALU_DEP_2)
	v_fmac_f32_e32 v18, v16, v0
	v_mul_f32_e32 v20, v21, v19
	s_delay_alu instid0(VALU_DEP_1) | instskip(NEXT) | instid1(VALU_DEP_1)
	v_fma_f32 v22, -v10, v20, v21
	v_fmac_f32_e32 v20, v22, v19
	s_delay_alu instid0(VALU_DEP_1) | instskip(NEXT) | instid1(VALU_DEP_1)
	v_fma_f32 v10, -v10, v20, v21
	v_div_fmas_f32 v10, v10, v19, v20
	s_delay_alu instid0(VALU_DEP_1) | instskip(NEXT) | instid1(VALU_DEP_1)
	v_div_fixup_f32 v9, v10, v9, 1.0
	v_mul_f32_e32 v8, v9, v17
	v_mul_f32_e32 v9, v9, v18
	ds_store_b64 v4, v[8:9]
	s_waitcnt lgkmcnt(0)
	s_waitcnt_vscnt null, 0x0
	buffer_gl0_inv
	ds_load_b64 v[15:16], v7
	ds_load_b64 v[17:18], v14
	s_waitcnt lgkmcnt(0)
	v_fma_f32 v17, v8, v15, v17
	v_fmac_f32_e32 v18, v9, v15
	s_delay_alu instid0(VALU_DEP_2) | instskip(NEXT) | instid1(VALU_DEP_2)
	v_fmac_f32_e32 v17, v9, v16
	v_fma_f32 v18, v8, -v16, v18
	ds_store_b64 v14, v[17:18]
	s_branch .LBB51_62
.LBB51_77:
	s_and_saveexec_b32 s1, s0
	s_cbranch_execz .LBB51_79
; %bb.78:
	v_mad_u64_u32 v[0:1], null, s28, s29, v[3:4]
	s_delay_alu instid0(VALU_DEP_1) | instskip(SKIP_3) | instid1(VALU_DEP_1)
	v_mad_u64_u32 v[3:4], null, v0, s29, v[2:3]
	v_add_nc_u32_e32 v0, 0x480, v13
	ds_load_b64 v[0:1], v0
	v_ashrrev_i32_e32 v4, 31, v3
	v_lshlrev_b64 v[2:3], 3, v[3:4]
	s_delay_alu instid0(VALU_DEP_1) | instskip(NEXT) | instid1(VALU_DEP_2)
	v_add_co_u32 v2, vcc_lo, s18, v2
	v_add_co_ci_u32_e32 v3, vcc_lo, s19, v3, vcc_lo
	s_waitcnt lgkmcnt(0)
	global_store_b64 v[2:3], v[0:1], off
.LBB51_79:
	s_or_b32 exec_lo, exec_lo, s1
	v_or_b32_e32 v0, v11, v12
	s_delay_alu instid0(VALU_DEP_1)
	v_cmp_eq_u32_e64 s3, 0, v0
.LBB51_80:
	s_delay_alu instid0(VALU_DEP_1)
	s_and_saveexec_b32 s0, s3
	s_cbranch_execnz .LBB51_88
.LBB51_81:
	s_nop 0
	s_sendmsg sendmsg(MSG_DEALLOC_VGPRS)
	s_endpgm
.LBB51_82:
	s_cbranch_execz .LBB51_80
; %bb.83:
	v_or_b32_e32 v0, v11, v12
	s_mov_b32 s0, exec_lo
	s_delay_alu instid0(VALU_DEP_1)
	v_cmpx_eq_u32_e32 0, v0
	s_cbranch_execz .LBB51_87
; %bb.84:
	v_mbcnt_lo_u32_b32 v0, exec_lo, 0
	s_mov_b32 s1, exec_lo
	s_delay_alu instid0(VALU_DEP_1)
	v_cmpx_eq_u32_e32 0, v0
	s_cbranch_execz .LBB51_86
; %bb.85:
	s_add_i32 s2, s16, s17
	s_delay_alu instid0(SALU_CYCLE_1)
	v_dual_mov_b32 v0, 0 :: v_dual_mov_b32 v1, s2
	global_atomic_min_i32 v0, v1, s[10:11]
.LBB51_86:
	s_or_b32 exec_lo, exec_lo, s1
	s_delay_alu instid0(SALU_CYCLE_1)
	s_or_b32 s3, s3, exec_lo
.LBB51_87:
	s_or_b32 exec_lo, exec_lo, s0
	s_and_saveexec_b32 s0, s3
	s_cbranch_execz .LBB51_81
.LBB51_88:
	v_dual_mov_b32 v0, 0 :: v_dual_mov_b32 v1, 1
	s_add_u32 s0, s6, s8
	s_addc_u32 s1, s7, s9
	s_waitcnt_vscnt null, 0x0
	global_store_b32 v0, v1, s[0:1]
	s_nop 0
	s_sendmsg sendmsg(MSG_DEALLOC_VGPRS)
	s_endpgm
	.section	.rodata,"a",@progbits
	.p2align	6, 0x0
	.amdhsa_kernel _ZN9rocsparseL17bsric0_2_8_kernelILi64ELi64ELi8E21rocsparse_complex_numIfEEEv20rocsparse_direction_iiPKiS5_PT2_S5_PiS5_S8_21rocsparse_index_base_
		.amdhsa_group_segment_fixed_size 3072
		.amdhsa_private_segment_fixed_size 0
		.amdhsa_kernarg_size 76
		.amdhsa_user_sgpr_count 15
		.amdhsa_user_sgpr_dispatch_ptr 0
		.amdhsa_user_sgpr_queue_ptr 0
		.amdhsa_user_sgpr_kernarg_segment_ptr 1
		.amdhsa_user_sgpr_dispatch_id 0
		.amdhsa_user_sgpr_private_segment_size 0
		.amdhsa_wavefront_size32 1
		.amdhsa_uses_dynamic_stack 0
		.amdhsa_enable_private_segment 0
		.amdhsa_system_sgpr_workgroup_id_x 1
		.amdhsa_system_sgpr_workgroup_id_y 0
		.amdhsa_system_sgpr_workgroup_id_z 0
		.amdhsa_system_sgpr_workgroup_info 0
		.amdhsa_system_vgpr_workitem_id 1
		.amdhsa_next_free_vgpr 27
		.amdhsa_next_free_sgpr 43
		.amdhsa_reserve_vcc 1
		.amdhsa_float_round_mode_32 0
		.amdhsa_float_round_mode_16_64 0
		.amdhsa_float_denorm_mode_32 3
		.amdhsa_float_denorm_mode_16_64 3
		.amdhsa_dx10_clamp 1
		.amdhsa_ieee_mode 1
		.amdhsa_fp16_overflow 0
		.amdhsa_workgroup_processor_mode 1
		.amdhsa_memory_ordered 1
		.amdhsa_forward_progress 0
		.amdhsa_shared_vgpr_count 0
		.amdhsa_exception_fp_ieee_invalid_op 0
		.amdhsa_exception_fp_denorm_src 0
		.amdhsa_exception_fp_ieee_div_zero 0
		.amdhsa_exception_fp_ieee_overflow 0
		.amdhsa_exception_fp_ieee_underflow 0
		.amdhsa_exception_fp_ieee_inexact 0
		.amdhsa_exception_int_div_zero 0
	.end_amdhsa_kernel
	.section	.text._ZN9rocsparseL17bsric0_2_8_kernelILi64ELi64ELi8E21rocsparse_complex_numIfEEEv20rocsparse_direction_iiPKiS5_PT2_S5_PiS5_S8_21rocsparse_index_base_,"axG",@progbits,_ZN9rocsparseL17bsric0_2_8_kernelILi64ELi64ELi8E21rocsparse_complex_numIfEEEv20rocsparse_direction_iiPKiS5_PT2_S5_PiS5_S8_21rocsparse_index_base_,comdat
.Lfunc_end51:
	.size	_ZN9rocsparseL17bsric0_2_8_kernelILi64ELi64ELi8E21rocsparse_complex_numIfEEEv20rocsparse_direction_iiPKiS5_PT2_S5_PiS5_S8_21rocsparse_index_base_, .Lfunc_end51-_ZN9rocsparseL17bsric0_2_8_kernelILi64ELi64ELi8E21rocsparse_complex_numIfEEEv20rocsparse_direction_iiPKiS5_PT2_S5_PiS5_S8_21rocsparse_index_base_
                                        ; -- End function
	.section	.AMDGPU.csdata,"",@progbits
; Kernel info:
; codeLenInByte = 4116
; NumSgprs: 45
; NumVgprs: 27
; ScratchSize: 0
; MemoryBound: 0
; FloatMode: 240
; IeeeMode: 1
; LDSByteSize: 3072 bytes/workgroup (compile time only)
; SGPRBlocks: 5
; VGPRBlocks: 3
; NumSGPRsForWavesPerEU: 45
; NumVGPRsForWavesPerEU: 27
; Occupancy: 16
; WaveLimiterHint : 1
; COMPUTE_PGM_RSRC2:SCRATCH_EN: 0
; COMPUTE_PGM_RSRC2:USER_SGPR: 15
; COMPUTE_PGM_RSRC2:TRAP_HANDLER: 0
; COMPUTE_PGM_RSRC2:TGID_X_EN: 1
; COMPUTE_PGM_RSRC2:TGID_Y_EN: 0
; COMPUTE_PGM_RSRC2:TGID_Z_EN: 0
; COMPUTE_PGM_RSRC2:TIDIG_COMP_CNT: 1
	.section	.text._ZN9rocsparseL18bsric0_9_16_kernelILi64ELi64ELi16E21rocsparse_complex_numIfEEEv20rocsparse_direction_iiPKiS5_PT2_S5_PiS5_S8_21rocsparse_index_base_,"axG",@progbits,_ZN9rocsparseL18bsric0_9_16_kernelILi64ELi64ELi16E21rocsparse_complex_numIfEEEv20rocsparse_direction_iiPKiS5_PT2_S5_PiS5_S8_21rocsparse_index_base_,comdat
	.globl	_ZN9rocsparseL18bsric0_9_16_kernelILi64ELi64ELi16E21rocsparse_complex_numIfEEEv20rocsparse_direction_iiPKiS5_PT2_S5_PiS5_S8_21rocsparse_index_base_ ; -- Begin function _ZN9rocsparseL18bsric0_9_16_kernelILi64ELi64ELi16E21rocsparse_complex_numIfEEEv20rocsparse_direction_iiPKiS5_PT2_S5_PiS5_S8_21rocsparse_index_base_
	.p2align	8
	.type	_ZN9rocsparseL18bsric0_9_16_kernelILi64ELi64ELi16E21rocsparse_complex_numIfEEEv20rocsparse_direction_iiPKiS5_PT2_S5_PiS5_S8_21rocsparse_index_base_,@function
_ZN9rocsparseL18bsric0_9_16_kernelILi64ELi64ELi16E21rocsparse_complex_numIfEEEv20rocsparse_direction_iiPKiS5_PT2_S5_PiS5_S8_21rocsparse_index_base_: ; @_ZN9rocsparseL18bsric0_9_16_kernelILi64ELi64ELi16E21rocsparse_complex_numIfEEEv20rocsparse_direction_iiPKiS5_PT2_S5_PiS5_S8_21rocsparse_index_base_
; %bb.0:
	s_load_b256 s[4:11], s[0:1], 0x28
	s_mov_b32 s2, s15
	s_mov_b32 s3, 0
	v_and_b32_e32 v10, 0x3ff, v0
	s_lshl_b64 s[12:13], s[2:3], 2
	v_bfe_u32 v0, v0, 10, 10
	s_waitcnt lgkmcnt(0)
	s_add_u32 s8, s8, s12
	s_addc_u32 s9, s9, s13
	s_load_b32 s16, s[8:9], 0x0
	s_waitcnt lgkmcnt(0)
	s_ashr_i32 s17, s16, 31
	s_delay_alu instid0(SALU_CYCLE_1) | instskip(NEXT) | instid1(SALU_CYCLE_1)
	s_lshl_b64 s[8:9], s[16:17], 2
	s_add_u32 s12, s4, s8
	s_addc_u32 s13, s5, s9
	s_load_b32 s28, s[12:13], 0x0
	s_load_b32 s17, s[0:1], 0x48
	s_waitcnt lgkmcnt(0)
	s_cmp_lg_u32 s28, -1
	s_cbranch_scc0 .LBB52_137
; %bb.1:
	s_clause 0x1
	s_load_b128 s[12:15], s[0:1], 0x10
	s_load_b64 s[18:19], s[0:1], 0x20
	v_lshlrev_b32_e32 v1, 2, v0
	s_waitcnt lgkmcnt(0)
	s_add_u32 s2, s12, s8
	s_addc_u32 s3, s13, s9
	s_load_b32 s2, s[2:3], 0x0
	s_waitcnt lgkmcnt(0)
	s_sub_i32 s31, s2, s17
	s_mov_b32 s2, exec_lo
	v_add3_u32 v1, v1, v10, s31
	s_delay_alu instid0(VALU_DEP_1)
	v_cmpx_ge_i32_e64 s28, v1
	s_cbranch_execz .LBB52_4
; %bb.2:
	v_lshlrev_b32_e32 v2, 4, v0
	v_lshlrev_b32_e32 v3, 2, v10
	s_mov_b32 s3, 0
	s_delay_alu instid0(VALU_DEP_1)
	v_add3_u32 v3, v2, v3, 0x2400
	.p2align	6
.LBB52_3:                               ; =>This Inner Loop Header: Depth=1
	v_ashrrev_i32_e32 v2, 31, v1
	s_delay_alu instid0(VALU_DEP_1) | instskip(SKIP_1) | instid1(VALU_DEP_2)
	v_lshlrev_b64 v[4:5], 2, v[1:2]
	v_add_nc_u32_e32 v1, 64, v1
	v_add_co_u32 v4, vcc_lo, s14, v4
	s_delay_alu instid0(VALU_DEP_3) | instskip(NEXT) | instid1(VALU_DEP_3)
	v_add_co_ci_u32_e32 v5, vcc_lo, s15, v5, vcc_lo
	v_cmp_lt_i32_e32 vcc_lo, s28, v1
	global_load_b32 v2, v[4:5], off
	s_or_b32 s3, vcc_lo, s3
	s_waitcnt vmcnt(0)
	v_subrev_nc_u32_e32 v2, s17, v2
	ds_store_b32 v3, v2
	v_add_nc_u32_e32 v3, 0x100, v3
	s_and_not1_b32 exec_lo, exec_lo, s3
	s_cbranch_execnz .LBB52_3
.LBB52_4:
	s_or_b32 exec_lo, exec_lo, s2
	v_mul_u32_u24_e32 v11, 0x88, v0
	v_lshlrev_b32_e32 v12, 3, v10
	s_mov_b32 s2, exec_lo
	v_cmpx_gt_u32_e32 16, v10
	s_cbranch_execz .LBB52_7
; %bb.5:
	v_mov_b32_e32 v1, 0
	v_add_nc_u32_e32 v3, -4, v10
	v_add3_u32 v4, v11, v12, 0x1980
	s_mov_b32 s3, 0
	s_delay_alu instid0(VALU_DEP_3)
	v_mov_b32_e32 v2, v1
.LBB52_6:                               ; =>This Inner Loop Header: Depth=1
	s_delay_alu instid0(VALU_DEP_3) | instskip(SKIP_4) | instid1(SALU_CYCLE_1)
	v_add_nc_u32_e32 v3, 4, v3
	ds_store_b64 v4, v[1:2]
	v_add_nc_u32_e32 v4, 32, v4
	v_cmp_lt_u32_e32 vcc_lo, 11, v3
	s_or_b32 s3, vcc_lo, s3
	s_and_not1_b32 exec_lo, exec_lo, s3
	s_cbranch_execnz .LBB52_6
.LBB52_7:
	s_or_b32 exec_lo, exec_lo, s2
	s_clause 0x1
	s_load_b32 s29, s[0:1], 0x8
	s_load_b32 s30, s[0:1], 0x0
	s_cmp_ge_i32 s31, s28
	s_waitcnt lgkmcnt(0)
	buffer_gl0_inv
	v_cmp_gt_i32_e64 s0, s29, v10
	s_cbranch_scc1 .LBB52_92
; %bb.8:
	v_mad_u64_u32 v[1:2], null, s29, s31, v[0:1]
	v_or_b32_e32 v2, v10, v0
	v_mad_u32_u24 v13, 0x88, v0, v12
	v_mul_lo_u32 v14, v0, s29
	v_mul_lo_u32 v16, v10, s29
	s_movk_i32 s3, 0x1100
	s_cmp_lg_u32 s30, 0
	v_mul_lo_u32 v18, s29, v1
	v_cmp_gt_i32_e64 s1, s29, v0
	v_cmp_ne_u32_e64 s2, 0, v2
	v_add_nc_u32_e32 v15, 0x880, v13
	v_mad_u32_u24 v17, 0x88, v0, s3
	v_mad_u32_u24 v19, 0x88, v10, s3
	v_dual_mov_b32 v1, 0 :: v_dual_add_nc_u32 v20, 0x1980, v13
	v_add_nc_u32_e32 v21, 0x1100, v13
	s_cselect_b32 s33, -1, 0
	s_cmp_gt_i32 s29, 0
	s_mul_i32 s35, s29, s29
	s_cselect_b32 s34, -1, 0
	s_lshl_b32 s36, s29, 2
	s_mov_b32 s20, s31
	s_branch .LBB52_10
.LBB52_9:                               ;   in Loop: Header=BB52_10 Depth=1
	s_set_inst_prefetch_distance 0x2
	s_or_b32 exec_lo, exec_lo, s3
	s_add_i32 s20, s20, 1
	v_add_nc_u32_e32 v18, s35, v18
	s_cmp_ge_i32 s20, s28
	s_waitcnt_vscnt null, 0x0
	buffer_gl1_inv
	buffer_gl0_inv
	s_cselect_b32 s3, -1, 0
	s_delay_alu instid0(SALU_CYCLE_1)
	s_and_b32 vcc_lo, exec_lo, s3
	s_cbranch_vccnz .LBB52_92
.LBB52_10:                              ; =>This Loop Header: Depth=1
                                        ;     Child Loop BB52_14 Depth 2
                                        ;     Child Loop BB52_27 Depth 2
	;; [unrolled: 1-line block ×5, first 2 shown]
                                        ;       Child Loop BB52_59 Depth 3
                                        ;     Child Loop BB52_72 Depth 2
                                        ;       Child Loop BB52_78 Depth 3
                                        ;       Child Loop BB52_81 Depth 3
                                        ;     Child Loop BB52_86 Depth 2
	s_ashr_i32 s21, s20, 31
	s_delay_alu instid0(SALU_CYCLE_1) | instskip(NEXT) | instid1(SALU_CYCLE_1)
	s_lshl_b64 s[22:23], s[20:21], 2
	s_add_u32 s22, s14, s22
	s_addc_u32 s23, s15, s23
	s_load_b32 s37, s[22:23], 0x0
	s_waitcnt lgkmcnt(0)
	s_sub_i32 s24, s37, s17
	s_delay_alu instid0(SALU_CYCLE_1) | instskip(NEXT) | instid1(SALU_CYCLE_1)
	s_ashr_i32 s25, s24, 31
	s_lshl_b64 s[22:23], s[24:25], 2
	s_delay_alu instid0(SALU_CYCLE_1)
	s_add_u32 s26, s4, s22
	s_addc_u32 s27, s5, s23
	s_load_b32 s3, s[26:27], 0x0
	s_waitcnt lgkmcnt(0)
	s_cmp_eq_u32 s3, -1
	s_cbranch_scc1 .LBB52_91
; %bb.11:                               ;   in Loop: Header=BB52_10 Depth=1
	s_add_u32 s26, s12, s22
	s_addc_u32 s27, s13, s23
	s_mul_i32 s21, s20, s29
	s_load_b32 s25, s[26:27], 0x0
	s_and_saveexec_b32 s26, s0
	s_cbranch_execz .LBB52_24
; %bb.12:                               ;   in Loop: Header=BB52_10 Depth=1
	v_dual_mov_b32 v5, v15 :: v_dual_mov_b32 v6, v10
	s_mov_b32 s27, 0
	s_branch .LBB52_14
.LBB52_13:                              ;   in Loop: Header=BB52_14 Depth=2
	s_or_b32 exec_lo, exec_lo, s39
	v_add_nc_u32_e32 v6, 4, v6
	v_mov_b32_e32 v2, v1
	s_waitcnt vmcnt(0)
	ds_store_b64 v5, v[3:4] offset:2176
	ds_store_b64 v5, v[1:2]
	v_add_nc_u32_e32 v5, 32, v5
	v_cmp_le_i32_e32 vcc_lo, s29, v6
	s_or_b32 s27, vcc_lo, s27
	s_delay_alu instid0(SALU_CYCLE_1)
	s_and_not1_b32 exec_lo, exec_lo, s27
	s_cbranch_execz .LBB52_24
.LBB52_14:                              ;   Parent Loop BB52_10 Depth=1
                                        ; =>  This Inner Loop Header: Depth=2
	s_and_b32 vcc_lo, exec_lo, s33
	s_cbranch_vccz .LBB52_19
; %bb.15:                               ;   in Loop: Header=BB52_14 Depth=2
	s_mov_b32 s39, 0
	s_mov_b32 s38, 0
                                        ; implicit-def: $vgpr2
	s_and_saveexec_b32 s40, s1
	s_delay_alu instid0(SALU_CYCLE_1)
	s_xor_b32 s40, exec_lo, s40
; %bb.16:                               ;   in Loop: Header=BB52_14 Depth=2
	v_add_nc_u32_e32 v4, s21, v6
	s_mov_b32 s38, exec_lo
	s_delay_alu instid0(VALU_DEP_1)
	v_mad_u64_u32 v[2:3], null, v4, s29, v[0:1]
; %bb.17:                               ;   in Loop: Header=BB52_14 Depth=2
	s_or_b32 exec_lo, exec_lo, s40
	s_delay_alu instid0(SALU_CYCLE_1)
	s_and_b32 vcc_lo, exec_lo, s39
	s_cbranch_vccnz .LBB52_20
.LBB52_18:                              ;   in Loop: Header=BB52_14 Depth=2
	v_dual_mov_b32 v3, s39 :: v_dual_mov_b32 v4, s39
	s_and_saveexec_b32 s39, s38
	s_cbranch_execz .LBB52_13
	s_branch .LBB52_23
.LBB52_19:                              ;   in Loop: Header=BB52_14 Depth=2
	s_mov_b32 s39, -1
	s_mov_b32 s38, 0
                                        ; implicit-def: $vgpr2
	s_cbranch_execz .LBB52_18
.LBB52_20:                              ;   in Loop: Header=BB52_14 Depth=2
                                        ; implicit-def: $vgpr2
	s_and_saveexec_b32 s39, s1
; %bb.21:                               ;   in Loop: Header=BB52_14 Depth=2
	v_add_nc_u32_e32 v2, v18, v6
	s_or_b32 s38, s38, exec_lo
; %bb.22:                               ;   in Loop: Header=BB52_14 Depth=2
	s_or_b32 exec_lo, exec_lo, s39
	s_mov_b32 s39, 0
	s_delay_alu instid0(SALU_CYCLE_1)
	v_dual_mov_b32 v3, s39 :: v_dual_mov_b32 v4, s39
	s_and_saveexec_b32 s39, s38
	s_cbranch_execz .LBB52_13
.LBB52_23:                              ;   in Loop: Header=BB52_14 Depth=2
	v_ashrrev_i32_e32 v3, 31, v2
	s_delay_alu instid0(VALU_DEP_1) | instskip(NEXT) | instid1(VALU_DEP_1)
	v_lshlrev_b64 v[2:3], 3, v[2:3]
	v_add_co_u32 v2, vcc_lo, s18, v2
	s_delay_alu instid0(VALU_DEP_2)
	v_add_co_ci_u32_e32 v3, vcc_lo, s19, v3, vcc_lo
	global_load_b64 v[3:4], v[2:3], off
	s_branch .LBB52_13
.LBB52_24:                              ;   in Loop: Header=BB52_10 Depth=1
	s_or_b32 exec_lo, exec_lo, s26
; %bb.25:                               ;   in Loop: Header=BB52_10 Depth=1
	ds_load_b32 v2, v1 offset:9216
	s_waitcnt lgkmcnt(0)
	s_sub_i32 s26, s25, s17
	s_delay_alu instid0(SALU_CYCLE_1) | instskip(SKIP_3) | instid1(SALU_CYCLE_1)
	s_cmp_le_i32 s26, s3
	s_cselect_b32 s25, -1, 0
	v_cmp_ge_i32_e32 vcc_lo, s24, v2
	s_and_b32 s25, s25, vcc_lo
	s_and_not1_b32 vcc_lo, exec_lo, s25
	s_mov_b32 s25, 0
	s_cbranch_vccnz .LBB52_37
; %bb.26:                               ;   in Loop: Header=BB52_10 Depth=1
	s_mov_b32 s38, 0
	s_mov_b32 s39, 0
.LBB52_27:                              ;   Parent Loop BB52_10 Depth=1
                                        ; =>  This Inner Loop Header: Depth=2
	s_ashr_i32 s27, s26, 31
	s_mov_b32 s42, -1
	s_lshl_b64 s[40:41], s[26:27], 2
	s_delay_alu instid0(SALU_CYCLE_1) | instskip(SKIP_2) | instid1(SALU_CYCLE_1)
	s_add_u32 s40, s14, s40
	s_addc_u32 s41, s15, s41
	s_lshl_b32 s25, s39, 2
	v_mov_b32_e32 v2, s25
	s_load_b32 s25, s[40:41], 0x0
                                        ; implicit-def: $sgpr41
                                        ; implicit-def: $sgpr40
	ds_load_b32 v2, v2 offset:9216
	s_waitcnt lgkmcnt(0)
	s_sub_i32 s43, s25, s17
                                        ; implicit-def: $sgpr25
	s_delay_alu instid0(SALU_CYCLE_1)
	v_cmp_ge_i32_e32 vcc_lo, s43, v2
	v_readfirstlane_b32 s27, v2
	s_cbranch_vccz .LBB52_33
; %bb.28:                               ;   in Loop: Header=BB52_27 Depth=2
	s_delay_alu instid0(VALU_DEP_1)
	s_cmp_le_i32 s43, s27
                                        ; implicit-def: $sgpr25
                                        ; implicit-def: $sgpr41
                                        ; implicit-def: $sgpr40
	s_cbranch_scc0 .LBB52_30
; %bb.29:                               ;   in Loop: Header=BB52_27 Depth=2
	s_add_i32 s25, s39, s31
	s_lshl_b32 s40, s38, 2
	s_mul_i32 s25, s25, s35
	s_delay_alu instid0(SALU_CYCLE_1)
	v_dual_mov_b32 v2, s40 :: v_dual_mov_b32 v3, s25
	s_mul_i32 s40, s26, s35
	s_add_i32 s41, s26, 1
	v_mov_b32_e32 v4, s40
	s_add_i32 s40, s39, 1
	s_add_i32 s25, s38, 1
	s_mov_b32 s42, 0
	ds_store_2addr_stride64_b32 v2, v4, v3 offset0:34 offset1:35
.LBB52_30:                              ;   in Loop: Header=BB52_27 Depth=2
	s_and_not1_b32 vcc_lo, exec_lo, s42
	s_cbranch_vccnz .LBB52_32
; %bb.31:                               ;   in Loop: Header=BB52_27 Depth=2
	s_add_i32 s40, s39, 1
	s_mov_b32 s25, s38
	s_mov_b32 s41, s26
.LBB52_32:                              ;   in Loop: Header=BB52_27 Depth=2
	s_mov_b32 s42, 0
.LBB52_33:                              ;   in Loop: Header=BB52_27 Depth=2
	s_delay_alu instid0(SALU_CYCLE_1)
	s_and_not1_b32 vcc_lo, exec_lo, s42
	s_cbranch_vccnz .LBB52_35
; %bb.34:                               ;   in Loop: Header=BB52_27 Depth=2
	s_add_i32 s41, s26, 1
	s_mov_b32 s40, s39
	s_mov_b32 s25, s38
.LBB52_35:                              ;   in Loop: Header=BB52_27 Depth=2
	s_cmp_le_i32 s41, s3
	s_cselect_b32 s26, -1, 0
	s_cmp_le_i32 s27, s24
	s_cselect_b32 s27, -1, 0
	s_delay_alu instid0(SALU_CYCLE_1) | instskip(NEXT) | instid1(SALU_CYCLE_1)
	s_and_b32 s26, s26, s27
	s_and_b32 vcc_lo, exec_lo, s26
	s_cbranch_vccz .LBB52_37
; %bb.36:                               ;   in Loop: Header=BB52_27 Depth=2
	s_mov_b32 s38, s25
	s_mov_b32 s26, s41
	;; [unrolled: 1-line block ×3, first 2 shown]
	s_branch .LBB52_27
.LBB52_37:                              ;   in Loop: Header=BB52_10 Depth=1
	s_add_u32 s22, s6, s22
	s_addc_u32 s23, s7, s23
	s_waitcnt lgkmcnt(0)
	buffer_gl0_inv
.LBB52_38:                              ;   Parent Loop BB52_10 Depth=1
                                        ; =>  This Inner Loop Header: Depth=2
	global_load_b32 v2, v1, s[22:23] glc
	s_waitcnt vmcnt(0)
	v_cmp_eq_u32_e32 vcc_lo, 0, v2
	s_cbranch_vccnz .LBB52_38
; %bb.39:                               ;   in Loop: Header=BB52_10 Depth=1
	buffer_gl1_inv
	buffer_gl0_inv
	s_and_saveexec_b32 s22, s0
	s_cbranch_execz .LBB52_52
; %bb.40:                               ;   in Loop: Header=BB52_10 Depth=1
	s_mul_i32 s3, s3, s29
	v_mov_b32_e32 v6, v13
	v_dual_mov_b32 v7, v10 :: v_dual_add_nc_u32 v2, s3, v0
	s_mov_b32 s23, 0
	s_delay_alu instid0(VALU_DEP_1)
	v_mul_lo_u32 v5, v2, s29
	s_branch .LBB52_42
.LBB52_41:                              ;   in Loop: Header=BB52_42 Depth=2
	s_or_b32 exec_lo, exec_lo, s26
	v_add_nc_u32_e32 v7, 4, v7
	s_waitcnt vmcnt(0)
	ds_store_b64 v6, v[3:4]
	v_add_nc_u32_e32 v6, 32, v6
	v_cmp_le_i32_e32 vcc_lo, s29, v7
	s_or_b32 s23, vcc_lo, s23
	s_delay_alu instid0(SALU_CYCLE_1)
	s_and_not1_b32 exec_lo, exec_lo, s23
	s_cbranch_execz .LBB52_52
.LBB52_42:                              ;   Parent Loop BB52_10 Depth=1
                                        ; =>  This Inner Loop Header: Depth=2
	s_and_b32 vcc_lo, exec_lo, s33
	s_cbranch_vccz .LBB52_47
; %bb.43:                               ;   in Loop: Header=BB52_42 Depth=2
	s_mov_b32 s26, 0
	s_mov_b32 s24, 0
                                        ; implicit-def: $vgpr2
	s_and_saveexec_b32 s27, s1
	s_delay_alu instid0(SALU_CYCLE_1)
	s_xor_b32 s27, exec_lo, s27
; %bb.44:                               ;   in Loop: Header=BB52_42 Depth=2
	v_add_nc_u32_e32 v4, s3, v7
	s_mov_b32 s24, exec_lo
	s_delay_alu instid0(VALU_DEP_1)
	v_mad_u64_u32 v[2:3], null, v4, s29, v[0:1]
; %bb.45:                               ;   in Loop: Header=BB52_42 Depth=2
	s_or_b32 exec_lo, exec_lo, s27
	s_delay_alu instid0(SALU_CYCLE_1)
	s_and_b32 vcc_lo, exec_lo, s26
	s_cbranch_vccnz .LBB52_48
.LBB52_46:                              ;   in Loop: Header=BB52_42 Depth=2
	v_dual_mov_b32 v3, s26 :: v_dual_mov_b32 v4, s26
	s_and_saveexec_b32 s26, s24
	s_cbranch_execz .LBB52_41
	s_branch .LBB52_51
.LBB52_47:                              ;   in Loop: Header=BB52_42 Depth=2
	s_mov_b32 s26, -1
	s_mov_b32 s24, 0
                                        ; implicit-def: $vgpr2
	s_cbranch_execz .LBB52_46
.LBB52_48:                              ;   in Loop: Header=BB52_42 Depth=2
                                        ; implicit-def: $vgpr2
	s_and_saveexec_b32 s26, s1
; %bb.49:                               ;   in Loop: Header=BB52_42 Depth=2
	v_add_nc_u32_e32 v2, v5, v7
	s_or_b32 s24, s24, exec_lo
; %bb.50:                               ;   in Loop: Header=BB52_42 Depth=2
	s_or_b32 exec_lo, exec_lo, s26
	s_mov_b32 s26, 0
	s_delay_alu instid0(SALU_CYCLE_1)
	v_dual_mov_b32 v3, s26 :: v_dual_mov_b32 v4, s26
	s_and_saveexec_b32 s26, s24
	s_cbranch_execz .LBB52_41
.LBB52_51:                              ;   in Loop: Header=BB52_42 Depth=2
	v_ashrrev_i32_e32 v3, 31, v2
	s_delay_alu instid0(VALU_DEP_1) | instskip(NEXT) | instid1(VALU_DEP_1)
	v_lshlrev_b64 v[2:3], 3, v[2:3]
	v_add_co_u32 v2, vcc_lo, s18, v2
	s_delay_alu instid0(VALU_DEP_2)
	v_add_co_ci_u32_e32 v3, vcc_lo, s19, v3, vcc_lo
	global_load_b64 v[3:4], v[2:3], off
	s_branch .LBB52_41
.LBB52_52:                              ;   in Loop: Header=BB52_10 Depth=1
	s_or_b32 exec_lo, exec_lo, s22
; %bb.53:                               ;   in Loop: Header=BB52_10 Depth=1
	s_cmp_lt_i32 s25, 2
	s_cbranch_scc1 .LBB52_69
; %bb.54:                               ;   in Loop: Header=BB52_10 Depth=1
	s_add_i32 s3, s25, -2
	s_mov_b32 s22, 0
	s_branch .LBB52_56
.LBB52_55:                              ;   in Loop: Header=BB52_56 Depth=2
	s_or_b32 exec_lo, exec_lo, s23
	s_add_i32 s23, s22, 1
	s_cmp_eq_u32 s22, s3
	s_mov_b32 s22, s23
	s_cbranch_scc1 .LBB52_69
.LBB52_56:                              ;   Parent Loop BB52_10 Depth=1
                                        ; =>  This Loop Header: Depth=2
                                        ;       Child Loop BB52_59 Depth 3
	s_and_saveexec_b32 s23, s0
	s_cbranch_execz .LBB52_55
; %bb.57:                               ;   in Loop: Header=BB52_56 Depth=2
	s_lshl_b32 s24, s22, 2
	v_mov_b32_e32 v26, v10
	v_mov_b32_e32 v2, s24
	s_mov_b32 s24, 0
	ds_load_2addr_stride64_b32 v[2:3], v2 offset0:34 offset1:35
	s_waitcnt lgkmcnt(0)
	v_add_nc_u32_e32 v23, v0, v3
	v_add_nc_u32_e32 v22, v3, v14
	;; [unrolled: 1-line block ×4, first 2 shown]
	s_branch .LBB52_59
.LBB52_58:                              ;   in Loop: Header=BB52_59 Depth=3
	v_lshlrev_b32_e32 v2, 3, v26
	v_add_nc_u32_e32 v26, 4, v26
	v_add_nc_u32_e32 v24, 4, v24
	;; [unrolled: 1-line block ×3, first 2 shown]
	s_delay_alu instid0(VALU_DEP_4) | instskip(NEXT) | instid1(VALU_DEP_4)
	v_mad_u32_u24 v4, 0x88, v0, v2
	v_cmp_le_i32_e32 vcc_lo, s29, v26
	ds_load_b64 v[6:7], v4 offset:2176
	s_or_b32 s24, vcc_lo, s24
	s_waitcnt lgkmcnt(0)
	v_dual_add_f32 v2, v3, v6 :: v_dual_add_f32 v3, v5, v7
	ds_store_b64 v4, v[2:3] offset:2176
	s_and_not1_b32 exec_lo, exec_lo, s24
	s_cbranch_execz .LBB52_55
.LBB52_59:                              ;   Parent Loop BB52_10 Depth=1
                                        ;     Parent Loop BB52_56 Depth=2
                                        ; =>    This Inner Loop Header: Depth=3
	s_delay_alu instid0(VALU_DEP_2)
	v_dual_mov_b32 v27, 0 :: v_dual_mov_b32 v2, v24
	v_mov_b32_e32 v4, v23
	v_mov_b32_e32 v28, 0
	s_mov_b32 s25, 0
	s_and_b32 vcc_lo, exec_lo, s33
	s_cbranch_vccz .LBB52_63
.LBB52_60:                              ;   in Loop: Header=BB52_59 Depth=3
	v_ashrrev_i32_e32 v3, 31, v2
	v_dual_mov_b32 v8, 0 :: v_dual_mov_b32 v9, 0
	s_mov_b32 s26, 0
	s_delay_alu instid0(VALU_DEP_2) | instskip(NEXT) | instid1(VALU_DEP_1)
	v_lshlrev_b64 v[5:6], 3, v[2:3]
	v_add_co_u32 v5, vcc_lo, s18, v5
	s_delay_alu instid0(VALU_DEP_2)
	v_add_co_ci_u32_e32 v6, vcc_lo, s19, v6, vcc_lo
	global_load_b64 v[6:7], v[5:6], off
	s_and_saveexec_b32 s27, s1
	s_cbranch_execz .LBB52_62
; %bb.61:                               ;   in Loop: Header=BB52_59 Depth=3
	v_ashrrev_i32_e32 v5, 31, v4
	s_delay_alu instid0(VALU_DEP_1) | instskip(NEXT) | instid1(VALU_DEP_1)
	v_lshlrev_b64 v[8:9], 3, v[4:5]
	v_add_co_u32 v8, vcc_lo, s18, v8
	s_delay_alu instid0(VALU_DEP_2)
	v_add_co_ci_u32_e32 v9, vcc_lo, s19, v9, vcc_lo
	global_load_b64 v[8:9], v[8:9], off
.LBB52_62:                              ;   in Loop: Header=BB52_59 Depth=3
	s_or_b32 exec_lo, exec_lo, s27
	s_waitcnt vmcnt(0)
	v_fma_f32 v3, v6, v8, v28
	v_fma_f32 v5, v7, v8, v27
	s_delay_alu instid0(VALU_DEP_2) | instskip(NEXT) | instid1(VALU_DEP_2)
	v_fmac_f32_e32 v3, v7, v9
	v_fma_f32 v5, v6, -v9, v5
	s_and_b32 vcc_lo, exec_lo, s26
	s_cbranch_vccnz .LBB52_64
	s_branch .LBB52_67
.LBB52_63:                              ;   in Loop: Header=BB52_59 Depth=3
                                        ; implicit-def: $vgpr5
                                        ; implicit-def: $vgpr3
	s_cbranch_execz .LBB52_67
.LBB52_64:                              ;   in Loop: Header=BB52_59 Depth=3
	v_dual_mov_b32 v8, 0 :: v_dual_add_nc_u32 v5, s25, v25
	v_mov_b32_e32 v7, 0
	s_delay_alu instid0(VALU_DEP_2) | instskip(NEXT) | instid1(VALU_DEP_1)
	v_ashrrev_i32_e32 v6, 31, v5
	v_lshlrev_b64 v[5:6], 3, v[5:6]
	s_delay_alu instid0(VALU_DEP_1) | instskip(NEXT) | instid1(VALU_DEP_2)
	v_add_co_u32 v5, vcc_lo, s18, v5
	v_add_co_ci_u32_e32 v6, vcc_lo, s19, v6, vcc_lo
	global_load_b64 v[5:6], v[5:6], off
	s_and_saveexec_b32 s26, s1
	s_cbranch_execz .LBB52_66
; %bb.65:                               ;   in Loop: Header=BB52_59 Depth=3
	v_add_nc_u32_e32 v7, s25, v22
	s_delay_alu instid0(VALU_DEP_1) | instskip(NEXT) | instid1(VALU_DEP_1)
	v_ashrrev_i32_e32 v8, 31, v7
	v_lshlrev_b64 v[7:8], 3, v[7:8]
	s_delay_alu instid0(VALU_DEP_1) | instskip(NEXT) | instid1(VALU_DEP_2)
	v_add_co_u32 v7, vcc_lo, s18, v7
	v_add_co_ci_u32_e32 v8, vcc_lo, s19, v8, vcc_lo
	global_load_b64 v[7:8], v[7:8], off
.LBB52_66:                              ;   in Loop: Header=BB52_59 Depth=3
	s_or_b32 exec_lo, exec_lo, s26
	s_waitcnt vmcnt(0)
	v_fmac_f32_e32 v28, v5, v7
	v_fmac_f32_e32 v27, v6, v7
	s_delay_alu instid0(VALU_DEP_2) | instskip(NEXT) | instid1(VALU_DEP_2)
	v_fmac_f32_e32 v28, v6, v8
	v_fma_f32 v5, v5, -v8, v27
	s_delay_alu instid0(VALU_DEP_2)
	v_mov_b32_e32 v3, v28
.LBB52_67:                              ;   in Loop: Header=BB52_59 Depth=3
	v_add_nc_u32_e32 v4, s29, v4
	v_add_nc_u32_e32 v2, s29, v2
	s_add_i32 s25, s25, 1
	s_delay_alu instid0(SALU_CYCLE_1)
	s_cmp_eq_u32 s29, s25
	s_cbranch_scc1 .LBB52_58
; %bb.68:                               ;   in Loop: Header=BB52_59 Depth=3
	v_dual_mov_b32 v27, v5 :: v_dual_mov_b32 v28, v3
	s_and_b32 vcc_lo, exec_lo, s33
	s_cbranch_vccnz .LBB52_60
	s_branch .LBB52_63
.LBB52_69:                              ;   in Loop: Header=BB52_10 Depth=1
	s_and_not1_b32 vcc_lo, exec_lo, s34
	s_waitcnt lgkmcnt(0)
	buffer_gl0_inv
	s_cbranch_vccnz .LBB52_82
; %bb.70:                               ;   in Loop: Header=BB52_10 Depth=1
	v_mov_b32_e32 v6, v19
	s_mov_b32 s22, 0
	s_mov_b32 s23, 0
	s_branch .LBB52_72
.LBB52_71:                              ;   in Loop: Header=BB52_72 Depth=2
	s_or_b32 exec_lo, exec_lo, s3
	v_add_nc_u32_e32 v6, 8, v6
	s_add_i32 s23, s23, 1
	s_addk_i32 s22, 0x88
	s_cmp_eq_u32 s23, s29
	s_waitcnt lgkmcnt(0)
	buffer_gl0_inv
	s_cbranch_scc1 .LBB52_82
.LBB52_72:                              ;   Parent Loop BB52_10 Depth=1
                                        ; =>  This Loop Header: Depth=2
                                        ;       Child Loop BB52_78 Depth 3
                                        ;       Child Loop BB52_81 Depth 3
	s_lshl_b32 s3, s23, 3
	s_mul_i32 s24, s23, 0x88
	v_mad_u32_u24 v9, 0x88, v0, s3
	s_add_i32 s24, s3, s24
	s_delay_alu instid0(SALU_CYCLE_1)
	v_mov_b32_e32 v2, s24
	ds_load_b64 v[4:5], v2
	ds_load_b64 v[2:3], v9 offset:4352
	s_waitcnt lgkmcnt(1)
	v_cmp_neq_f32_e32 vcc_lo, 0, v4
	v_cmp_neq_f32_e64 s3, 0, v5
	s_delay_alu instid0(VALU_DEP_1) | instskip(SKIP_2) | instid1(SALU_CYCLE_1)
	s_or_b32 vcc_lo, vcc_lo, s3
	v_dual_cndmask_b32 v7, 1.0, v4 :: v_dual_cndmask_b32 v8, 0, v5
	s_or_b32 s3, vcc_lo, s2
	s_xor_b32 s24, s3, -1
	s_delay_alu instid0(SALU_CYCLE_1)
	s_and_saveexec_b32 s3, s24
	s_cbranch_execz .LBB52_76
; %bb.73:                               ;   in Loop: Header=BB52_72 Depth=2
	v_mbcnt_lo_u32_b32 v4, exec_lo, 0
	s_mov_b32 s24, exec_lo
	s_delay_alu instid0(VALU_DEP_1)
	v_cmpx_eq_u32_e32 0, v4
	s_cbranch_execz .LBB52_75
; %bb.74:                               ;   in Loop: Header=BB52_72 Depth=2
	v_mov_b32_e32 v4, s37
	global_atomic_min_i32 v1, v4, s[10:11]
.LBB52_75:                              ;   in Loop: Header=BB52_72 Depth=2
	s_or_b32 exec_lo, exec_lo, s24
	v_dual_mov_b32 v7, 1.0 :: v_dual_mov_b32 v8, 0
.LBB52_76:                              ;   in Loop: Header=BB52_72 Depth=2
	s_or_b32 exec_lo, exec_lo, s3
	v_lshl_add_u32 v4, s23, 3, v11
	s_cmp_eq_u32 s23, 0
	ds_load_b64 v[4:5], v4 offset:2176
	s_cbranch_scc1 .LBB52_79
; %bb.77:                               ;   in Loop: Header=BB52_72 Depth=2
	v_mov_b32_e32 v22, v17
	s_mov_b32 s3, 0
	s_mov_b32 s24, s22
.LBB52_78:                              ;   Parent Loop BB52_10 Depth=1
                                        ;     Parent Loop BB52_72 Depth=2
                                        ; =>    This Inner Loop Header: Depth=3
	s_delay_alu instid0(SALU_CYCLE_1)
	v_mov_b32_e32 v25, s24
	s_add_i32 s3, s3, 1
	s_add_i32 s24, s24, 8
	s_cmp_ge_u32 s3, s23
	ds_load_b64 v[23:24], v22
	ds_load_b64 v[25:26], v25
	v_add_nc_u32_e32 v22, 8, v22
	s_waitcnt lgkmcnt(0)
	v_fmac_f32_e32 v4, v25, v23
	v_fmac_f32_e32 v5, v26, v23
	s_delay_alu instid0(VALU_DEP_2) | instskip(NEXT) | instid1(VALU_DEP_2)
	v_fmac_f32_e32 v4, v26, v24
	v_fma_f32 v5, v25, -v24, v5
	s_cbranch_scc0 .LBB52_78
.LBB52_79:                              ;   in Loop: Header=BB52_72 Depth=2
	v_dual_mul_f32 v22, v8, v8 :: v_dual_add_nc_u32 v9, 0x1100, v9
	s_waitcnt lgkmcnt(0)
	s_delay_alu instid0(VALU_DEP_2) | instskip(NEXT) | instid1(VALU_DEP_2)
	v_dual_sub_f32 v2, v2, v4 :: v_dual_sub_f32 v3, v3, v5
	v_fmac_f32_e32 v22, v7, v7
	s_delay_alu instid0(VALU_DEP_2) | instskip(NEXT) | instid1(VALU_DEP_3)
	v_mul_f32_e32 v4, v8, v3
	v_mul_f32_e64 v8, v8, -v2
	s_delay_alu instid0(VALU_DEP_3) | instskip(SKIP_1) | instid1(VALU_DEP_3)
	v_div_scale_f32 v23, null, v22, v22, 1.0
	v_div_scale_f32 v26, vcc_lo, 1.0, v22, 1.0
	v_fmac_f32_e32 v8, v3, v7
	s_delay_alu instid0(VALU_DEP_3) | instskip(SKIP_2) | instid1(VALU_DEP_1)
	v_rcp_f32_e32 v24, v23
	s_waitcnt_depctr 0xfff
	v_fma_f32 v25, -v23, v24, 1.0
	v_fmac_f32_e32 v24, v25, v24
	s_delay_alu instid0(VALU_DEP_1) | instskip(NEXT) | instid1(VALU_DEP_1)
	v_mul_f32_e32 v25, v26, v24
	v_fma_f32 v27, -v23, v25, v26
	s_delay_alu instid0(VALU_DEP_1) | instskip(NEXT) | instid1(VALU_DEP_1)
	v_fmac_f32_e32 v25, v27, v24
	v_fma_f32 v5, -v23, v25, v26
	s_delay_alu instid0(VALU_DEP_1) | instskip(NEXT) | instid1(VALU_DEP_1)
	v_div_fmas_f32 v5, v5, v24, v25
	v_div_fixup_f32 v5, v5, v22, 1.0
	s_delay_alu instid0(VALU_DEP_1) | instskip(NEXT) | instid1(VALU_DEP_1)
	v_dual_fmac_f32 v4, v2, v7 :: v_dual_mul_f32 v3, v5, v8
	v_mul_f32_e32 v2, v5, v4
	ds_store_b64 v9, v[2:3]
	s_waitcnt lgkmcnt(0)
	s_waitcnt_vscnt null, 0x0
	buffer_gl0_inv
	s_and_saveexec_b32 s3, s0
	s_cbranch_execz .LBB52_71
; %bb.80:                               ;   in Loop: Header=BB52_72 Depth=2
	v_dual_mov_b32 v4, v20 :: v_dual_mov_b32 v5, v6
	v_mov_b32_e32 v7, v10
	s_mov_b32 s24, 0
	.p2align	6
.LBB52_81:                              ;   Parent Loop BB52_10 Depth=1
                                        ;     Parent Loop BB52_72 Depth=2
                                        ; =>    This Inner Loop Header: Depth=3
	ds_load_b64 v[8:9], v5
	ds_load_b64 v[22:23], v4
	v_add_nc_u32_e32 v5, 0x220, v5
	s_waitcnt lgkmcnt(0)
	v_fma_f32 v22, v2, v8, v22
	v_fmac_f32_e32 v23, v3, v8
	s_delay_alu instid0(VALU_DEP_2) | instskip(NEXT) | instid1(VALU_DEP_2)
	v_dual_fmac_f32 v22, v3, v9 :: v_dual_add_nc_u32 v7, 4, v7
	v_fma_f32 v23, v2, -v9, v23
	s_delay_alu instid0(VALU_DEP_2) | instskip(SKIP_3) | instid1(SALU_CYCLE_1)
	v_cmp_le_i32_e32 vcc_lo, s29, v7
	ds_store_b64 v4, v[22:23]
	v_add_nc_u32_e32 v4, 32, v4
	s_or_b32 s24, vcc_lo, s24
	s_and_not1_b32 exec_lo, exec_lo, s24
	s_cbranch_execnz .LBB52_81
	s_branch .LBB52_71
.LBB52_82:                              ;   in Loop: Header=BB52_10 Depth=1
	s_and_saveexec_b32 s3, s0
	s_cbranch_execz .LBB52_9
; %bb.83:                               ;   in Loop: Header=BB52_10 Depth=1
	v_dual_mov_b32 v4, v21 :: v_dual_mov_b32 v5, v10
	s_mov_b32 s22, 0
	s_set_inst_prefetch_distance 0x1
	s_branch .LBB52_86
	.p2align	6
.LBB52_84:                              ;   in Loop: Header=BB52_86 Depth=2
	ds_load_b64 v[6:7], v4
	v_ashrrev_i32_e32 v3, 31, v2
	s_delay_alu instid0(VALU_DEP_1) | instskip(NEXT) | instid1(VALU_DEP_1)
	v_lshlrev_b64 v[2:3], 3, v[2:3]
	v_add_co_u32 v2, vcc_lo, s18, v2
	s_delay_alu instid0(VALU_DEP_2)
	v_add_co_ci_u32_e32 v3, vcc_lo, s19, v3, vcc_lo
	s_waitcnt lgkmcnt(0)
	global_store_b64 v[2:3], v[6:7], off
.LBB52_85:                              ;   in Loop: Header=BB52_86 Depth=2
	s_or_b32 exec_lo, exec_lo, s23
	v_add_nc_u32_e32 v5, 4, v5
	v_add_nc_u32_e32 v4, 32, v4
	s_delay_alu instid0(VALU_DEP_2) | instskip(SKIP_1) | instid1(SALU_CYCLE_1)
	v_cmp_le_i32_e32 vcc_lo, s29, v5
	s_or_b32 s22, vcc_lo, s22
	s_and_not1_b32 exec_lo, exec_lo, s22
	s_cbranch_execz .LBB52_9
.LBB52_86:                              ;   Parent Loop BB52_10 Depth=1
                                        ; =>  This Inner Loop Header: Depth=2
	s_and_saveexec_b32 s23, s1
	s_cbranch_execz .LBB52_85
; %bb.87:                               ;   in Loop: Header=BB52_86 Depth=2
	s_and_b32 vcc_lo, exec_lo, s33
	s_cbranch_vccz .LBB52_89
; %bb.88:                               ;   in Loop: Header=BB52_86 Depth=2
	v_add_nc_u32_e32 v6, s21, v5
	s_delay_alu instid0(VALU_DEP_1)
	v_mad_u64_u32 v[2:3], null, v6, s29, v[0:1]
	s_cbranch_execnz .LBB52_84
	s_branch .LBB52_90
.LBB52_89:                              ;   in Loop: Header=BB52_86 Depth=2
                                        ; implicit-def: $vgpr2
.LBB52_90:                              ;   in Loop: Header=BB52_86 Depth=2
	v_add_nc_u32_e32 v2, v18, v5
	s_branch .LBB52_84
.LBB52_91:                              ;   in Loop: Header=BB52_10 Depth=1
                                        ; implicit-def: $sgpr20
                                        ; implicit-def: $vgpr18
	s_cbranch_execz .LBB52_10
.LBB52_92:
	v_cmp_gt_i32_e64 s0, s29, v10
	s_delay_alu instid0(VALU_DEP_1)
	s_and_saveexec_b32 s2, s0
	s_cbranch_execz .LBB52_105
; %bb.93:
	s_mul_i32 s3, s28, s29
	v_cmp_gt_i32_e64 s1, s29, v0
	v_dual_mov_b32 v6, v10 :: v_dual_add_nc_u32 v1, s3, v0
	v_add3_u32 v5, v11, v12, 0x1100
	s_cmp_lg_u32 s30, 0
	s_mov_b32 s4, 0
	s_delay_alu instid0(VALU_DEP_2)
	v_mul_lo_u32 v4, v1, s29
	s_cselect_b32 s5, -1, 0
	s_branch .LBB52_95
.LBB52_94:                              ;   in Loop: Header=BB52_95 Depth=1
	s_or_b32 exec_lo, exec_lo, s13
	v_add_nc_u32_e32 v6, 4, v6
	s_waitcnt vmcnt(0)
	ds_store_b64 v5, v[2:3]
	v_add_nc_u32_e32 v5, 32, v5
	v_cmp_le_i32_e32 vcc_lo, s29, v6
	s_or_b32 s4, vcc_lo, s4
	s_delay_alu instid0(SALU_CYCLE_1)
	s_and_not1_b32 exec_lo, exec_lo, s4
	s_cbranch_execz .LBB52_105
.LBB52_95:                              ; =>This Inner Loop Header: Depth=1
	s_and_b32 vcc_lo, exec_lo, s5
	s_cbranch_vccz .LBB52_100
; %bb.96:                               ;   in Loop: Header=BB52_95 Depth=1
	s_mov_b32 s13, 0
	s_mov_b32 s12, 0
                                        ; implicit-def: $vgpr1
	s_and_saveexec_b32 s14, s1
	s_delay_alu instid0(SALU_CYCLE_1)
	s_xor_b32 s14, exec_lo, s14
; %bb.97:                               ;   in Loop: Header=BB52_95 Depth=1
	v_add_nc_u32_e32 v3, s3, v6
	s_mov_b32 s12, exec_lo
	s_delay_alu instid0(VALU_DEP_1)
	v_mad_u64_u32 v[1:2], null, v3, s29, v[0:1]
; %bb.98:                               ;   in Loop: Header=BB52_95 Depth=1
	s_or_b32 exec_lo, exec_lo, s14
	s_delay_alu instid0(SALU_CYCLE_1)
	s_and_b32 vcc_lo, exec_lo, s13
	s_cbranch_vccnz .LBB52_101
.LBB52_99:                              ;   in Loop: Header=BB52_95 Depth=1
	v_dual_mov_b32 v2, s13 :: v_dual_mov_b32 v3, s13
	s_and_saveexec_b32 s13, s12
	s_cbranch_execz .LBB52_94
	s_branch .LBB52_104
.LBB52_100:                             ;   in Loop: Header=BB52_95 Depth=1
	s_mov_b32 s13, -1
	s_mov_b32 s12, 0
                                        ; implicit-def: $vgpr1
	s_cbranch_execz .LBB52_99
.LBB52_101:                             ;   in Loop: Header=BB52_95 Depth=1
                                        ; implicit-def: $vgpr1
	s_and_saveexec_b32 s13, s1
; %bb.102:                              ;   in Loop: Header=BB52_95 Depth=1
	v_add_nc_u32_e32 v1, v4, v6
	s_or_b32 s12, s12, exec_lo
; %bb.103:                              ;   in Loop: Header=BB52_95 Depth=1
	s_or_b32 exec_lo, exec_lo, s13
	s_mov_b32 s13, 0
	s_delay_alu instid0(SALU_CYCLE_1)
	v_dual_mov_b32 v2, s13 :: v_dual_mov_b32 v3, s13
	s_and_saveexec_b32 s13, s12
	s_cbranch_execz .LBB52_94
.LBB52_104:                             ;   in Loop: Header=BB52_95 Depth=1
	v_ashrrev_i32_e32 v2, 31, v1
	s_delay_alu instid0(VALU_DEP_1) | instskip(NEXT) | instid1(VALU_DEP_1)
	v_lshlrev_b64 v[1:2], 3, v[1:2]
	v_add_co_u32 v1, vcc_lo, s18, v1
	s_delay_alu instid0(VALU_DEP_2)
	v_add_co_ci_u32_e32 v2, vcc_lo, s19, v2, vcc_lo
	global_load_b64 v[2:3], v[1:2], off
	s_branch .LBB52_94
.LBB52_105:
	s_or_b32 exec_lo, exec_lo, s2
; %bb.106:
	s_cmp_lt_i32 s29, 1
	s_waitcnt lgkmcnt(0)
	buffer_gl0_inv
	s_cbranch_scc1 .LBB52_125
; %bb.107:
	v_lshlrev_b32_e32 v1, 3, v0
	v_or_b32_e32 v2, v10, v0
	s_movk_i32 s1, 0x1100
	v_add3_u32 v5, v11, v12, 0x1980
	v_mad_u32_u24 v6, 0x88, v10, s1
	s_mov_b32 s3, 0
	v_cmp_ne_u32_e64 s1, 0, v2
	v_mov_b32_e32 v2, 0
	v_mad_u32_u24 v1, 0x88, v0, v1
	s_add_i32 s4, s16, s17
	s_delay_alu instid0(VALU_DEP_1)
	v_add_nc_u32_e32 v7, 0x1100, v1
	v_add_nc_u32_e32 v8, 0x1980, v1
	s_branch .LBB52_109
.LBB52_108:                             ;   in Loop: Header=BB52_109 Depth=1
	s_or_b32 exec_lo, exec_lo, s2
	v_add_nc_u32_e32 v6, 8, v6
	s_add_i32 s3, s3, 1
	s_waitcnt lgkmcnt(0)
	s_waitcnt_vscnt null, 0x0
	buffer_gl0_inv
	s_cmp_eq_u32 s3, s29
	s_cbranch_scc1 .LBB52_125
.LBB52_109:                             ; =>This Loop Header: Depth=1
                                        ;     Child Loop BB52_124 Depth 2
	s_mov_b32 s5, exec_lo
	v_cmpx_eq_u32_e64 s3, v0
	s_cbranch_execz .LBB52_117
; %bb.110:                              ;   in Loop: Header=BB52_109 Depth=1
	ds_load_b64 v[3:4], v7
	ds_load_b64 v[13:14], v8
	s_mov_b32 s2, exec_lo
	s_waitcnt lgkmcnt(0)
	v_sub_f32_e32 v1, v3, v13
	v_sub_f32_e32 v9, v4, v14
                                        ; implicit-def: $vgpr4
	s_delay_alu instid0(VALU_DEP_2) | instskip(SKIP_1) | instid1(VALU_DEP_3)
	v_cmp_gt_f32_e32 vcc_lo, 0, v1
	v_cndmask_b32_e64 v1, v1, -v1, vcc_lo
	v_cmp_gt_f32_e32 vcc_lo, 0, v9
	v_cndmask_b32_e64 v3, v9, -v9, vcc_lo
	s_delay_alu instid0(VALU_DEP_1)
	v_cmpx_ngt_f32_e32 v1, v3
	s_xor_b32 s12, exec_lo, s2
	s_cbranch_execz .LBB52_114
; %bb.111:                              ;   in Loop: Header=BB52_109 Depth=1
	v_mov_b32_e32 v4, 0
	s_mov_b32 s13, exec_lo
	v_cmpx_neq_f32_e32 0, v9
	s_cbranch_execz .LBB52_113
; %bb.112:                              ;   in Loop: Header=BB52_109 Depth=1
	v_div_scale_f32 v4, null, v3, v3, v1
	v_div_scale_f32 v14, vcc_lo, v1, v3, v1
	s_delay_alu instid0(VALU_DEP_2) | instskip(SKIP_2) | instid1(VALU_DEP_1)
	v_rcp_f32_e32 v9, v4
	s_waitcnt_depctr 0xfff
	v_fma_f32 v13, -v4, v9, 1.0
	v_fmac_f32_e32 v9, v13, v9
	s_delay_alu instid0(VALU_DEP_1) | instskip(NEXT) | instid1(VALU_DEP_1)
	v_mul_f32_e32 v13, v14, v9
	v_fma_f32 v15, -v4, v13, v14
	s_delay_alu instid0(VALU_DEP_1) | instskip(NEXT) | instid1(VALU_DEP_1)
	v_fmac_f32_e32 v13, v15, v9
	v_fma_f32 v4, -v4, v13, v14
	s_delay_alu instid0(VALU_DEP_1) | instskip(NEXT) | instid1(VALU_DEP_1)
	v_div_fmas_f32 v4, v4, v9, v13
	v_div_fixup_f32 v1, v4, v3, v1
	s_delay_alu instid0(VALU_DEP_1) | instskip(NEXT) | instid1(VALU_DEP_1)
	v_fma_f32 v1, v1, v1, 1.0
	v_mul_f32_e32 v4, 0x4f800000, v1
	v_cmp_gt_f32_e32 vcc_lo, 0xf800000, v1
	s_delay_alu instid0(VALU_DEP_2) | instskip(NEXT) | instid1(VALU_DEP_1)
	v_cndmask_b32_e32 v1, v1, v4, vcc_lo
	v_sqrt_f32_e32 v4, v1
	s_waitcnt_depctr 0xfff
	v_add_nc_u32_e32 v9, -1, v4
	v_add_nc_u32_e32 v13, 1, v4
	s_delay_alu instid0(VALU_DEP_2) | instskip(NEXT) | instid1(VALU_DEP_2)
	v_fma_f32 v14, -v9, v4, v1
	v_fma_f32 v15, -v13, v4, v1
	s_delay_alu instid0(VALU_DEP_2) | instskip(NEXT) | instid1(VALU_DEP_1)
	v_cmp_ge_f32_e64 s2, 0, v14
	v_cndmask_b32_e64 v4, v4, v9, s2
	s_delay_alu instid0(VALU_DEP_3) | instskip(NEXT) | instid1(VALU_DEP_1)
	v_cmp_lt_f32_e64 s2, 0, v15
	v_cndmask_b32_e64 v4, v4, v13, s2
	s_delay_alu instid0(VALU_DEP_1) | instskip(NEXT) | instid1(VALU_DEP_1)
	v_mul_f32_e32 v9, 0x37800000, v4
	v_cndmask_b32_e32 v4, v4, v9, vcc_lo
	v_cmp_class_f32_e64 vcc_lo, v1, 0x260
	s_delay_alu instid0(VALU_DEP_2) | instskip(NEXT) | instid1(VALU_DEP_1)
	v_cndmask_b32_e32 v1, v4, v1, vcc_lo
	v_mul_f32_e32 v4, v3, v1
.LBB52_113:                             ;   in Loop: Header=BB52_109 Depth=1
	s_or_b32 exec_lo, exec_lo, s13
                                        ; implicit-def: $vgpr1
                                        ; implicit-def: $vgpr3
.LBB52_114:                             ;   in Loop: Header=BB52_109 Depth=1
	s_and_not1_saveexec_b32 s12, s12
	s_cbranch_execz .LBB52_116
; %bb.115:                              ;   in Loop: Header=BB52_109 Depth=1
	v_div_scale_f32 v4, null, v1, v1, v3
	v_div_scale_f32 v14, vcc_lo, v3, v1, v3
	s_delay_alu instid0(VALU_DEP_2) | instskip(SKIP_2) | instid1(VALU_DEP_1)
	v_rcp_f32_e32 v9, v4
	s_waitcnt_depctr 0xfff
	v_fma_f32 v13, -v4, v9, 1.0
	v_fmac_f32_e32 v9, v13, v9
	s_delay_alu instid0(VALU_DEP_1) | instskip(NEXT) | instid1(VALU_DEP_1)
	v_mul_f32_e32 v13, v14, v9
	v_fma_f32 v15, -v4, v13, v14
	s_delay_alu instid0(VALU_DEP_1) | instskip(NEXT) | instid1(VALU_DEP_1)
	v_fmac_f32_e32 v13, v15, v9
	v_fma_f32 v4, -v4, v13, v14
	s_delay_alu instid0(VALU_DEP_1) | instskip(NEXT) | instid1(VALU_DEP_1)
	v_div_fmas_f32 v4, v4, v9, v13
	v_div_fixup_f32 v3, v4, v1, v3
	s_delay_alu instid0(VALU_DEP_1) | instskip(NEXT) | instid1(VALU_DEP_1)
	v_fma_f32 v3, v3, v3, 1.0
	v_mul_f32_e32 v4, 0x4f800000, v3
	v_cmp_gt_f32_e32 vcc_lo, 0xf800000, v3
	s_delay_alu instid0(VALU_DEP_2) | instskip(NEXT) | instid1(VALU_DEP_1)
	v_cndmask_b32_e32 v3, v3, v4, vcc_lo
	v_sqrt_f32_e32 v4, v3
	s_waitcnt_depctr 0xfff
	v_add_nc_u32_e32 v9, -1, v4
	v_add_nc_u32_e32 v13, 1, v4
	s_delay_alu instid0(VALU_DEP_2) | instskip(NEXT) | instid1(VALU_DEP_2)
	v_fma_f32 v14, -v9, v4, v3
	v_fma_f32 v15, -v13, v4, v3
	s_delay_alu instid0(VALU_DEP_2) | instskip(NEXT) | instid1(VALU_DEP_1)
	v_cmp_ge_f32_e64 s2, 0, v14
	v_cndmask_b32_e64 v4, v4, v9, s2
	s_delay_alu instid0(VALU_DEP_3) | instskip(NEXT) | instid1(VALU_DEP_1)
	v_cmp_lt_f32_e64 s2, 0, v15
	v_cndmask_b32_e64 v4, v4, v13, s2
	s_delay_alu instid0(VALU_DEP_1) | instskip(NEXT) | instid1(VALU_DEP_1)
	v_mul_f32_e32 v9, 0x37800000, v4
	v_cndmask_b32_e32 v4, v4, v9, vcc_lo
	v_cmp_class_f32_e64 vcc_lo, v3, 0x260
	s_delay_alu instid0(VALU_DEP_2) | instskip(NEXT) | instid1(VALU_DEP_1)
	v_cndmask_b32_e32 v3, v4, v3, vcc_lo
	v_mul_f32_e32 v4, v1, v3
.LBB52_116:                             ;   in Loop: Header=BB52_109 Depth=1
	s_or_b32 exec_lo, exec_lo, s12
	s_delay_alu instid0(VALU_DEP_1) | instskip(SKIP_1) | instid1(VALU_DEP_2)
	v_mul_f32_e32 v1, 0x4f800000, v4
	v_cmp_gt_f32_e32 vcc_lo, 0xf800000, v4
	v_cndmask_b32_e32 v1, v4, v1, vcc_lo
	s_delay_alu instid0(VALU_DEP_1) | instskip(SKIP_3) | instid1(VALU_DEP_2)
	v_sqrt_f32_e32 v3, v1
	s_waitcnt_depctr 0xfff
	v_add_nc_u32_e32 v4, -1, v3
	v_add_nc_u32_e32 v9, 1, v3
	v_fma_f32 v13, -v4, v3, v1
	s_delay_alu instid0(VALU_DEP_2) | instskip(NEXT) | instid1(VALU_DEP_2)
	v_fma_f32 v14, -v9, v3, v1
	v_cmp_ge_f32_e64 s2, 0, v13
	s_delay_alu instid0(VALU_DEP_1) | instskip(NEXT) | instid1(VALU_DEP_3)
	v_cndmask_b32_e64 v3, v3, v4, s2
	v_cmp_lt_f32_e64 s2, 0, v14
	s_delay_alu instid0(VALU_DEP_1) | instskip(NEXT) | instid1(VALU_DEP_1)
	v_cndmask_b32_e64 v3, v3, v9, s2
	v_mul_f32_e32 v4, 0x37800000, v3
	s_delay_alu instid0(VALU_DEP_1) | instskip(SKIP_1) | instid1(VALU_DEP_2)
	v_cndmask_b32_e32 v3, v3, v4, vcc_lo
	v_cmp_class_f32_e64 vcc_lo, v1, 0x260
	v_cndmask_b32_e32 v1, v3, v1, vcc_lo
	ds_store_b64 v7, v[1:2]
.LBB52_117:                             ;   in Loop: Header=BB52_109 Depth=1
	s_or_b32 exec_lo, exec_lo, s5
	s_lshl_b32 s2, s3, 3
	s_mul_i32 s5, s3, 0x88
	s_waitcnt lgkmcnt(0)
	buffer_gl0_inv
	s_add_i32 s5, s5, s2
	s_delay_alu instid0(SALU_CYCLE_1)
	v_mov_b32_e32 v1, s5
	ds_load_b64 v[14:15], v1 offset:4352
	v_mad_u32_u24 v1, 0x88, v0, s2
	ds_load_b64 v[3:4], v1 offset:4352
	s_waitcnt lgkmcnt(1)
	v_cmp_neq_f32_e32 vcc_lo, 0, v14
	v_cmp_neq_f32_e64 s2, 0, v15
	s_delay_alu instid0(VALU_DEP_1) | instskip(SKIP_3) | instid1(SALU_CYCLE_1)
	s_or_b32 vcc_lo, vcc_lo, s2
	v_cndmask_b32_e32 v13, 0, v15, vcc_lo
	v_cndmask_b32_e32 v9, 1.0, v14, vcc_lo
	s_or_b32 s2, vcc_lo, s1
	s_xor_b32 s5, s2, -1
	s_delay_alu instid0(SALU_CYCLE_1)
	s_and_saveexec_b32 s2, s5
	s_cbranch_execz .LBB52_121
; %bb.118:                              ;   in Loop: Header=BB52_109 Depth=1
	v_mbcnt_lo_u32_b32 v9, exec_lo, 0
	s_mov_b32 s5, exec_lo
	s_delay_alu instid0(VALU_DEP_1)
	v_cmpx_eq_u32_e32 0, v9
	s_cbranch_execz .LBB52_120
; %bb.119:                              ;   in Loop: Header=BB52_109 Depth=1
	v_mov_b32_e32 v9, s4
	global_atomic_min_i32 v2, v9, s[10:11]
.LBB52_120:                             ;   in Loop: Header=BB52_109 Depth=1
	s_or_b32 exec_lo, exec_lo, s5
	v_mov_b32_e32 v13, 0
	v_mov_b32_e32 v9, 1.0
.LBB52_121:                             ;   in Loop: Header=BB52_109 Depth=1
	s_or_b32 exec_lo, exec_lo, s2
	s_delay_alu instid0(SALU_CYCLE_1)
	s_mov_b32 s2, exec_lo
	v_cmpx_lt_u32_e64 s3, v0
	s_cbranch_execz .LBB52_108
; %bb.122:                              ;   in Loop: Header=BB52_109 Depth=1
	v_lshl_add_u32 v14, s3, 3, v11
	v_mul_f32_e32 v16, v13, v13
	v_add_nc_u32_e32 v1, 0x1100, v1
	ds_load_b64 v[14:15], v14 offset:6528
	s_waitcnt lgkmcnt(0)
	v_dual_fmac_f32 v16, v9, v9 :: v_dual_sub_f32 v3, v3, v14
	s_delay_alu instid0(VALU_DEP_1) | instskip(SKIP_2) | instid1(VALU_DEP_3)
	v_div_scale_f32 v17, null, v16, v16, 1.0
	v_sub_f32_e32 v4, v4, v15
	v_div_scale_f32 v20, vcc_lo, 1.0, v16, 1.0
	v_rcp_f32_e32 v18, v17
	s_delay_alu instid0(VALU_DEP_2) | instskip(SKIP_1) | instid1(VALU_DEP_2)
	v_mul_f32_e32 v14, v13, v4
	v_mul_f32_e64 v13, v13, -v3
	v_fmac_f32_e32 v14, v3, v9
	s_delay_alu instid0(VALU_DEP_2) | instskip(SKIP_2) | instid1(VALU_DEP_1)
	v_fmac_f32_e32 v13, v4, v9
	s_waitcnt_depctr 0xfff
	v_fma_f32 v19, -v17, v18, 1.0
	v_fmac_f32_e32 v18, v19, v18
	s_delay_alu instid0(VALU_DEP_1) | instskip(NEXT) | instid1(VALU_DEP_1)
	v_mul_f32_e32 v19, v20, v18
	v_fma_f32 v21, -v17, v19, v20
	s_delay_alu instid0(VALU_DEP_1) | instskip(NEXT) | instid1(VALU_DEP_1)
	v_fmac_f32_e32 v19, v21, v18
	v_fma_f32 v15, -v17, v19, v20
	s_delay_alu instid0(VALU_DEP_1) | instskip(NEXT) | instid1(VALU_DEP_1)
	v_div_fmas_f32 v15, v15, v18, v19
	v_div_fixup_f32 v15, v15, v16, 1.0
	s_delay_alu instid0(VALU_DEP_1)
	v_mul_f32_e32 v3, v15, v14
	v_mul_f32_e32 v4, v15, v13
	ds_store_b64 v1, v[3:4]
	s_waitcnt lgkmcnt(0)
	s_waitcnt_vscnt null, 0x0
	buffer_gl0_inv
	s_and_b32 exec_lo, exec_lo, s0
	s_cbranch_execz .LBB52_108
; %bb.123:                              ;   in Loop: Header=BB52_109 Depth=1
	v_mov_b32_e32 v1, v5
	v_mov_b32_e32 v9, v6
	;; [unrolled: 1-line block ×3, first 2 shown]
	s_mov_b32 s5, 0
	.p2align	6
.LBB52_124:                             ;   Parent Loop BB52_109 Depth=1
                                        ; =>  This Inner Loop Header: Depth=2
	ds_load_b64 v[14:15], v9
	ds_load_b64 v[16:17], v1
	v_add_nc_u32_e32 v9, 0x220, v9
	s_waitcnt lgkmcnt(0)
	v_fma_f32 v16, v3, v14, v16
	v_fmac_f32_e32 v17, v4, v14
	s_delay_alu instid0(VALU_DEP_2) | instskip(NEXT) | instid1(VALU_DEP_2)
	v_dual_fmac_f32 v16, v4, v15 :: v_dual_add_nc_u32 v13, 4, v13
	v_fma_f32 v17, v3, -v15, v17
	s_delay_alu instid0(VALU_DEP_2) | instskip(SKIP_3) | instid1(SALU_CYCLE_1)
	v_cmp_le_i32_e32 vcc_lo, s29, v13
	ds_store_b64 v1, v[16:17]
	v_add_nc_u32_e32 v1, 32, v1
	s_or_b32 s5, vcc_lo, s5
	s_and_not1_b32 exec_lo, exec_lo, s5
	s_cbranch_execnz .LBB52_124
	s_branch .LBB52_108
.LBB52_125:
	s_and_saveexec_b32 s1, s0
	s_cbranch_execz .LBB52_134
; %bb.126:
	s_mul_i32 s28, s28, s29
	v_cmp_gt_i32_e64 s0, s29, v0
	v_add_nc_u32_e32 v1, s28, v0
	v_add3_u32 v4, v11, v12, 0x1100
	v_mov_b32_e32 v5, v10
	s_cmp_lg_u32 s30, 0
	s_mov_b32 s2, 0
	v_mul_lo_u32 v3, v1, s29
	s_cselect_b32 s3, -1, 0
	s_set_inst_prefetch_distance 0x1
	s_branch .LBB52_129
	.p2align	6
.LBB52_127:                             ;   in Loop: Header=BB52_129 Depth=1
	ds_load_b64 v[6:7], v4
	v_ashrrev_i32_e32 v2, 31, v1
	s_delay_alu instid0(VALU_DEP_1) | instskip(NEXT) | instid1(VALU_DEP_1)
	v_lshlrev_b64 v[1:2], 3, v[1:2]
	v_add_co_u32 v1, vcc_lo, s18, v1
	s_delay_alu instid0(VALU_DEP_2)
	v_add_co_ci_u32_e32 v2, vcc_lo, s19, v2, vcc_lo
	s_waitcnt lgkmcnt(0)
	global_store_b64 v[1:2], v[6:7], off
.LBB52_128:                             ;   in Loop: Header=BB52_129 Depth=1
	s_or_b32 exec_lo, exec_lo, s4
	v_add_nc_u32_e32 v5, 4, v5
	v_add_nc_u32_e32 v4, 32, v4
	s_delay_alu instid0(VALU_DEP_2) | instskip(SKIP_1) | instid1(SALU_CYCLE_1)
	v_cmp_le_i32_e32 vcc_lo, s29, v5
	s_or_b32 s2, vcc_lo, s2
	s_and_not1_b32 exec_lo, exec_lo, s2
	s_cbranch_execz .LBB52_134
.LBB52_129:                             ; =>This Inner Loop Header: Depth=1
	s_and_saveexec_b32 s4, s0
	s_cbranch_execz .LBB52_128
; %bb.130:                              ;   in Loop: Header=BB52_129 Depth=1
	s_and_b32 vcc_lo, exec_lo, s3
	s_cbranch_vccz .LBB52_132
; %bb.131:                              ;   in Loop: Header=BB52_129 Depth=1
	v_add_nc_u32_e32 v6, s28, v5
	s_delay_alu instid0(VALU_DEP_1)
	v_mad_u64_u32 v[1:2], null, v6, s29, v[0:1]
	s_cbranch_execnz .LBB52_127
	s_branch .LBB52_133
.LBB52_132:                             ;   in Loop: Header=BB52_129 Depth=1
                                        ; implicit-def: $vgpr1
.LBB52_133:                             ;   in Loop: Header=BB52_129 Depth=1
	v_add_nc_u32_e32 v1, v3, v5
	s_branch .LBB52_127
.LBB52_134:
	s_set_inst_prefetch_distance 0x2
	s_or_b32 exec_lo, exec_lo, s1
	v_or_b32_e32 v1, v10, v0
	s_delay_alu instid0(VALU_DEP_1)
	v_cmp_eq_u32_e64 s3, 0, v1
.LBB52_135:
	s_delay_alu instid0(VALU_DEP_1)
	s_and_saveexec_b32 s0, s3
	s_cbranch_execnz .LBB52_143
.LBB52_136:
	s_nop 0
	s_sendmsg sendmsg(MSG_DEALLOC_VGPRS)
	s_endpgm
.LBB52_137:
	s_cbranch_execz .LBB52_135
; %bb.138:
	v_or_b32_e32 v0, v10, v0
	s_mov_b32 s0, exec_lo
	s_delay_alu instid0(VALU_DEP_1)
	v_cmpx_eq_u32_e32 0, v0
	s_cbranch_execz .LBB52_142
; %bb.139:
	v_mbcnt_lo_u32_b32 v0, exec_lo, 0
	s_mov_b32 s1, exec_lo
	s_delay_alu instid0(VALU_DEP_1)
	v_cmpx_eq_u32_e32 0, v0
	s_cbranch_execz .LBB52_141
; %bb.140:
	s_add_i32 s2, s16, s17
	s_delay_alu instid0(SALU_CYCLE_1)
	v_dual_mov_b32 v0, 0 :: v_dual_mov_b32 v1, s2
	global_atomic_min_i32 v0, v1, s[10:11]
.LBB52_141:
	s_or_b32 exec_lo, exec_lo, s1
	s_delay_alu instid0(SALU_CYCLE_1)
	s_or_b32 s3, s3, exec_lo
.LBB52_142:
	s_or_b32 exec_lo, exec_lo, s0
	s_and_saveexec_b32 s0, s3
	s_cbranch_execz .LBB52_136
.LBB52_143:
	v_dual_mov_b32 v0, 0 :: v_dual_mov_b32 v1, 1
	s_add_u32 s0, s6, s8
	s_addc_u32 s1, s7, s9
	s_waitcnt_vscnt null, 0x0
	global_store_b32 v0, v1, s[0:1]
	s_nop 0
	s_sendmsg sendmsg(MSG_DEALLOC_VGPRS)
	s_endpgm
	.section	.rodata,"a",@progbits
	.p2align	6, 0x0
	.amdhsa_kernel _ZN9rocsparseL18bsric0_9_16_kernelILi64ELi64ELi16E21rocsparse_complex_numIfEEEv20rocsparse_direction_iiPKiS5_PT2_S5_PiS5_S8_21rocsparse_index_base_
		.amdhsa_group_segment_fixed_size 9472
		.amdhsa_private_segment_fixed_size 0
		.amdhsa_kernarg_size 76
		.amdhsa_user_sgpr_count 15
		.amdhsa_user_sgpr_dispatch_ptr 0
		.amdhsa_user_sgpr_queue_ptr 0
		.amdhsa_user_sgpr_kernarg_segment_ptr 1
		.amdhsa_user_sgpr_dispatch_id 0
		.amdhsa_user_sgpr_private_segment_size 0
		.amdhsa_wavefront_size32 1
		.amdhsa_uses_dynamic_stack 0
		.amdhsa_enable_private_segment 0
		.amdhsa_system_sgpr_workgroup_id_x 1
		.amdhsa_system_sgpr_workgroup_id_y 0
		.amdhsa_system_sgpr_workgroup_id_z 0
		.amdhsa_system_sgpr_workgroup_info 0
		.amdhsa_system_vgpr_workitem_id 1
		.amdhsa_next_free_vgpr 29
		.amdhsa_next_free_sgpr 44
		.amdhsa_reserve_vcc 1
		.amdhsa_float_round_mode_32 0
		.amdhsa_float_round_mode_16_64 0
		.amdhsa_float_denorm_mode_32 3
		.amdhsa_float_denorm_mode_16_64 3
		.amdhsa_dx10_clamp 1
		.amdhsa_ieee_mode 1
		.amdhsa_fp16_overflow 0
		.amdhsa_workgroup_processor_mode 1
		.amdhsa_memory_ordered 1
		.amdhsa_forward_progress 0
		.amdhsa_shared_vgpr_count 0
		.amdhsa_exception_fp_ieee_invalid_op 0
		.amdhsa_exception_fp_denorm_src 0
		.amdhsa_exception_fp_ieee_div_zero 0
		.amdhsa_exception_fp_ieee_overflow 0
		.amdhsa_exception_fp_ieee_underflow 0
		.amdhsa_exception_fp_ieee_inexact 0
		.amdhsa_exception_int_div_zero 0
	.end_amdhsa_kernel
	.section	.text._ZN9rocsparseL18bsric0_9_16_kernelILi64ELi64ELi16E21rocsparse_complex_numIfEEEv20rocsparse_direction_iiPKiS5_PT2_S5_PiS5_S8_21rocsparse_index_base_,"axG",@progbits,_ZN9rocsparseL18bsric0_9_16_kernelILi64ELi64ELi16E21rocsparse_complex_numIfEEEv20rocsparse_direction_iiPKiS5_PT2_S5_PiS5_S8_21rocsparse_index_base_,comdat
.Lfunc_end52:
	.size	_ZN9rocsparseL18bsric0_9_16_kernelILi64ELi64ELi16E21rocsparse_complex_numIfEEEv20rocsparse_direction_iiPKiS5_PT2_S5_PiS5_S8_21rocsparse_index_base_, .Lfunc_end52-_ZN9rocsparseL18bsric0_9_16_kernelILi64ELi64ELi16E21rocsparse_complex_numIfEEEv20rocsparse_direction_iiPKiS5_PT2_S5_PiS5_S8_21rocsparse_index_base_
                                        ; -- End function
	.section	.AMDGPU.csdata,"",@progbits
; Kernel info:
; codeLenInByte = 5104
; NumSgprs: 46
; NumVgprs: 29
; ScratchSize: 0
; MemoryBound: 0
; FloatMode: 240
; IeeeMode: 1
; LDSByteSize: 9472 bytes/workgroup (compile time only)
; SGPRBlocks: 5
; VGPRBlocks: 3
; NumSGPRsForWavesPerEU: 46
; NumVGPRsForWavesPerEU: 29
; Occupancy: 7
; WaveLimiterHint : 1
; COMPUTE_PGM_RSRC2:SCRATCH_EN: 0
; COMPUTE_PGM_RSRC2:USER_SGPR: 15
; COMPUTE_PGM_RSRC2:TRAP_HANDLER: 0
; COMPUTE_PGM_RSRC2:TGID_X_EN: 1
; COMPUTE_PGM_RSRC2:TGID_Y_EN: 0
; COMPUTE_PGM_RSRC2:TGID_Z_EN: 0
; COMPUTE_PGM_RSRC2:TIDIG_COMP_CNT: 1
	.section	.text._ZN9rocsparseL19bsric0_17_32_kernelILi64ELi64ELi32E21rocsparse_complex_numIfEEEv20rocsparse_direction_iiPKiS5_PT2_S5_PiS5_S8_21rocsparse_index_base_,"axG",@progbits,_ZN9rocsparseL19bsric0_17_32_kernelILi64ELi64ELi32E21rocsparse_complex_numIfEEEv20rocsparse_direction_iiPKiS5_PT2_S5_PiS5_S8_21rocsparse_index_base_,comdat
	.globl	_ZN9rocsparseL19bsric0_17_32_kernelILi64ELi64ELi32E21rocsparse_complex_numIfEEEv20rocsparse_direction_iiPKiS5_PT2_S5_PiS5_S8_21rocsparse_index_base_ ; -- Begin function _ZN9rocsparseL19bsric0_17_32_kernelILi64ELi64ELi32E21rocsparse_complex_numIfEEEv20rocsparse_direction_iiPKiS5_PT2_S5_PiS5_S8_21rocsparse_index_base_
	.p2align	8
	.type	_ZN9rocsparseL19bsric0_17_32_kernelILi64ELi64ELi32E21rocsparse_complex_numIfEEEv20rocsparse_direction_iiPKiS5_PT2_S5_PiS5_S8_21rocsparse_index_base_,@function
_ZN9rocsparseL19bsric0_17_32_kernelILi64ELi64ELi32E21rocsparse_complex_numIfEEEv20rocsparse_direction_iiPKiS5_PT2_S5_PiS5_S8_21rocsparse_index_base_: ; @_ZN9rocsparseL19bsric0_17_32_kernelILi64ELi64ELi32E21rocsparse_complex_numIfEEEv20rocsparse_direction_iiPKiS5_PT2_S5_PiS5_S8_21rocsparse_index_base_
; %bb.0:
	s_load_b256 s[4:11], s[0:1], 0x28
	s_mov_b32 s2, s15
	s_mov_b32 s3, 0
	v_and_b32_e32 v10, 0x3ff, v0
	s_lshl_b64 s[12:13], s[2:3], 2
	v_bfe_u32 v0, v0, 10, 10
	s_waitcnt lgkmcnt(0)
	s_add_u32 s8, s8, s12
	s_addc_u32 s9, s9, s13
	s_load_b32 s16, s[8:9], 0x0
	s_waitcnt lgkmcnt(0)
	s_ashr_i32 s17, s16, 31
	s_delay_alu instid0(SALU_CYCLE_1) | instskip(NEXT) | instid1(SALU_CYCLE_1)
	s_lshl_b64 s[8:9], s[16:17], 2
	s_add_u32 s12, s4, s8
	s_addc_u32 s13, s5, s9
	s_load_b32 s28, s[12:13], 0x0
	s_load_b32 s17, s[0:1], 0x48
	s_waitcnt lgkmcnt(0)
	s_cmp_lg_u32 s28, -1
	s_cbranch_scc0 .LBB53_125
; %bb.1:
	s_clause 0x1
	s_load_b128 s[12:15], s[0:1], 0x10
	s_load_b64 s[18:19], s[0:1], 0x20
	v_lshlrev_b32_e32 v1, 1, v0
	v_lshlrev_b32_e32 v13, 3, v0
	s_waitcnt lgkmcnt(0)
	s_add_u32 s2, s12, s8
	s_addc_u32 s3, s13, s9
	s_load_b32 s2, s[2:3], 0x0
	s_waitcnt lgkmcnt(0)
	s_sub_i32 s31, s2, s17
	s_mov_b32 s2, exec_lo
	v_add3_u32 v1, v1, v10, s31
	s_delay_alu instid0(VALU_DEP_1)
	v_cmpx_ge_i32_e64 s28, v1
	s_cbranch_execz .LBB53_4
; %bb.2:
	v_lshlrev_b32_e32 v2, 2, v10
	s_mov_b32 s3, 0
	s_delay_alu instid0(VALU_DEP_1)
	v_add3_u32 v3, v13, v2, 0x6500
	.p2align	6
.LBB53_3:                               ; =>This Inner Loop Header: Depth=1
	v_ashrrev_i32_e32 v2, 31, v1
	s_delay_alu instid0(VALU_DEP_1) | instskip(SKIP_1) | instid1(VALU_DEP_2)
	v_lshlrev_b64 v[4:5], 2, v[1:2]
	v_add_nc_u32_e32 v1, 64, v1
	v_add_co_u32 v4, vcc_lo, s14, v4
	s_delay_alu instid0(VALU_DEP_3) | instskip(NEXT) | instid1(VALU_DEP_3)
	v_add_co_ci_u32_e32 v5, vcc_lo, s15, v5, vcc_lo
	v_cmp_lt_i32_e32 vcc_lo, s28, v1
	global_load_b32 v2, v[4:5], off
	s_or_b32 s3, vcc_lo, s3
	s_waitcnt vmcnt(0)
	v_subrev_nc_u32_e32 v2, s17, v2
	ds_store_b32 v3, v2
	v_add_nc_u32_e32 v3, 0x100, v3
	s_and_not1_b32 exec_lo, exec_lo, s3
	s_cbranch_execnz .LBB53_3
.LBB53_4:
	s_or_b32 exec_lo, exec_lo, s2
	v_mul_u32_u24_e32 v11, 0x108, v0
	v_lshlrev_b32_e32 v12, 3, v10
	s_mov_b32 s2, exec_lo
	v_cmpx_gt_u32_e32 32, v10
	s_cbranch_execz .LBB53_7
; %bb.5:
	v_mov_b32_e32 v1, 0
	v_add_nc_u32_e32 v3, -2, v10
	v_add3_u32 v4, v11, v12, 0x4200
	s_mov_b32 s3, 0
	s_delay_alu instid0(VALU_DEP_3)
	v_mov_b32_e32 v2, v1
.LBB53_6:                               ; =>This Inner Loop Header: Depth=1
	s_delay_alu instid0(VALU_DEP_3) | instskip(SKIP_4) | instid1(SALU_CYCLE_1)
	v_add_nc_u32_e32 v3, 2, v3
	ds_store_b64 v4, v[1:2]
	v_add_nc_u32_e32 v4, 16, v4
	v_cmp_lt_u32_e32 vcc_lo, 29, v3
	s_or_b32 s3, vcc_lo, s3
	s_and_not1_b32 exec_lo, exec_lo, s3
	s_cbranch_execnz .LBB53_6
.LBB53_7:
	s_or_b32 exec_lo, exec_lo, s2
	s_clause 0x1
	s_load_b32 s29, s[0:1], 0x8
	s_load_b32 s30, s[0:1], 0x0
	s_cmp_ge_i32 s31, s28
	s_waitcnt lgkmcnt(0)
	buffer_gl0_inv
	v_cmp_gt_i32_e64 s0, s29, v10
	s_cbranch_scc1 .LBB53_80
; %bb.8:
	v_mad_u64_u32 v[1:2], null, s29, s31, v[0:1]
	v_or_b32_e32 v2, v10, v0
	v_mad_u32_u24 v15, 0x108, v0, v12
	s_cmp_eq_u32 s30, 0
	v_mul_lo_u32 v14, v0, s29
	v_mul_lo_u32 v16, v10, s29
	s_movk_i32 s3, 0x2100
	v_mul_lo_u32 v18, s29, v1
	s_cselect_b32 s33, -1, 0
	s_cmp_lg_u32 s30, 0
	v_cmp_gt_i32_e64 s1, s29, v0
	v_cmp_ne_u32_e64 s2, 0, v2
	v_mad_u32_u24 v17, 0x108, v0, s3
	v_mad_u32_u24 v19, 0x108, v10, s3
	v_dual_mov_b32 v1, 0 :: v_dual_add_nc_u32 v20, 0x4200, v15
	v_add_nc_u32_e32 v21, 0x2100, v15
	s_cselect_b32 s34, -1, 0
	s_cmp_gt_i32 s29, 0
	s_mul_i32 s36, s29, s29
	s_cselect_b32 s35, -1, 0
	s_lshl_b32 s37, s29, 1
	s_mov_b32 s20, s31
	s_branch .LBB53_10
.LBB53_9:                               ;   in Loop: Header=BB53_10 Depth=1
	s_set_inst_prefetch_distance 0x2
	s_or_b32 exec_lo, exec_lo, s3
	s_add_i32 s20, s20, 1
	v_add_nc_u32_e32 v18, s36, v18
	s_cmp_ge_i32 s20, s28
	s_waitcnt_vscnt null, 0x0
	buffer_gl1_inv
	buffer_gl0_inv
	s_cselect_b32 s3, -1, 0
	s_delay_alu instid0(SALU_CYCLE_1)
	s_and_b32 vcc_lo, exec_lo, s3
	s_cbranch_vccnz .LBB53_80
.LBB53_10:                              ; =>This Loop Header: Depth=1
                                        ;     Child Loop BB53_14 Depth 2
                                        ;     Child Loop BB53_27 Depth 2
	;; [unrolled: 1-line block ×4, first 2 shown]
                                        ;       Child Loop BB53_45 Depth 3
                                        ;     Child Loop BB53_58 Depth 2
                                        ;       Child Loop BB53_65 Depth 3
                                        ;       Child Loop BB53_69 Depth 3
                                        ;     Child Loop BB53_74 Depth 2
	s_ashr_i32 s21, s20, 31
	s_delay_alu instid0(SALU_CYCLE_1) | instskip(NEXT) | instid1(SALU_CYCLE_1)
	s_lshl_b64 s[22:23], s[20:21], 2
	s_add_u32 s22, s14, s22
	s_addc_u32 s23, s15, s23
	s_load_b32 s38, s[22:23], 0x0
	s_waitcnt lgkmcnt(0)
	s_sub_i32 s24, s38, s17
	s_delay_alu instid0(SALU_CYCLE_1) | instskip(NEXT) | instid1(SALU_CYCLE_1)
	s_ashr_i32 s25, s24, 31
	s_lshl_b64 s[22:23], s[24:25], 2
	s_delay_alu instid0(SALU_CYCLE_1)
	s_add_u32 s26, s4, s22
	s_addc_u32 s27, s5, s23
	s_load_b32 s3, s[26:27], 0x0
	s_waitcnt lgkmcnt(0)
	s_cmp_eq_u32 s3, -1
	s_cbranch_scc1 .LBB53_79
; %bb.11:                               ;   in Loop: Header=BB53_10 Depth=1
	s_add_u32 s26, s12, s22
	s_addc_u32 s27, s13, s23
	s_mul_i32 s21, s20, s29
	s_load_b32 s25, s[26:27], 0x0
	s_and_saveexec_b32 s26, s0
	s_cbranch_execz .LBB53_24
; %bb.12:                               ;   in Loop: Header=BB53_10 Depth=1
	v_dual_mov_b32 v5, v15 :: v_dual_mov_b32 v6, v10
	s_mov_b32 s27, 0
	s_branch .LBB53_14
.LBB53_13:                              ;   in Loop: Header=BB53_14 Depth=2
	s_or_b32 exec_lo, exec_lo, s40
	v_add_nc_u32_e32 v6, 2, v6
	v_mov_b32_e32 v2, v1
	s_waitcnt vmcnt(0)
	ds_store_b64 v5, v[3:4] offset:8448
	ds_store_b64 v5, v[1:2]
	v_add_nc_u32_e32 v5, 16, v5
	v_cmp_le_i32_e32 vcc_lo, s29, v6
	s_or_b32 s27, vcc_lo, s27
	s_delay_alu instid0(SALU_CYCLE_1)
	s_and_not1_b32 exec_lo, exec_lo, s27
	s_cbranch_execz .LBB53_24
.LBB53_14:                              ;   Parent Loop BB53_10 Depth=1
                                        ; =>  This Inner Loop Header: Depth=2
	s_and_b32 vcc_lo, exec_lo, s34
	s_cbranch_vccz .LBB53_18
; %bb.15:                               ;   in Loop: Header=BB53_14 Depth=2
	s_mov_b32 s40, 0
	s_mov_b32 s39, 0
                                        ; implicit-def: $vgpr2
	s_and_saveexec_b32 s41, s1
	s_delay_alu instid0(SALU_CYCLE_1)
	s_xor_b32 s41, exec_lo, s41
; %bb.16:                               ;   in Loop: Header=BB53_14 Depth=2
	v_add_nc_u32_e32 v4, s21, v6
	s_mov_b32 s39, exec_lo
	s_delay_alu instid0(VALU_DEP_1)
	v_mad_u64_u32 v[2:3], null, v4, s29, v[0:1]
; %bb.17:                               ;   in Loop: Header=BB53_14 Depth=2
	s_or_b32 exec_lo, exec_lo, s41
	s_delay_alu instid0(SALU_CYCLE_1)
	s_and_b32 vcc_lo, exec_lo, s40
	s_cbranch_vccnz .LBB53_19
	s_branch .LBB53_22
.LBB53_18:                              ;   in Loop: Header=BB53_14 Depth=2
	s_mov_b32 s40, -1
	s_mov_b32 s39, 0
                                        ; implicit-def: $vgpr2
	s_cbranch_execz .LBB53_22
.LBB53_19:                              ;   in Loop: Header=BB53_14 Depth=2
                                        ; implicit-def: $vgpr2
	s_and_saveexec_b32 s40, s1
; %bb.20:                               ;   in Loop: Header=BB53_14 Depth=2
	v_add_nc_u32_e32 v2, v18, v6
	s_or_b32 s39, s39, exec_lo
; %bb.21:                               ;   in Loop: Header=BB53_14 Depth=2
	s_or_b32 exec_lo, exec_lo, s40
	s_mov_b32 s40, 0
.LBB53_22:                              ;   in Loop: Header=BB53_14 Depth=2
	s_delay_alu instid0(SALU_CYCLE_1)
	v_dual_mov_b32 v3, s40 :: v_dual_mov_b32 v4, s40
	s_and_saveexec_b32 s40, s39
	s_cbranch_execz .LBB53_13
; %bb.23:                               ;   in Loop: Header=BB53_14 Depth=2
	v_ashrrev_i32_e32 v3, 31, v2
	s_delay_alu instid0(VALU_DEP_1) | instskip(NEXT) | instid1(VALU_DEP_1)
	v_lshlrev_b64 v[2:3], 3, v[2:3]
	v_add_co_u32 v2, vcc_lo, s18, v2
	s_delay_alu instid0(VALU_DEP_2)
	v_add_co_ci_u32_e32 v3, vcc_lo, s19, v3, vcc_lo
	global_load_b64 v[3:4], v[2:3], off
	s_branch .LBB53_13
.LBB53_24:                              ;   in Loop: Header=BB53_10 Depth=1
	s_or_b32 exec_lo, exec_lo, s26
; %bb.25:                               ;   in Loop: Header=BB53_10 Depth=1
	ds_load_b32 v2, v1 offset:25856
	s_waitcnt lgkmcnt(0)
	s_sub_i32 s26, s25, s17
	s_mov_b32 s27, 0
	s_cmp_le_i32 s26, s3
	s_cselect_b32 s25, -1, 0
	v_cmp_ge_i32_e32 vcc_lo, s24, v2
	s_and_b32 s25, s25, vcc_lo
	s_delay_alu instid0(SALU_CYCLE_1)
	s_and_not1_b32 vcc_lo, exec_lo, s25
	s_cbranch_vccnz .LBB53_37
; %bb.26:                               ;   in Loop: Header=BB53_10 Depth=1
	s_mov_b32 s25, 0
	s_mov_b32 s39, 0
.LBB53_27:                              ;   Parent Loop BB53_10 Depth=1
                                        ; =>  This Inner Loop Header: Depth=2
	s_ashr_i32 s27, s26, 31
	s_mov_b32 s43, -1
	s_lshl_b64 s[40:41], s[26:27], 2
                                        ; implicit-def: $sgpr42
	s_delay_alu instid0(SALU_CYCLE_1) | instskip(SKIP_2) | instid1(SALU_CYCLE_1)
	s_add_u32 s40, s14, s40
	s_addc_u32 s41, s15, s41
	s_lshl_b32 s27, s39, 2
	v_mov_b32_e32 v2, s27
	s_load_b32 s27, s[40:41], 0x0
                                        ; implicit-def: $sgpr41
	ds_load_b32 v2, v2 offset:25856
	s_waitcnt lgkmcnt(0)
	s_sub_i32 s44, s27, s17
                                        ; implicit-def: $sgpr27
	s_delay_alu instid0(SALU_CYCLE_1)
	v_cmp_ge_i32_e32 vcc_lo, s44, v2
	v_readfirstlane_b32 s40, v2
	s_cbranch_vccz .LBB53_33
; %bb.28:                               ;   in Loop: Header=BB53_27 Depth=2
	s_delay_alu instid0(VALU_DEP_1)
	s_cmp_le_i32 s44, s40
                                        ; implicit-def: $sgpr27
                                        ; implicit-def: $sgpr42
                                        ; implicit-def: $sgpr41
	s_cbranch_scc0 .LBB53_30
; %bb.29:                               ;   in Loop: Header=BB53_27 Depth=2
	s_add_i32 s27, s39, s31
	s_lshl_b32 s41, s25, 2
	s_mul_i32 s27, s27, s36
	s_delay_alu instid0(SALU_CYCLE_1)
	v_dual_mov_b32 v2, s41 :: v_dual_mov_b32 v3, s27
	s_mul_i32 s41, s26, s36
	s_add_i32 s42, s26, 1
	v_mov_b32_e32 v4, s41
	s_add_i32 s41, s39, 1
	s_add_i32 s27, s25, 1
	s_mov_b32 s43, 0
	ds_store_2addr_stride64_b32 v2, v4, v3 offset0:99 offset1:100
.LBB53_30:                              ;   in Loop: Header=BB53_27 Depth=2
	s_and_not1_b32 vcc_lo, exec_lo, s43
	s_cbranch_vccnz .LBB53_32
; %bb.31:                               ;   in Loop: Header=BB53_27 Depth=2
	s_add_i32 s41, s39, 1
	s_mov_b32 s27, s25
	s_mov_b32 s42, s26
.LBB53_32:                              ;   in Loop: Header=BB53_27 Depth=2
	s_mov_b32 s43, 0
.LBB53_33:                              ;   in Loop: Header=BB53_27 Depth=2
	s_delay_alu instid0(SALU_CYCLE_1)
	s_and_not1_b32 vcc_lo, exec_lo, s43
	s_cbranch_vccnz .LBB53_35
; %bb.34:                               ;   in Loop: Header=BB53_27 Depth=2
	s_add_i32 s42, s26, 1
	s_mov_b32 s41, s39
	s_mov_b32 s27, s25
.LBB53_35:                              ;   in Loop: Header=BB53_27 Depth=2
	s_cmp_le_i32 s42, s3
	s_cselect_b32 s25, -1, 0
	s_cmp_le_i32 s40, s24
	s_cselect_b32 s26, -1, 0
	s_delay_alu instid0(SALU_CYCLE_1) | instskip(NEXT) | instid1(SALU_CYCLE_1)
	s_and_b32 s25, s25, s26
	s_and_b32 vcc_lo, exec_lo, s25
	s_cbranch_vccz .LBB53_37
; %bb.36:                               ;   in Loop: Header=BB53_27 Depth=2
	s_mov_b32 s25, s27
	s_mov_b32 s26, s42
	;; [unrolled: 1-line block ×3, first 2 shown]
	s_branch .LBB53_27
.LBB53_37:                              ;   in Loop: Header=BB53_10 Depth=1
	s_add_u32 s22, s6, s22
	s_addc_u32 s23, s7, s23
	s_waitcnt lgkmcnt(0)
	buffer_gl0_inv
.LBB53_38:                              ;   Parent Loop BB53_10 Depth=1
                                        ; =>  This Inner Loop Header: Depth=2
	global_load_b32 v2, v1, s[22:23] glc
	s_waitcnt vmcnt(0)
	v_cmp_eq_u32_e32 vcc_lo, 0, v2
	s_cbranch_vccnz .LBB53_38
; %bb.39:                               ;   in Loop: Header=BB53_10 Depth=1
	s_cmp_lt_i32 s27, 2
	buffer_gl1_inv
	buffer_gl0_inv
	s_cbranch_scc1 .LBB53_55
; %bb.40:                               ;   in Loop: Header=BB53_10 Depth=1
	s_add_i32 s22, s27, -2
	s_mov_b32 s23, 0
	s_branch .LBB53_42
.LBB53_41:                              ;   in Loop: Header=BB53_42 Depth=2
	s_or_b32 exec_lo, exec_lo, s24
	s_add_i32 s24, s23, 1
	s_cmp_eq_u32 s23, s22
	s_mov_b32 s23, s24
	s_cbranch_scc1 .LBB53_55
.LBB53_42:                              ;   Parent Loop BB53_10 Depth=1
                                        ; =>  This Loop Header: Depth=2
                                        ;       Child Loop BB53_45 Depth 3
	s_and_saveexec_b32 s24, s0
	s_cbranch_execz .LBB53_41
; %bb.43:                               ;   in Loop: Header=BB53_42 Depth=2
	s_lshl_b32 s25, s23, 2
	v_mov_b32_e32 v26, v10
	v_mov_b32_e32 v2, s25
	s_mov_b32 s25, 0
	ds_load_2addr_stride64_b32 v[2:3], v2 offset0:99 offset1:100
	s_waitcnt lgkmcnt(0)
	v_add_nc_u32_e32 v23, v0, v3
	v_add_nc_u32_e32 v22, v3, v14
	;; [unrolled: 1-line block ×4, first 2 shown]
	s_branch .LBB53_45
.LBB53_44:                              ;   in Loop: Header=BB53_45 Depth=3
	v_lshlrev_b32_e32 v2, 3, v26
	v_add_nc_u32_e32 v26, 2, v26
	v_add_nc_u32_e32 v24, 2, v24
	;; [unrolled: 1-line block ×3, first 2 shown]
	s_delay_alu instid0(VALU_DEP_4) | instskip(NEXT) | instid1(VALU_DEP_4)
	v_mad_u32_u24 v4, 0x108, v0, v2
	v_cmp_le_i32_e32 vcc_lo, s29, v26
	ds_load_b64 v[6:7], v4
	s_or_b32 s25, vcc_lo, s25
	s_waitcnt lgkmcnt(0)
	v_dual_add_f32 v2, v3, v6 :: v_dual_add_f32 v3, v5, v7
	ds_store_b64 v4, v[2:3]
	s_and_not1_b32 exec_lo, exec_lo, s25
	s_cbranch_execz .LBB53_41
.LBB53_45:                              ;   Parent Loop BB53_10 Depth=1
                                        ;     Parent Loop BB53_42 Depth=2
                                        ; =>    This Inner Loop Header: Depth=3
	s_delay_alu instid0(VALU_DEP_2)
	v_dual_mov_b32 v27, 0 :: v_dual_mov_b32 v2, v24
	v_mov_b32_e32 v4, v23
	v_mov_b32_e32 v28, 0
	s_mov_b32 s26, 0
	s_and_b32 vcc_lo, exec_lo, s34
	s_cbranch_vccz .LBB53_49
.LBB53_46:                              ;   in Loop: Header=BB53_45 Depth=3
	v_ashrrev_i32_e32 v3, 31, v2
	v_dual_mov_b32 v8, 0 :: v_dual_mov_b32 v9, 0
	s_mov_b32 s27, 0
	s_delay_alu instid0(VALU_DEP_2) | instskip(NEXT) | instid1(VALU_DEP_1)
	v_lshlrev_b64 v[5:6], 3, v[2:3]
	v_add_co_u32 v5, vcc_lo, s18, v5
	s_delay_alu instid0(VALU_DEP_2)
	v_add_co_ci_u32_e32 v6, vcc_lo, s19, v6, vcc_lo
	global_load_b64 v[6:7], v[5:6], off
	s_and_saveexec_b32 s39, s1
	s_cbranch_execz .LBB53_48
; %bb.47:                               ;   in Loop: Header=BB53_45 Depth=3
	v_ashrrev_i32_e32 v5, 31, v4
	s_delay_alu instid0(VALU_DEP_1) | instskip(NEXT) | instid1(VALU_DEP_1)
	v_lshlrev_b64 v[8:9], 3, v[4:5]
	v_add_co_u32 v8, vcc_lo, s18, v8
	s_delay_alu instid0(VALU_DEP_2)
	v_add_co_ci_u32_e32 v9, vcc_lo, s19, v9, vcc_lo
	global_load_b64 v[8:9], v[8:9], off
.LBB53_48:                              ;   in Loop: Header=BB53_45 Depth=3
	s_or_b32 exec_lo, exec_lo, s39
	s_waitcnt vmcnt(0)
	v_fma_f32 v3, v6, v8, v28
	v_fma_f32 v5, v7, v8, v27
	s_delay_alu instid0(VALU_DEP_2) | instskip(NEXT) | instid1(VALU_DEP_2)
	v_fmac_f32_e32 v3, v7, v9
	v_fma_f32 v5, v6, -v9, v5
	s_and_b32 vcc_lo, exec_lo, s27
	s_cbranch_vccnz .LBB53_50
	s_branch .LBB53_53
.LBB53_49:                              ;   in Loop: Header=BB53_45 Depth=3
                                        ; implicit-def: $vgpr5
                                        ; implicit-def: $vgpr3
	s_cbranch_execz .LBB53_53
.LBB53_50:                              ;   in Loop: Header=BB53_45 Depth=3
	v_dual_mov_b32 v8, 0 :: v_dual_add_nc_u32 v5, s26, v25
	v_mov_b32_e32 v7, 0
	s_delay_alu instid0(VALU_DEP_2) | instskip(NEXT) | instid1(VALU_DEP_1)
	v_ashrrev_i32_e32 v6, 31, v5
	v_lshlrev_b64 v[5:6], 3, v[5:6]
	s_delay_alu instid0(VALU_DEP_1) | instskip(NEXT) | instid1(VALU_DEP_2)
	v_add_co_u32 v5, vcc_lo, s18, v5
	v_add_co_ci_u32_e32 v6, vcc_lo, s19, v6, vcc_lo
	global_load_b64 v[5:6], v[5:6], off
	s_and_saveexec_b32 s27, s1
	s_cbranch_execz .LBB53_52
; %bb.51:                               ;   in Loop: Header=BB53_45 Depth=3
	v_add_nc_u32_e32 v7, s26, v22
	s_delay_alu instid0(VALU_DEP_1) | instskip(NEXT) | instid1(VALU_DEP_1)
	v_ashrrev_i32_e32 v8, 31, v7
	v_lshlrev_b64 v[7:8], 3, v[7:8]
	s_delay_alu instid0(VALU_DEP_1) | instskip(NEXT) | instid1(VALU_DEP_2)
	v_add_co_u32 v7, vcc_lo, s18, v7
	v_add_co_ci_u32_e32 v8, vcc_lo, s19, v8, vcc_lo
	global_load_b64 v[7:8], v[7:8], off
.LBB53_52:                              ;   in Loop: Header=BB53_45 Depth=3
	s_or_b32 exec_lo, exec_lo, s27
	s_waitcnt vmcnt(0)
	v_fmac_f32_e32 v28, v5, v7
	v_fmac_f32_e32 v27, v6, v7
	s_delay_alu instid0(VALU_DEP_2) | instskip(NEXT) | instid1(VALU_DEP_2)
	v_fmac_f32_e32 v28, v6, v8
	v_fma_f32 v5, v5, -v8, v27
	s_delay_alu instid0(VALU_DEP_2)
	v_mov_b32_e32 v3, v28
.LBB53_53:                              ;   in Loop: Header=BB53_45 Depth=3
	v_add_nc_u32_e32 v4, s29, v4
	v_add_nc_u32_e32 v2, s29, v2
	s_add_i32 s26, s26, 1
	s_delay_alu instid0(SALU_CYCLE_1)
	s_cmp_eq_u32 s29, s26
	s_cbranch_scc1 .LBB53_44
; %bb.54:                               ;   in Loop: Header=BB53_45 Depth=3
	v_dual_mov_b32 v27, v5 :: v_dual_mov_b32 v28, v3
	s_and_b32 vcc_lo, exec_lo, s34
	s_cbranch_vccz .LBB53_49
	s_branch .LBB53_46
.LBB53_55:                              ;   in Loop: Header=BB53_10 Depth=1
	s_and_not1_b32 vcc_lo, exec_lo, s35
	s_waitcnt lgkmcnt(0)
	buffer_gl0_inv
	s_cbranch_vccnz .LBB53_70
; %bb.56:                               ;   in Loop: Header=BB53_10 Depth=1
	v_mov_b32_e32 v6, v19
	s_mul_i32 s24, s36, s3
	s_mov_b32 s25, 0
	s_mov_b32 s26, s24
	s_branch .LBB53_58
.LBB53_57:                              ;   in Loop: Header=BB53_58 Depth=2
	s_or_b32 exec_lo, exec_lo, s3
	v_add_nc_u32_e32 v6, 8, v6
	s_add_i32 s25, s25, 1
	s_add_i32 s26, s26, 1
	s_cmp_eq_u32 s25, s29
	s_waitcnt lgkmcnt(0)
	buffer_gl0_inv
	s_cbranch_scc1 .LBB53_70
.LBB53_58:                              ;   Parent Loop BB53_10 Depth=1
                                        ; =>  This Loop Header: Depth=2
                                        ;       Child Loop BB53_65 Depth 3
                                        ;       Child Loop BB53_69 Depth 3
	s_mul_i32 s27, s25, s29
	v_lshl_add_u32 v9, s25, 3, v11
	s_add_i32 s27, s27, s24
	s_delay_alu instid0(SALU_CYCLE_1) | instskip(SKIP_2) | instid1(SALU_CYCLE_1)
	s_add_i32 s22, s27, s25
	ds_load_b64 v[2:3], v9 offset:8448
	s_ashr_i32 s23, s22, 31
	s_lshl_b64 s[22:23], s[22:23], 3
	s_delay_alu instid0(SALU_CYCLE_1)
	s_add_u32 s22, s18, s22
	s_addc_u32 s23, s19, s23
	global_load_b64 v[4:5], v1, s[22:23]
	s_waitcnt vmcnt(0)
	v_cmp_neq_f32_e32 vcc_lo, 0, v4
	v_cmp_neq_f32_e64 s3, 0, v5
	s_delay_alu instid0(VALU_DEP_1) | instskip(SKIP_2) | instid1(SALU_CYCLE_1)
	s_or_b32 vcc_lo, vcc_lo, s3
	v_dual_cndmask_b32 v7, 1.0, v4 :: v_dual_cndmask_b32 v8, 0, v5
	s_or_b32 s3, vcc_lo, s2
	s_xor_b32 s22, s3, -1
	s_delay_alu instid0(SALU_CYCLE_1)
	s_and_saveexec_b32 s3, s22
	s_cbranch_execz .LBB53_62
; %bb.59:                               ;   in Loop: Header=BB53_58 Depth=2
	v_mbcnt_lo_u32_b32 v4, exec_lo, 0
	s_mov_b32 s22, exec_lo
	s_delay_alu instid0(VALU_DEP_1)
	v_cmpx_eq_u32_e32 0, v4
	s_cbranch_execz .LBB53_61
; %bb.60:                               ;   in Loop: Header=BB53_58 Depth=2
	v_mov_b32_e32 v4, s38
	global_atomic_min_i32 v1, v4, s[10:11]
.LBB53_61:                              ;   in Loop: Header=BB53_58 Depth=2
	s_or_b32 exec_lo, exec_lo, s22
	v_dual_mov_b32 v7, 1.0 :: v_dual_mov_b32 v8, 0
.LBB53_62:                              ;   in Loop: Header=BB53_58 Depth=2
	s_or_b32 exec_lo, exec_lo, s3
	ds_load_b64 v[4:5], v9
	s_cmp_eq_u32 s25, 0
	s_cbranch_scc1 .LBB53_67
; %bb.63:                               ;   in Loop: Header=BB53_58 Depth=2
	v_mov_b32_e32 v22, v17
	s_mov_b32 s3, 0
	s_mov_b32 s39, s26
	s_branch .LBB53_65
	.p2align	6
.LBB53_64:                              ;   in Loop: Header=BB53_65 Depth=3
	s_ashr_i32 s23, s22, 31
	ds_load_b64 v[25:26], v22
	s_lshl_b64 s[22:23], s[22:23], 3
	v_add_nc_u32_e32 v22, 8, v22
	s_add_u32 s22, s18, s22
	s_addc_u32 s23, s19, s23
	s_add_i32 s3, s3, 1
	global_load_b64 v[23:24], v1, s[22:23]
	s_add_i32 s39, s39, s29
	s_cmp_ge_u32 s3, s25
	s_waitcnt vmcnt(0) lgkmcnt(0)
	v_fmac_f32_e32 v4, v23, v25
	v_fmac_f32_e32 v5, v24, v25
	s_delay_alu instid0(VALU_DEP_2) | instskip(NEXT) | instid1(VALU_DEP_2)
	v_fmac_f32_e32 v4, v24, v26
	v_fma_f32 v5, v23, -v26, v5
	s_cbranch_scc1 .LBB53_67
.LBB53_65:                              ;   Parent Loop BB53_10 Depth=1
                                        ;     Parent Loop BB53_58 Depth=2
                                        ; =>    This Inner Loop Header: Depth=3
	s_and_not1_b32 vcc_lo, exec_lo, s33
	s_mov_b32 s22, s39
	s_cbranch_vccnz .LBB53_64
; %bb.66:                               ;   in Loop: Header=BB53_65 Depth=3
	s_add_i32 s22, s3, s27
	s_branch .LBB53_64
.LBB53_67:                              ;   in Loop: Header=BB53_58 Depth=2
	v_dual_mul_f32 v22, v8, v8 :: v_dual_add_nc_u32 v9, 0x2100, v9
	s_waitcnt lgkmcnt(0)
	s_delay_alu instid0(VALU_DEP_2) | instskip(NEXT) | instid1(VALU_DEP_2)
	v_dual_sub_f32 v2, v2, v4 :: v_dual_sub_f32 v3, v3, v5
	v_fmac_f32_e32 v22, v7, v7
	s_delay_alu instid0(VALU_DEP_2) | instskip(NEXT) | instid1(VALU_DEP_3)
	v_mul_f32_e32 v4, v8, v3
	v_mul_f32_e64 v8, v8, -v2
	s_delay_alu instid0(VALU_DEP_3) | instskip(SKIP_1) | instid1(VALU_DEP_3)
	v_div_scale_f32 v23, null, v22, v22, 1.0
	v_div_scale_f32 v26, vcc_lo, 1.0, v22, 1.0
	v_fmac_f32_e32 v8, v3, v7
	s_delay_alu instid0(VALU_DEP_3) | instskip(SKIP_2) | instid1(VALU_DEP_1)
	v_rcp_f32_e32 v24, v23
	s_waitcnt_depctr 0xfff
	v_fma_f32 v25, -v23, v24, 1.0
	v_fmac_f32_e32 v24, v25, v24
	s_delay_alu instid0(VALU_DEP_1) | instskip(NEXT) | instid1(VALU_DEP_1)
	v_mul_f32_e32 v25, v26, v24
	v_fma_f32 v27, -v23, v25, v26
	s_delay_alu instid0(VALU_DEP_1) | instskip(NEXT) | instid1(VALU_DEP_1)
	v_fmac_f32_e32 v25, v27, v24
	v_fma_f32 v5, -v23, v25, v26
	s_delay_alu instid0(VALU_DEP_1) | instskip(NEXT) | instid1(VALU_DEP_1)
	v_div_fmas_f32 v5, v5, v24, v25
	v_div_fixup_f32 v5, v5, v22, 1.0
	s_delay_alu instid0(VALU_DEP_1) | instskip(NEXT) | instid1(VALU_DEP_1)
	v_dual_fmac_f32 v4, v2, v7 :: v_dual_mul_f32 v3, v5, v8
	v_mul_f32_e32 v2, v5, v4
	ds_store_b64 v9, v[2:3]
	s_waitcnt lgkmcnt(0)
	s_waitcnt_vscnt null, 0x0
	buffer_gl0_inv
	s_and_saveexec_b32 s3, s0
	s_cbranch_execz .LBB53_57
; %bb.68:                               ;   in Loop: Header=BB53_58 Depth=2
	v_dual_mov_b32 v4, v20 :: v_dual_mov_b32 v5, v6
	v_mov_b32_e32 v7, v10
	s_mov_b32 s22, 0
	.p2align	6
.LBB53_69:                              ;   Parent Loop BB53_10 Depth=1
                                        ;     Parent Loop BB53_58 Depth=2
                                        ; =>    This Inner Loop Header: Depth=3
	ds_load_b64 v[8:9], v5
	ds_load_b64 v[22:23], v4
	v_add_nc_u32_e32 v5, 0x210, v5
	s_waitcnt lgkmcnt(0)
	v_fma_f32 v22, v2, v8, v22
	v_fmac_f32_e32 v23, v3, v8
	s_delay_alu instid0(VALU_DEP_2) | instskip(NEXT) | instid1(VALU_DEP_2)
	v_dual_fmac_f32 v22, v3, v9 :: v_dual_add_nc_u32 v7, 2, v7
	v_fma_f32 v23, v2, -v9, v23
	s_delay_alu instid0(VALU_DEP_2) | instskip(SKIP_3) | instid1(SALU_CYCLE_1)
	v_cmp_le_i32_e32 vcc_lo, s29, v7
	ds_store_b64 v4, v[22:23]
	v_add_nc_u32_e32 v4, 16, v4
	s_or_b32 s22, vcc_lo, s22
	s_and_not1_b32 exec_lo, exec_lo, s22
	s_cbranch_execnz .LBB53_69
	s_branch .LBB53_57
.LBB53_70:                              ;   in Loop: Header=BB53_10 Depth=1
	s_and_saveexec_b32 s3, s0
	s_cbranch_execz .LBB53_9
; %bb.71:                               ;   in Loop: Header=BB53_10 Depth=1
	v_dual_mov_b32 v4, v21 :: v_dual_mov_b32 v5, v10
	s_mov_b32 s22, 0
	s_set_inst_prefetch_distance 0x1
	s_branch .LBB53_74
	.p2align	6
.LBB53_72:                              ;   in Loop: Header=BB53_74 Depth=2
	ds_load_b64 v[6:7], v4
	v_ashrrev_i32_e32 v3, 31, v2
	s_delay_alu instid0(VALU_DEP_1) | instskip(NEXT) | instid1(VALU_DEP_1)
	v_lshlrev_b64 v[2:3], 3, v[2:3]
	v_add_co_u32 v2, vcc_lo, s18, v2
	s_delay_alu instid0(VALU_DEP_2)
	v_add_co_ci_u32_e32 v3, vcc_lo, s19, v3, vcc_lo
	s_waitcnt lgkmcnt(0)
	global_store_b64 v[2:3], v[6:7], off
.LBB53_73:                              ;   in Loop: Header=BB53_74 Depth=2
	s_or_b32 exec_lo, exec_lo, s23
	v_add_nc_u32_e32 v5, 2, v5
	v_add_nc_u32_e32 v4, 16, v4
	s_delay_alu instid0(VALU_DEP_2) | instskip(SKIP_1) | instid1(SALU_CYCLE_1)
	v_cmp_le_i32_e32 vcc_lo, s29, v5
	s_or_b32 s22, vcc_lo, s22
	s_and_not1_b32 exec_lo, exec_lo, s22
	s_cbranch_execz .LBB53_9
.LBB53_74:                              ;   Parent Loop BB53_10 Depth=1
                                        ; =>  This Inner Loop Header: Depth=2
	s_and_saveexec_b32 s23, s1
	s_cbranch_execz .LBB53_73
; %bb.75:                               ;   in Loop: Header=BB53_74 Depth=2
	s_and_b32 vcc_lo, exec_lo, s34
	s_cbranch_vccz .LBB53_77
; %bb.76:                               ;   in Loop: Header=BB53_74 Depth=2
	v_add_nc_u32_e32 v6, s21, v5
	s_delay_alu instid0(VALU_DEP_1)
	v_mad_u64_u32 v[2:3], null, v6, s29, v[0:1]
	s_cbranch_execnz .LBB53_72
	s_branch .LBB53_78
	.p2align	6
.LBB53_77:                              ;   in Loop: Header=BB53_74 Depth=2
                                        ; implicit-def: $vgpr2
.LBB53_78:                              ;   in Loop: Header=BB53_74 Depth=2
	v_add_nc_u32_e32 v2, v18, v5
	s_branch .LBB53_72
.LBB53_79:                              ;   in Loop: Header=BB53_10 Depth=1
                                        ; implicit-def: $sgpr20
                                        ; implicit-def: $vgpr18
	s_cbranch_execz .LBB53_10
.LBB53_80:
	v_cmp_gt_i32_e64 s0, s29, v10
	s_delay_alu instid0(VALU_DEP_1)
	s_and_saveexec_b32 s2, s0
	s_cbranch_execz .LBB53_93
; %bb.81:
	s_mul_i32 s3, s28, s29
	v_cmp_gt_i32_e64 s1, s29, v0
	v_dual_mov_b32 v6, v10 :: v_dual_add_nc_u32 v1, s3, v0
	v_add3_u32 v5, v11, v12, 0x2100
	s_cmp_lg_u32 s30, 0
	s_mov_b32 s4, 0
	s_delay_alu instid0(VALU_DEP_2)
	v_mul_lo_u32 v4, v1, s29
	s_cselect_b32 s5, -1, 0
	s_branch .LBB53_83
.LBB53_82:                              ;   in Loop: Header=BB53_83 Depth=1
	s_or_b32 exec_lo, exec_lo, s13
	v_add_nc_u32_e32 v6, 2, v6
	s_waitcnt vmcnt(0)
	ds_store_b64 v5, v[2:3]
	v_add_nc_u32_e32 v5, 16, v5
	v_cmp_le_i32_e32 vcc_lo, s29, v6
	s_or_b32 s4, vcc_lo, s4
	s_delay_alu instid0(SALU_CYCLE_1)
	s_and_not1_b32 exec_lo, exec_lo, s4
	s_cbranch_execz .LBB53_93
.LBB53_83:                              ; =>This Inner Loop Header: Depth=1
	s_and_b32 vcc_lo, exec_lo, s5
	s_cbranch_vccz .LBB53_88
; %bb.84:                               ;   in Loop: Header=BB53_83 Depth=1
	s_mov_b32 s13, 0
	s_mov_b32 s12, 0
                                        ; implicit-def: $vgpr1
	s_and_saveexec_b32 s14, s1
	s_delay_alu instid0(SALU_CYCLE_1)
	s_xor_b32 s14, exec_lo, s14
; %bb.85:                               ;   in Loop: Header=BB53_83 Depth=1
	v_add_nc_u32_e32 v3, s3, v6
	s_mov_b32 s12, exec_lo
	s_delay_alu instid0(VALU_DEP_1)
	v_mad_u64_u32 v[1:2], null, v3, s29, v[0:1]
; %bb.86:                               ;   in Loop: Header=BB53_83 Depth=1
	s_or_b32 exec_lo, exec_lo, s14
	s_delay_alu instid0(SALU_CYCLE_1)
	s_and_b32 vcc_lo, exec_lo, s13
	s_cbranch_vccnz .LBB53_89
.LBB53_87:                              ;   in Loop: Header=BB53_83 Depth=1
	v_dual_mov_b32 v2, s13 :: v_dual_mov_b32 v3, s13
	s_and_saveexec_b32 s13, s12
	s_cbranch_execz .LBB53_82
	s_branch .LBB53_92
.LBB53_88:                              ;   in Loop: Header=BB53_83 Depth=1
	s_mov_b32 s13, -1
	s_mov_b32 s12, 0
                                        ; implicit-def: $vgpr1
	s_cbranch_execz .LBB53_87
.LBB53_89:                              ;   in Loop: Header=BB53_83 Depth=1
                                        ; implicit-def: $vgpr1
	s_and_saveexec_b32 s13, s1
; %bb.90:                               ;   in Loop: Header=BB53_83 Depth=1
	v_add_nc_u32_e32 v1, v4, v6
	s_or_b32 s12, s12, exec_lo
; %bb.91:                               ;   in Loop: Header=BB53_83 Depth=1
	s_or_b32 exec_lo, exec_lo, s13
	s_mov_b32 s13, 0
	s_delay_alu instid0(SALU_CYCLE_1)
	v_dual_mov_b32 v2, s13 :: v_dual_mov_b32 v3, s13
	s_and_saveexec_b32 s13, s12
	s_cbranch_execz .LBB53_82
.LBB53_92:                              ;   in Loop: Header=BB53_83 Depth=1
	v_ashrrev_i32_e32 v2, 31, v1
	s_delay_alu instid0(VALU_DEP_1) | instskip(NEXT) | instid1(VALU_DEP_1)
	v_lshlrev_b64 v[1:2], 3, v[1:2]
	v_add_co_u32 v1, vcc_lo, s18, v1
	s_delay_alu instid0(VALU_DEP_2)
	v_add_co_ci_u32_e32 v2, vcc_lo, s19, v2, vcc_lo
	global_load_b64 v[2:3], v[1:2], off
	s_branch .LBB53_82
.LBB53_93:
	s_or_b32 exec_lo, exec_lo, s2
; %bb.94:
	s_cmp_lt_i32 s29, 1
	s_waitcnt lgkmcnt(0)
	buffer_gl0_inv
	s_cbranch_scc1 .LBB53_113
; %bb.95:
	v_or_b32_e32 v1, v10, v0
	v_mad_u32_u24 v2, 0x108, v0, v13
	s_movk_i32 s2, 0x2100
	v_add3_u32 v8, v11, v12, 0x4200
	v_mad_u32_u24 v7, 0x108, v10, s2
	v_cmp_ne_u32_e64 s1, 0, v1
	v_add_nc_u32_e32 v5, 0x2100, v2
	v_add_nc_u32_e32 v6, 0x4200, v2
	v_mov_b32_e32 v2, 0
	s_mov_b32 s3, 0
	s_add_i32 s4, s16, s17
	s_branch .LBB53_97
.LBB53_96:                              ;   in Loop: Header=BB53_97 Depth=1
	s_or_b32 exec_lo, exec_lo, s2
	v_add_nc_u32_e32 v7, 8, v7
	s_add_i32 s3, s3, 1
	s_waitcnt lgkmcnt(0)
	s_waitcnt_vscnt null, 0x0
	buffer_gl0_inv
	s_cmp_eq_u32 s3, s29
	s_cbranch_scc1 .LBB53_113
.LBB53_97:                              ; =>This Loop Header: Depth=1
                                        ;     Child Loop BB53_112 Depth 2
	s_mov_b32 s5, exec_lo
	v_cmpx_eq_u32_e64 s3, v0
	s_cbranch_execz .LBB53_105
; %bb.98:                               ;   in Loop: Header=BB53_97 Depth=1
	ds_load_b64 v[3:4], v5
	ds_load_b64 v[13:14], v6
	s_mov_b32 s2, exec_lo
	s_waitcnt lgkmcnt(0)
	v_sub_f32_e32 v1, v3, v13
	v_sub_f32_e32 v9, v4, v14
                                        ; implicit-def: $vgpr4
	s_delay_alu instid0(VALU_DEP_2) | instskip(SKIP_1) | instid1(VALU_DEP_3)
	v_cmp_gt_f32_e32 vcc_lo, 0, v1
	v_cndmask_b32_e64 v1, v1, -v1, vcc_lo
	v_cmp_gt_f32_e32 vcc_lo, 0, v9
	v_cndmask_b32_e64 v3, v9, -v9, vcc_lo
	s_delay_alu instid0(VALU_DEP_1)
	v_cmpx_ngt_f32_e32 v1, v3
	s_xor_b32 s12, exec_lo, s2
	s_cbranch_execz .LBB53_102
; %bb.99:                               ;   in Loop: Header=BB53_97 Depth=1
	v_mov_b32_e32 v4, 0
	s_mov_b32 s13, exec_lo
	v_cmpx_neq_f32_e32 0, v9
	s_cbranch_execz .LBB53_101
; %bb.100:                              ;   in Loop: Header=BB53_97 Depth=1
	v_div_scale_f32 v4, null, v3, v3, v1
	v_div_scale_f32 v14, vcc_lo, v1, v3, v1
	s_delay_alu instid0(VALU_DEP_2) | instskip(SKIP_2) | instid1(VALU_DEP_1)
	v_rcp_f32_e32 v9, v4
	s_waitcnt_depctr 0xfff
	v_fma_f32 v13, -v4, v9, 1.0
	v_fmac_f32_e32 v9, v13, v9
	s_delay_alu instid0(VALU_DEP_1) | instskip(NEXT) | instid1(VALU_DEP_1)
	v_mul_f32_e32 v13, v14, v9
	v_fma_f32 v15, -v4, v13, v14
	s_delay_alu instid0(VALU_DEP_1) | instskip(NEXT) | instid1(VALU_DEP_1)
	v_fmac_f32_e32 v13, v15, v9
	v_fma_f32 v4, -v4, v13, v14
	s_delay_alu instid0(VALU_DEP_1) | instskip(NEXT) | instid1(VALU_DEP_1)
	v_div_fmas_f32 v4, v4, v9, v13
	v_div_fixup_f32 v1, v4, v3, v1
	s_delay_alu instid0(VALU_DEP_1) | instskip(NEXT) | instid1(VALU_DEP_1)
	v_fma_f32 v1, v1, v1, 1.0
	v_mul_f32_e32 v4, 0x4f800000, v1
	v_cmp_gt_f32_e32 vcc_lo, 0xf800000, v1
	s_delay_alu instid0(VALU_DEP_2) | instskip(NEXT) | instid1(VALU_DEP_1)
	v_cndmask_b32_e32 v1, v1, v4, vcc_lo
	v_sqrt_f32_e32 v4, v1
	s_waitcnt_depctr 0xfff
	v_add_nc_u32_e32 v9, -1, v4
	v_add_nc_u32_e32 v13, 1, v4
	s_delay_alu instid0(VALU_DEP_2) | instskip(NEXT) | instid1(VALU_DEP_2)
	v_fma_f32 v14, -v9, v4, v1
	v_fma_f32 v15, -v13, v4, v1
	s_delay_alu instid0(VALU_DEP_2) | instskip(NEXT) | instid1(VALU_DEP_1)
	v_cmp_ge_f32_e64 s2, 0, v14
	v_cndmask_b32_e64 v4, v4, v9, s2
	s_delay_alu instid0(VALU_DEP_3) | instskip(NEXT) | instid1(VALU_DEP_1)
	v_cmp_lt_f32_e64 s2, 0, v15
	v_cndmask_b32_e64 v4, v4, v13, s2
	s_delay_alu instid0(VALU_DEP_1) | instskip(NEXT) | instid1(VALU_DEP_1)
	v_mul_f32_e32 v9, 0x37800000, v4
	v_cndmask_b32_e32 v4, v4, v9, vcc_lo
	v_cmp_class_f32_e64 vcc_lo, v1, 0x260
	s_delay_alu instid0(VALU_DEP_2) | instskip(NEXT) | instid1(VALU_DEP_1)
	v_cndmask_b32_e32 v1, v4, v1, vcc_lo
	v_mul_f32_e32 v4, v3, v1
.LBB53_101:                             ;   in Loop: Header=BB53_97 Depth=1
	s_or_b32 exec_lo, exec_lo, s13
                                        ; implicit-def: $vgpr1
                                        ; implicit-def: $vgpr3
.LBB53_102:                             ;   in Loop: Header=BB53_97 Depth=1
	s_and_not1_saveexec_b32 s12, s12
	s_cbranch_execz .LBB53_104
; %bb.103:                              ;   in Loop: Header=BB53_97 Depth=1
	v_div_scale_f32 v4, null, v1, v1, v3
	v_div_scale_f32 v14, vcc_lo, v3, v1, v3
	s_delay_alu instid0(VALU_DEP_2) | instskip(SKIP_2) | instid1(VALU_DEP_1)
	v_rcp_f32_e32 v9, v4
	s_waitcnt_depctr 0xfff
	v_fma_f32 v13, -v4, v9, 1.0
	v_fmac_f32_e32 v9, v13, v9
	s_delay_alu instid0(VALU_DEP_1) | instskip(NEXT) | instid1(VALU_DEP_1)
	v_mul_f32_e32 v13, v14, v9
	v_fma_f32 v15, -v4, v13, v14
	s_delay_alu instid0(VALU_DEP_1) | instskip(NEXT) | instid1(VALU_DEP_1)
	v_fmac_f32_e32 v13, v15, v9
	v_fma_f32 v4, -v4, v13, v14
	s_delay_alu instid0(VALU_DEP_1) | instskip(NEXT) | instid1(VALU_DEP_1)
	v_div_fmas_f32 v4, v4, v9, v13
	v_div_fixup_f32 v3, v4, v1, v3
	s_delay_alu instid0(VALU_DEP_1) | instskip(NEXT) | instid1(VALU_DEP_1)
	v_fma_f32 v3, v3, v3, 1.0
	v_mul_f32_e32 v4, 0x4f800000, v3
	v_cmp_gt_f32_e32 vcc_lo, 0xf800000, v3
	s_delay_alu instid0(VALU_DEP_2) | instskip(NEXT) | instid1(VALU_DEP_1)
	v_cndmask_b32_e32 v3, v3, v4, vcc_lo
	v_sqrt_f32_e32 v4, v3
	s_waitcnt_depctr 0xfff
	v_add_nc_u32_e32 v9, -1, v4
	v_add_nc_u32_e32 v13, 1, v4
	s_delay_alu instid0(VALU_DEP_2) | instskip(NEXT) | instid1(VALU_DEP_2)
	v_fma_f32 v14, -v9, v4, v3
	v_fma_f32 v15, -v13, v4, v3
	s_delay_alu instid0(VALU_DEP_2) | instskip(NEXT) | instid1(VALU_DEP_1)
	v_cmp_ge_f32_e64 s2, 0, v14
	v_cndmask_b32_e64 v4, v4, v9, s2
	s_delay_alu instid0(VALU_DEP_3) | instskip(NEXT) | instid1(VALU_DEP_1)
	v_cmp_lt_f32_e64 s2, 0, v15
	v_cndmask_b32_e64 v4, v4, v13, s2
	s_delay_alu instid0(VALU_DEP_1) | instskip(NEXT) | instid1(VALU_DEP_1)
	v_mul_f32_e32 v9, 0x37800000, v4
	v_cndmask_b32_e32 v4, v4, v9, vcc_lo
	v_cmp_class_f32_e64 vcc_lo, v3, 0x260
	s_delay_alu instid0(VALU_DEP_2) | instskip(NEXT) | instid1(VALU_DEP_1)
	v_cndmask_b32_e32 v3, v4, v3, vcc_lo
	v_mul_f32_e32 v4, v1, v3
.LBB53_104:                             ;   in Loop: Header=BB53_97 Depth=1
	s_or_b32 exec_lo, exec_lo, s12
	s_delay_alu instid0(VALU_DEP_1) | instskip(SKIP_1) | instid1(VALU_DEP_2)
	v_mul_f32_e32 v1, 0x4f800000, v4
	v_cmp_gt_f32_e32 vcc_lo, 0xf800000, v4
	v_cndmask_b32_e32 v1, v4, v1, vcc_lo
	s_delay_alu instid0(VALU_DEP_1) | instskip(SKIP_3) | instid1(VALU_DEP_2)
	v_sqrt_f32_e32 v3, v1
	s_waitcnt_depctr 0xfff
	v_add_nc_u32_e32 v4, -1, v3
	v_add_nc_u32_e32 v9, 1, v3
	v_fma_f32 v13, -v4, v3, v1
	s_delay_alu instid0(VALU_DEP_2) | instskip(NEXT) | instid1(VALU_DEP_2)
	v_fma_f32 v14, -v9, v3, v1
	v_cmp_ge_f32_e64 s2, 0, v13
	s_delay_alu instid0(VALU_DEP_1) | instskip(NEXT) | instid1(VALU_DEP_3)
	v_cndmask_b32_e64 v3, v3, v4, s2
	v_cmp_lt_f32_e64 s2, 0, v14
	s_delay_alu instid0(VALU_DEP_1) | instskip(NEXT) | instid1(VALU_DEP_1)
	v_cndmask_b32_e64 v3, v3, v9, s2
	v_mul_f32_e32 v4, 0x37800000, v3
	s_delay_alu instid0(VALU_DEP_1) | instskip(SKIP_1) | instid1(VALU_DEP_2)
	v_cndmask_b32_e32 v3, v3, v4, vcc_lo
	v_cmp_class_f32_e64 vcc_lo, v1, 0x260
	v_cndmask_b32_e32 v1, v3, v1, vcc_lo
	ds_store_b64 v5, v[1:2]
.LBB53_105:                             ;   in Loop: Header=BB53_97 Depth=1
	s_or_b32 exec_lo, exec_lo, s5
	s_lshl_b32 s2, s3, 3
	s_mul_i32 s5, s3, 0x108
	s_waitcnt lgkmcnt(0)
	buffer_gl0_inv
	s_add_i32 s5, s5, s2
	s_delay_alu instid0(SALU_CYCLE_1)
	v_mov_b32_e32 v1, s5
	ds_load_b64 v[14:15], v1 offset:8448
	v_mad_u32_u24 v1, 0x108, v0, s2
	ds_load_b64 v[3:4], v1 offset:8448
	s_waitcnt lgkmcnt(1)
	v_cmp_neq_f32_e32 vcc_lo, 0, v14
	v_cmp_neq_f32_e64 s2, 0, v15
	s_delay_alu instid0(VALU_DEP_1) | instskip(SKIP_3) | instid1(SALU_CYCLE_1)
	s_or_b32 vcc_lo, vcc_lo, s2
	v_cndmask_b32_e32 v13, 0, v15, vcc_lo
	v_cndmask_b32_e32 v9, 1.0, v14, vcc_lo
	s_or_b32 s2, vcc_lo, s1
	s_xor_b32 s5, s2, -1
	s_delay_alu instid0(SALU_CYCLE_1)
	s_and_saveexec_b32 s2, s5
	s_cbranch_execz .LBB53_109
; %bb.106:                              ;   in Loop: Header=BB53_97 Depth=1
	v_mbcnt_lo_u32_b32 v9, exec_lo, 0
	s_mov_b32 s5, exec_lo
	s_delay_alu instid0(VALU_DEP_1)
	v_cmpx_eq_u32_e32 0, v9
	s_cbranch_execz .LBB53_108
; %bb.107:                              ;   in Loop: Header=BB53_97 Depth=1
	v_mov_b32_e32 v9, s4
	global_atomic_min_i32 v2, v9, s[10:11]
.LBB53_108:                             ;   in Loop: Header=BB53_97 Depth=1
	s_or_b32 exec_lo, exec_lo, s5
	v_mov_b32_e32 v13, 0
	v_mov_b32_e32 v9, 1.0
.LBB53_109:                             ;   in Loop: Header=BB53_97 Depth=1
	s_or_b32 exec_lo, exec_lo, s2
	s_delay_alu instid0(SALU_CYCLE_1)
	s_mov_b32 s2, exec_lo
	v_cmpx_lt_u32_e64 s3, v0
	s_cbranch_execz .LBB53_96
; %bb.110:                              ;   in Loop: Header=BB53_97 Depth=1
	v_lshl_add_u32 v14, s3, 3, v11
	v_mul_f32_e32 v16, v13, v13
	v_add_nc_u32_e32 v1, 0x2100, v1
	ds_load_b64 v[14:15], v14 offset:16896
	s_waitcnt lgkmcnt(0)
	v_dual_fmac_f32 v16, v9, v9 :: v_dual_sub_f32 v3, v3, v14
	s_delay_alu instid0(VALU_DEP_1) | instskip(SKIP_2) | instid1(VALU_DEP_3)
	v_div_scale_f32 v17, null, v16, v16, 1.0
	v_sub_f32_e32 v4, v4, v15
	v_div_scale_f32 v20, vcc_lo, 1.0, v16, 1.0
	v_rcp_f32_e32 v18, v17
	s_delay_alu instid0(VALU_DEP_2) | instskip(SKIP_1) | instid1(VALU_DEP_2)
	v_mul_f32_e32 v14, v13, v4
	v_mul_f32_e64 v13, v13, -v3
	v_fmac_f32_e32 v14, v3, v9
	s_delay_alu instid0(VALU_DEP_2) | instskip(SKIP_2) | instid1(VALU_DEP_1)
	v_fmac_f32_e32 v13, v4, v9
	s_waitcnt_depctr 0xfff
	v_fma_f32 v19, -v17, v18, 1.0
	v_fmac_f32_e32 v18, v19, v18
	s_delay_alu instid0(VALU_DEP_1) | instskip(NEXT) | instid1(VALU_DEP_1)
	v_mul_f32_e32 v19, v20, v18
	v_fma_f32 v21, -v17, v19, v20
	s_delay_alu instid0(VALU_DEP_1) | instskip(NEXT) | instid1(VALU_DEP_1)
	v_fmac_f32_e32 v19, v21, v18
	v_fma_f32 v15, -v17, v19, v20
	s_delay_alu instid0(VALU_DEP_1) | instskip(NEXT) | instid1(VALU_DEP_1)
	v_div_fmas_f32 v15, v15, v18, v19
	v_div_fixup_f32 v15, v15, v16, 1.0
	s_delay_alu instid0(VALU_DEP_1)
	v_mul_f32_e32 v3, v15, v14
	v_mul_f32_e32 v4, v15, v13
	ds_store_b64 v1, v[3:4]
	s_waitcnt lgkmcnt(0)
	s_waitcnt_vscnt null, 0x0
	buffer_gl0_inv
	s_and_b32 exec_lo, exec_lo, s0
	s_cbranch_execz .LBB53_96
; %bb.111:                              ;   in Loop: Header=BB53_97 Depth=1
	v_mov_b32_e32 v1, v8
	v_mov_b32_e32 v9, v7
	;; [unrolled: 1-line block ×3, first 2 shown]
	s_mov_b32 s5, 0
	.p2align	6
.LBB53_112:                             ;   Parent Loop BB53_97 Depth=1
                                        ; =>  This Inner Loop Header: Depth=2
	ds_load_b64 v[14:15], v9
	ds_load_b64 v[16:17], v1
	v_add_nc_u32_e32 v9, 0x210, v9
	s_waitcnt lgkmcnt(0)
	v_fma_f32 v16, v3, v14, v16
	v_fmac_f32_e32 v17, v4, v14
	s_delay_alu instid0(VALU_DEP_2) | instskip(NEXT) | instid1(VALU_DEP_2)
	v_dual_fmac_f32 v16, v4, v15 :: v_dual_add_nc_u32 v13, 2, v13
	v_fma_f32 v17, v3, -v15, v17
	s_delay_alu instid0(VALU_DEP_2) | instskip(SKIP_3) | instid1(SALU_CYCLE_1)
	v_cmp_le_i32_e32 vcc_lo, s29, v13
	ds_store_b64 v1, v[16:17]
	v_add_nc_u32_e32 v1, 16, v1
	s_or_b32 s5, vcc_lo, s5
	s_and_not1_b32 exec_lo, exec_lo, s5
	s_cbranch_execnz .LBB53_112
	s_branch .LBB53_96
.LBB53_113:
	s_and_saveexec_b32 s1, s0
	s_cbranch_execz .LBB53_122
; %bb.114:
	s_mul_i32 s28, s28, s29
	v_cmp_gt_i32_e64 s0, s29, v0
	v_add_nc_u32_e32 v1, s28, v0
	v_add3_u32 v4, v11, v12, 0x2100
	v_mov_b32_e32 v5, v10
	s_cmp_lg_u32 s30, 0
	s_mov_b32 s2, 0
	v_mul_lo_u32 v3, v1, s29
	s_cselect_b32 s3, -1, 0
	s_set_inst_prefetch_distance 0x1
	s_branch .LBB53_117
	.p2align	6
.LBB53_115:                             ;   in Loop: Header=BB53_117 Depth=1
	ds_load_b64 v[6:7], v4
	v_ashrrev_i32_e32 v2, 31, v1
	s_delay_alu instid0(VALU_DEP_1) | instskip(NEXT) | instid1(VALU_DEP_1)
	v_lshlrev_b64 v[1:2], 3, v[1:2]
	v_add_co_u32 v1, vcc_lo, s18, v1
	s_delay_alu instid0(VALU_DEP_2)
	v_add_co_ci_u32_e32 v2, vcc_lo, s19, v2, vcc_lo
	s_waitcnt lgkmcnt(0)
	global_store_b64 v[1:2], v[6:7], off
.LBB53_116:                             ;   in Loop: Header=BB53_117 Depth=1
	s_or_b32 exec_lo, exec_lo, s4
	v_add_nc_u32_e32 v5, 2, v5
	v_add_nc_u32_e32 v4, 16, v4
	s_delay_alu instid0(VALU_DEP_2) | instskip(SKIP_1) | instid1(SALU_CYCLE_1)
	v_cmp_le_i32_e32 vcc_lo, s29, v5
	s_or_b32 s2, vcc_lo, s2
	s_and_not1_b32 exec_lo, exec_lo, s2
	s_cbranch_execz .LBB53_122
.LBB53_117:                             ; =>This Inner Loop Header: Depth=1
	s_and_saveexec_b32 s4, s0
	s_cbranch_execz .LBB53_116
; %bb.118:                              ;   in Loop: Header=BB53_117 Depth=1
	s_and_b32 vcc_lo, exec_lo, s3
	s_cbranch_vccz .LBB53_120
; %bb.119:                              ;   in Loop: Header=BB53_117 Depth=1
	v_add_nc_u32_e32 v6, s28, v5
	s_delay_alu instid0(VALU_DEP_1)
	v_mad_u64_u32 v[1:2], null, v6, s29, v[0:1]
	s_cbranch_execnz .LBB53_115
	s_branch .LBB53_121
.LBB53_120:                             ;   in Loop: Header=BB53_117 Depth=1
                                        ; implicit-def: $vgpr1
.LBB53_121:                             ;   in Loop: Header=BB53_117 Depth=1
	v_add_nc_u32_e32 v1, v3, v5
	s_branch .LBB53_115
.LBB53_122:
	s_set_inst_prefetch_distance 0x2
	s_or_b32 exec_lo, exec_lo, s1
	v_or_b32_e32 v1, v10, v0
	s_delay_alu instid0(VALU_DEP_1)
	v_cmp_eq_u32_e64 s3, 0, v1
.LBB53_123:
	s_delay_alu instid0(VALU_DEP_1)
	s_and_saveexec_b32 s0, s3
	s_cbranch_execnz .LBB53_131
.LBB53_124:
	s_nop 0
	s_sendmsg sendmsg(MSG_DEALLOC_VGPRS)
	s_endpgm
.LBB53_125:
	s_cbranch_execz .LBB53_123
; %bb.126:
	v_or_b32_e32 v0, v10, v0
	s_mov_b32 s0, exec_lo
	s_delay_alu instid0(VALU_DEP_1)
	v_cmpx_eq_u32_e32 0, v0
	s_cbranch_execz .LBB53_130
; %bb.127:
	v_mbcnt_lo_u32_b32 v0, exec_lo, 0
	s_mov_b32 s1, exec_lo
	s_delay_alu instid0(VALU_DEP_1)
	v_cmpx_eq_u32_e32 0, v0
	s_cbranch_execz .LBB53_129
; %bb.128:
	s_add_i32 s2, s16, s17
	s_delay_alu instid0(SALU_CYCLE_1)
	v_dual_mov_b32 v0, 0 :: v_dual_mov_b32 v1, s2
	global_atomic_min_i32 v0, v1, s[10:11]
.LBB53_129:
	s_or_b32 exec_lo, exec_lo, s1
	s_delay_alu instid0(SALU_CYCLE_1)
	s_or_b32 s3, s3, exec_lo
.LBB53_130:
	s_or_b32 exec_lo, exec_lo, s0
	s_and_saveexec_b32 s0, s3
	s_cbranch_execz .LBB53_124
.LBB53_131:
	v_dual_mov_b32 v0, 0 :: v_dual_mov_b32 v1, 1
	s_add_u32 s0, s6, s8
	s_addc_u32 s1, s7, s9
	s_waitcnt_vscnt null, 0x0
	global_store_b32 v0, v1, s[0:1]
	s_nop 0
	s_sendmsg sendmsg(MSG_DEALLOC_VGPRS)
	s_endpgm
	.section	.rodata,"a",@progbits
	.p2align	6, 0x0
	.amdhsa_kernel _ZN9rocsparseL19bsric0_17_32_kernelILi64ELi64ELi32E21rocsparse_complex_numIfEEEv20rocsparse_direction_iiPKiS5_PT2_S5_PiS5_S8_21rocsparse_index_base_
		.amdhsa_group_segment_fixed_size 26112
		.amdhsa_private_segment_fixed_size 0
		.amdhsa_kernarg_size 76
		.amdhsa_user_sgpr_count 15
		.amdhsa_user_sgpr_dispatch_ptr 0
		.amdhsa_user_sgpr_queue_ptr 0
		.amdhsa_user_sgpr_kernarg_segment_ptr 1
		.amdhsa_user_sgpr_dispatch_id 0
		.amdhsa_user_sgpr_private_segment_size 0
		.amdhsa_wavefront_size32 1
		.amdhsa_uses_dynamic_stack 0
		.amdhsa_enable_private_segment 0
		.amdhsa_system_sgpr_workgroup_id_x 1
		.amdhsa_system_sgpr_workgroup_id_y 0
		.amdhsa_system_sgpr_workgroup_id_z 0
		.amdhsa_system_sgpr_workgroup_info 0
		.amdhsa_system_vgpr_workitem_id 1
		.amdhsa_next_free_vgpr 29
		.amdhsa_next_free_sgpr 45
		.amdhsa_reserve_vcc 1
		.amdhsa_float_round_mode_32 0
		.amdhsa_float_round_mode_16_64 0
		.amdhsa_float_denorm_mode_32 3
		.amdhsa_float_denorm_mode_16_64 3
		.amdhsa_dx10_clamp 1
		.amdhsa_ieee_mode 1
		.amdhsa_fp16_overflow 0
		.amdhsa_workgroup_processor_mode 1
		.amdhsa_memory_ordered 1
		.amdhsa_forward_progress 0
		.amdhsa_shared_vgpr_count 0
		.amdhsa_exception_fp_ieee_invalid_op 0
		.amdhsa_exception_fp_denorm_src 0
		.amdhsa_exception_fp_ieee_div_zero 0
		.amdhsa_exception_fp_ieee_overflow 0
		.amdhsa_exception_fp_ieee_underflow 0
		.amdhsa_exception_fp_ieee_inexact 0
		.amdhsa_exception_int_div_zero 0
	.end_amdhsa_kernel
	.section	.text._ZN9rocsparseL19bsric0_17_32_kernelILi64ELi64ELi32E21rocsparse_complex_numIfEEEv20rocsparse_direction_iiPKiS5_PT2_S5_PiS5_S8_21rocsparse_index_base_,"axG",@progbits,_ZN9rocsparseL19bsric0_17_32_kernelILi64ELi64ELi32E21rocsparse_complex_numIfEEEv20rocsparse_direction_iiPKiS5_PT2_S5_PiS5_S8_21rocsparse_index_base_,comdat
.Lfunc_end53:
	.size	_ZN9rocsparseL19bsric0_17_32_kernelILi64ELi64ELi32E21rocsparse_complex_numIfEEEv20rocsparse_direction_iiPKiS5_PT2_S5_PiS5_S8_21rocsparse_index_base_, .Lfunc_end53-_ZN9rocsparseL19bsric0_17_32_kernelILi64ELi64ELi32E21rocsparse_complex_numIfEEEv20rocsparse_direction_iiPKiS5_PT2_S5_PiS5_S8_21rocsparse_index_base_
                                        ; -- End function
	.section	.AMDGPU.csdata,"",@progbits
; Kernel info:
; codeLenInByte = 4844
; NumSgprs: 47
; NumVgprs: 29
; ScratchSize: 0
; MemoryBound: 0
; FloatMode: 240
; IeeeMode: 1
; LDSByteSize: 26112 bytes/workgroup (compile time only)
; SGPRBlocks: 5
; VGPRBlocks: 3
; NumSGPRsForWavesPerEU: 47
; NumVGPRsForWavesPerEU: 29
; Occupancy: 3
; WaveLimiterHint : 1
; COMPUTE_PGM_RSRC2:SCRATCH_EN: 0
; COMPUTE_PGM_RSRC2:USER_SGPR: 15
; COMPUTE_PGM_RSRC2:TRAP_HANDLER: 0
; COMPUTE_PGM_RSRC2:TGID_X_EN: 1
; COMPUTE_PGM_RSRC2:TGID_Y_EN: 0
; COMPUTE_PGM_RSRC2:TGID_Z_EN: 0
; COMPUTE_PGM_RSRC2:TIDIG_COMP_CNT: 1
	.section	.text._ZN9rocsparseL17bsric0_2_8_kernelILi64ELi128ELi8E21rocsparse_complex_numIfEEEv20rocsparse_direction_iiPKiS5_PT2_S5_PiS5_S8_21rocsparse_index_base_,"axG",@progbits,_ZN9rocsparseL17bsric0_2_8_kernelILi64ELi128ELi8E21rocsparse_complex_numIfEEEv20rocsparse_direction_iiPKiS5_PT2_S5_PiS5_S8_21rocsparse_index_base_,comdat
	.globl	_ZN9rocsparseL17bsric0_2_8_kernelILi64ELi128ELi8E21rocsparse_complex_numIfEEEv20rocsparse_direction_iiPKiS5_PT2_S5_PiS5_S8_21rocsparse_index_base_ ; -- Begin function _ZN9rocsparseL17bsric0_2_8_kernelILi64ELi128ELi8E21rocsparse_complex_numIfEEEv20rocsparse_direction_iiPKiS5_PT2_S5_PiS5_S8_21rocsparse_index_base_
	.p2align	8
	.type	_ZN9rocsparseL17bsric0_2_8_kernelILi64ELi128ELi8E21rocsparse_complex_numIfEEEv20rocsparse_direction_iiPKiS5_PT2_S5_PiS5_S8_21rocsparse_index_base_,@function
_ZN9rocsparseL17bsric0_2_8_kernelILi64ELi128ELi8E21rocsparse_complex_numIfEEEv20rocsparse_direction_iiPKiS5_PT2_S5_PiS5_S8_21rocsparse_index_base_: ; @_ZN9rocsparseL17bsric0_2_8_kernelILi64ELi128ELi8E21rocsparse_complex_numIfEEEv20rocsparse_direction_iiPKiS5_PT2_S5_PiS5_S8_21rocsparse_index_base_
; %bb.0:
	s_load_b256 s[4:11], s[0:1], 0x28
	s_mov_b32 s2, s15
	s_mov_b32 s3, 0
	v_and_b32_e32 v11, 0x3ff, v0
	s_lshl_b64 s[12:13], s[2:3], 2
	v_bfe_u32 v12, v0, 10, 10
	s_waitcnt lgkmcnt(0)
	s_add_u32 s8, s8, s12
	s_addc_u32 s9, s9, s13
	s_load_b32 s16, s[8:9], 0x0
	s_waitcnt lgkmcnt(0)
	s_ashr_i32 s17, s16, 31
	s_delay_alu instid0(SALU_CYCLE_1) | instskip(NEXT) | instid1(SALU_CYCLE_1)
	s_lshl_b64 s[8:9], s[16:17], 2
	s_add_u32 s12, s4, s8
	s_addc_u32 s13, s5, s9
	s_load_b32 s28, s[12:13], 0x0
	s_load_b32 s17, s[0:1], 0x48
	s_waitcnt lgkmcnt(0)
	s_cmp_lg_u32 s28, -1
	s_cbranch_scc0 .LBB54_82
; %bb.1:
	s_clause 0x1
	s_load_b128 s[12:15], s[0:1], 0x10
	s_load_b64 s[18:19], s[0:1], 0x20
	v_lshlrev_b32_e32 v15, 3, v12
	s_waitcnt lgkmcnt(0)
	s_add_u32 s2, s12, s8
	s_addc_u32 s3, s13, s9
	s_load_b32 s2, s[2:3], 0x0
	s_mov_b32 s3, exec_lo
	s_waitcnt lgkmcnt(0)
	s_sub_i32 s30, s2, s17
	s_delay_alu instid0(SALU_CYCLE_1) | instskip(NEXT) | instid1(VALU_DEP_1)
	v_add3_u32 v0, v15, v11, s30
	v_cmpx_ge_i32_e64 s28, v0
	s_cbranch_execz .LBB54_4
; %bb.2:
	v_ashrrev_i32_e32 v1, 31, v0
	v_lshlrev_b32_e32 v3, 5, v12
	v_lshlrev_b32_e32 v4, 2, v11
	s_mov_b32 s20, 0
	s_delay_alu instid0(VALU_DEP_3) | instskip(NEXT) | instid1(VALU_DEP_2)
	v_lshlrev_b64 v[1:2], 2, v[0:1]
	v_add3_u32 v3, v3, v4, 0xd00
	s_delay_alu instid0(VALU_DEP_2) | instskip(NEXT) | instid1(VALU_DEP_3)
	v_add_co_u32 v1, vcc_lo, s14, v1
	v_add_co_ci_u32_e32 v2, vcc_lo, s15, v2, vcc_lo
	.p2align	6
.LBB54_3:                               ; =>This Inner Loop Header: Depth=1
	global_load_b32 v4, v[1:2], off
	v_add_nc_u32_e32 v0, 64, v0
	v_add_co_u32 v1, vcc_lo, 0x100, v1
	v_add_co_ci_u32_e32 v2, vcc_lo, 0, v2, vcc_lo
	s_delay_alu instid0(VALU_DEP_3) | instskip(NEXT) | instid1(VALU_DEP_1)
	v_cmp_lt_i32_e64 s2, s28, v0
	s_or_b32 s20, s2, s20
	s_waitcnt vmcnt(0)
	v_subrev_nc_u32_e32 v4, s17, v4
	ds_store_b32 v3, v4
	v_add_nc_u32_e32 v3, 0x100, v3
	s_and_not1_b32 exec_lo, exec_lo, s20
	s_cbranch_execnz .LBB54_3
.LBB54_4:
	s_or_b32 exec_lo, exec_lo, s3
	s_clause 0x1
	s_load_b32 s31, s[0:1], 0x0
	s_load_b32 s29, s[0:1], 0x8
	v_mov_b32_e32 v0, 0
	v_lshlrev_b32_e32 v2, 3, v11
	s_cmp_ge_i32 s30, s28
	s_delay_alu instid0(VALU_DEP_2) | instskip(NEXT) | instid1(VALU_DEP_2)
	v_mov_b32_e32 v1, v0
	v_mad_u32_u24 v13, 0x48, v12, v2
	s_delay_alu instid0(VALU_DEP_1)
	v_add_nc_u32_e32 v14, 0x6c0, v13
	ds_store_b64 v13, v[0:1] offset:1728
	s_waitcnt lgkmcnt(0)
	buffer_gl0_inv
	s_cbranch_scc1 .LBB54_58
; %bb.5:
	s_movk_i32 s2, 0x480
	v_cmp_gt_i32_e64 s0, s29, v11
	v_cmp_gt_i32_e64 s1, s29, v12
	v_mad_u32_u24 v16, 0x48, v12, s2
	v_or_b32_e32 v1, v11, v12
	s_cmp_eq_u32 s31, 0
	v_mul_lo_u32 v18, v11, s29
	v_mul_lo_u32 v19, v12, s29
	s_cselect_b32 vcc_lo, -1, 0
	s_cmp_lg_u32 s31, 0
	v_dual_cndmask_b32 v2, v11, v12 :: v_dual_add_nc_u32 v17, v16, v2
	s_cselect_b32 s33, -1, 0
	s_and_b32 s34, s0, s1
	v_add_nc_u32_e32 v20, 0x240, v13
	v_cmp_ne_u32_e64 s2, 0, v1
	v_cndmask_b32_e32 v1, v12, v11, vcc_lo
	v_mov_b32_e32 v21, 0
	s_cmp_gt_i32 s29, 0
	s_mul_i32 s36, s29, s29
	s_cselect_b32 s35, -1, 0
	s_mov_b32 s20, s30
	s_branch .LBB54_8
.LBB54_6:                               ;   in Loop: Header=BB54_8 Depth=1
	s_or_b32 exec_lo, exec_lo, s3
	s_add_i32 s20, s20, 1
	s_waitcnt_vscnt null, 0x0
	buffer_gl1_inv
	buffer_gl0_inv
	s_cmp_ge_i32 s20, s28
	s_cselect_b32 s25, -1, 0
.LBB54_7:                               ;   in Loop: Header=BB54_8 Depth=1
	s_delay_alu instid0(SALU_CYCLE_1)
	s_and_b32 vcc_lo, exec_lo, s25
	s_cbranch_vccnz .LBB54_58
.LBB54_8:                               ; =>This Loop Header: Depth=1
                                        ;     Child Loop BB54_13 Depth 2
                                        ;     Child Loop BB54_24 Depth 2
	;; [unrolled: 1-line block ×3, first 2 shown]
                                        ;       Child Loop BB54_55 Depth 3
	s_ashr_i32 s21, s20, 31
	s_delay_alu instid0(SALU_CYCLE_1) | instskip(NEXT) | instid1(SALU_CYCLE_1)
	s_lshl_b64 s[22:23], s[20:21], 2
	s_add_u32 s22, s14, s22
	s_addc_u32 s23, s15, s23
	s_load_b32 s21, s[22:23], 0x0
	s_waitcnt lgkmcnt(0)
	s_sub_i32 s24, s21, s17
	s_delay_alu instid0(SALU_CYCLE_1) | instskip(NEXT) | instid1(SALU_CYCLE_1)
	s_ashr_i32 s25, s24, 31
	s_lshl_b64 s[22:23], s[24:25], 2
	s_mov_b32 s25, -1
	s_add_u32 s26, s4, s22
	s_addc_u32 s27, s5, s23
	s_load_b32 s3, s[26:27], 0x0
	s_waitcnt lgkmcnt(0)
	s_cmp_eq_u32 s3, -1
	s_cbranch_scc1 .LBB54_7
; %bb.9:                                ;   in Loop: Header=BB54_8 Depth=1
	v_mov_b32_e32 v3, 0
	s_add_u32 s26, s12, s22
	s_addc_u32 s27, s13, s23
	s_mov_b32 s25, 0
	s_delay_alu instid0(VALU_DEP_1)
	v_mov_b32_e32 v4, v3
	s_and_saveexec_b32 s37, s34
	s_cbranch_execz .LBB54_11
; %bb.10:                               ;   in Loop: Header=BB54_8 Depth=1
	v_mad_u64_u32 v[3:4], null, s20, s29, v[2:3]
	s_delay_alu instid0(VALU_DEP_1) | instskip(NEXT) | instid1(VALU_DEP_1)
	v_mad_u64_u32 v[4:5], null, v3, s29, v[1:2]
	v_ashrrev_i32_e32 v5, 31, v4
	s_delay_alu instid0(VALU_DEP_1) | instskip(NEXT) | instid1(VALU_DEP_1)
	v_lshlrev_b64 v[3:4], 3, v[4:5]
	v_add_co_u32 v3, vcc_lo, s18, v3
	s_delay_alu instid0(VALU_DEP_2)
	v_add_co_ci_u32_e32 v4, vcc_lo, s19, v4, vcc_lo
	global_load_b64 v[3:4], v[3:4], off
.LBB54_11:                              ;   in Loop: Header=BB54_8 Depth=1
	s_or_b32 exec_lo, exec_lo, s37
	s_load_b32 s26, s[26:27], 0x0
	ds_load_b32 v5, v21 offset:3328
	s_waitcnt vmcnt(0)
	ds_store_b64 v17, v[3:4]
	s_waitcnt lgkmcnt(0)
	s_sub_i32 s26, s26, s17
	v_cmp_ge_i32_e32 vcc_lo, s24, v5
	s_cmp_le_i32 s26, s3
	s_cselect_b32 s27, -1, 0
	s_delay_alu instid0(SALU_CYCLE_1) | instskip(NEXT) | instid1(SALU_CYCLE_1)
	s_and_b32 s27, s27, vcc_lo
	s_and_not1_b32 vcc_lo, exec_lo, s27
	s_cbranch_vccnz .LBB54_23
; %bb.12:                               ;   in Loop: Header=BB54_8 Depth=1
	s_mov_b32 s37, 0
	s_mov_b32 s38, 0
.LBB54_13:                              ;   Parent Loop BB54_8 Depth=1
                                        ; =>  This Inner Loop Header: Depth=2
	s_ashr_i32 s27, s26, 31
                                        ; implicit-def: $sgpr39
	s_delay_alu instid0(SALU_CYCLE_1) | instskip(NEXT) | instid1(SALU_CYCLE_1)
	s_lshl_b64 s[40:41], s[26:27], 2
	s_add_u32 s40, s14, s40
	s_addc_u32 s41, s15, s41
	s_lshl_b32 s25, s38, 2
	s_delay_alu instid0(SALU_CYCLE_1)
	v_mov_b32_e32 v3, s25
	s_load_b32 s25, s[40:41], 0x0
	s_mov_b32 s41, -1
                                        ; implicit-def: $sgpr40
	ds_load_b32 v3, v3 offset:3328
	s_waitcnt lgkmcnt(0)
	s_sub_i32 s42, s25, s17
                                        ; implicit-def: $sgpr25
	s_delay_alu instid0(SALU_CYCLE_1)
	v_cmp_ge_i32_e32 vcc_lo, s42, v3
	v_readfirstlane_b32 s27, v3
	s_cbranch_vccz .LBB54_19
; %bb.14:                               ;   in Loop: Header=BB54_13 Depth=2
	s_delay_alu instid0(VALU_DEP_1)
	s_cmp_le_i32 s42, s27
                                        ; implicit-def: $sgpr25
                                        ; implicit-def: $sgpr40
                                        ; implicit-def: $sgpr39
	s_cbranch_scc0 .LBB54_16
; %bb.15:                               ;   in Loop: Header=BB54_13 Depth=2
	s_add_i32 s25, s38, s30
	s_lshl_b32 s39, s37, 2
	s_mul_i32 s25, s25, s36
	s_delay_alu instid0(SALU_CYCLE_1)
	v_dual_mov_b32 v3, s39 :: v_dual_mov_b32 v4, s25
	s_mul_i32 s39, s26, s36
	s_add_i32 s40, s26, 1
	v_mov_b32_e32 v5, s39
	s_add_i32 s39, s38, 1
	s_add_i32 s25, s37, 1
	s_mov_b32 s41, 0
	ds_store_2addr_stride64_b32 v3, v5, v4 offset0:9 offset1:11
.LBB54_16:                              ;   in Loop: Header=BB54_13 Depth=2
	s_and_not1_b32 vcc_lo, exec_lo, s41
	s_cbranch_vccnz .LBB54_18
; %bb.17:                               ;   in Loop: Header=BB54_13 Depth=2
	s_add_i32 s39, s38, 1
	s_mov_b32 s25, s37
	s_mov_b32 s40, s26
.LBB54_18:                              ;   in Loop: Header=BB54_13 Depth=2
	s_mov_b32 s41, 0
.LBB54_19:                              ;   in Loop: Header=BB54_13 Depth=2
	s_delay_alu instid0(SALU_CYCLE_1)
	s_and_not1_b32 vcc_lo, exec_lo, s41
	s_cbranch_vccnz .LBB54_21
; %bb.20:                               ;   in Loop: Header=BB54_13 Depth=2
	s_add_i32 s40, s26, 1
	s_mov_b32 s39, s38
	s_mov_b32 s25, s37
.LBB54_21:                              ;   in Loop: Header=BB54_13 Depth=2
	s_cmp_le_i32 s40, s3
	s_cselect_b32 s26, -1, 0
	s_cmp_le_i32 s27, s24
	s_cselect_b32 s27, -1, 0
	s_delay_alu instid0(SALU_CYCLE_1) | instskip(NEXT) | instid1(SALU_CYCLE_1)
	s_and_b32 s26, s26, s27
	s_and_b32 vcc_lo, exec_lo, s26
	s_cbranch_vccz .LBB54_23
; %bb.22:                               ;   in Loop: Header=BB54_13 Depth=2
	s_mov_b32 s37, s25
	s_mov_b32 s26, s40
	;; [unrolled: 1-line block ×3, first 2 shown]
	s_branch .LBB54_13
.LBB54_23:                              ;   in Loop: Header=BB54_8 Depth=1
	s_add_u32 s22, s6, s22
	s_addc_u32 s23, s7, s23
	s_waitcnt lgkmcnt(0)
	buffer_gl0_inv
.LBB54_24:                              ;   Parent Loop BB54_8 Depth=1
                                        ; =>  This Inner Loop Header: Depth=2
	global_load_b32 v3, v21, s[22:23] glc
	s_waitcnt vmcnt(0)
	v_cmp_eq_u32_e32 vcc_lo, 0, v3
	s_cbranch_vccnz .LBB54_24
; %bb.25:                               ;   in Loop: Header=BB54_8 Depth=1
	v_dual_mov_b32 v7, 0 :: v_dual_mov_b32 v4, 0
	v_mov_b32_e32 v3, 0
	buffer_gl1_inv
	buffer_gl0_inv
	s_and_saveexec_b32 s22, s34
	s_cbranch_execz .LBB54_27
; %bb.26:                               ;   in Loop: Header=BB54_8 Depth=1
	v_mad_u64_u32 v[3:4], null, s3, s29, v[2:3]
	s_delay_alu instid0(VALU_DEP_1) | instskip(NEXT) | instid1(VALU_DEP_1)
	v_mad_u64_u32 v[4:5], null, v3, s29, v[1:2]
	v_ashrrev_i32_e32 v5, 31, v4
	s_delay_alu instid0(VALU_DEP_1) | instskip(NEXT) | instid1(VALU_DEP_1)
	v_lshlrev_b64 v[3:4], 3, v[4:5]
	v_add_co_u32 v3, vcc_lo, s18, v3
	s_delay_alu instid0(VALU_DEP_2)
	v_add_co_ci_u32_e32 v4, vcc_lo, s19, v4, vcc_lo
	global_load_b64 v[3:4], v[3:4], off
.LBB54_27:                              ;   in Loop: Header=BB54_8 Depth=1
	s_or_b32 exec_lo, exec_lo, s22
	v_mov_b32_e32 v6, 0
	s_cmp_lt_i32 s25, 2
	s_waitcnt vmcnt(0)
	ds_store_b64 v13, v[3:4]
	s_waitcnt lgkmcnt(0)
	buffer_gl0_inv
	s_cbranch_scc1 .LBB54_46
; %bb.28:                               ;   in Loop: Header=BB54_8 Depth=1
	v_dual_mov_b32 v22, 0 :: v_dual_mov_b32 v23, 0
	s_add_i32 s3, s25, -2
	s_mov_b32 s22, 0
	s_and_not1_b32 vcc_lo, exec_lo, s35
	s_cbranch_vccnz .LBB54_43
.LBB54_29:                              ;   in Loop: Header=BB54_8 Depth=1
	s_lshl_b32 s23, s22, 2
	s_delay_alu instid0(SALU_CYCLE_1)
	v_mov_b32_e32 v3, s23
	s_mov_b32 s23, 0
	ds_load_2addr_stride64_b32 v[4:5], v3 offset0:9 offset1:11
	s_waitcnt lgkmcnt(0)
	v_add_nc_u32_e32 v24, v4, v18
	v_add_nc_u32_e32 v25, v5, v19
	;; [unrolled: 1-line block ×4, first 2 shown]
	s_and_b32 vcc_lo, exec_lo, s33
	s_cbranch_vccz .LBB54_35
.LBB54_30:                              ;   in Loop: Header=BB54_8 Depth=1
	v_dual_mov_b32 v7, 0 :: v_dual_mov_b32 v10, 0
	v_mov_b32_e32 v9, 0
	s_and_saveexec_b32 s24, s0
	s_cbranch_execz .LBB54_32
; %bb.31:                               ;   in Loop: Header=BB54_8 Depth=1
	v_ashrrev_i32_e32 v6, 31, v5
	s_delay_alu instid0(VALU_DEP_1) | instskip(NEXT) | instid1(VALU_DEP_1)
	v_lshlrev_b64 v[8:9], 3, v[5:6]
	v_add_co_u32 v8, vcc_lo, s18, v8
	s_delay_alu instid0(VALU_DEP_2)
	v_add_co_ci_u32_e32 v9, vcc_lo, s19, v9, vcc_lo
	global_load_b64 v[9:10], v[8:9], off
.LBB54_32:                              ;   in Loop: Header=BB54_8 Depth=1
	s_or_b32 exec_lo, exec_lo, s24
	v_mov_b32_e32 v8, 0
	s_mov_b32 s24, 0
	s_and_saveexec_b32 s25, s1
	s_cbranch_execz .LBB54_34
; %bb.33:                               ;   in Loop: Header=BB54_8 Depth=1
	v_ashrrev_i32_e32 v4, 31, v3
	s_delay_alu instid0(VALU_DEP_1) | instskip(NEXT) | instid1(VALU_DEP_1)
	v_lshlrev_b64 v[6:7], 3, v[3:4]
	v_add_co_u32 v6, vcc_lo, s18, v6
	s_delay_alu instid0(VALU_DEP_2)
	v_add_co_ci_u32_e32 v7, vcc_lo, s19, v7, vcc_lo
	global_load_b64 v[7:8], v[6:7], off
.LBB54_34:                              ;   in Loop: Header=BB54_8 Depth=1
	s_or_b32 exec_lo, exec_lo, s25
	s_waitcnt vmcnt(0)
	v_fma_f32 v6, v9, v7, v23
	v_fma_f32 v4, v10, v7, v22
	s_delay_alu instid0(VALU_DEP_2) | instskip(NEXT) | instid1(VALU_DEP_2)
	v_fmac_f32_e32 v6, v10, v8
	v_fma_f32 v7, v9, -v8, v4
	s_and_b32 vcc_lo, exec_lo, s24
	s_cbranch_vccnz .LBB54_36
	s_branch .LBB54_41
.LBB54_35:                              ;   in Loop: Header=BB54_8 Depth=1
                                        ; implicit-def: $vgpr7
	s_cbranch_execz .LBB54_41
.LBB54_36:                              ;   in Loop: Header=BB54_8 Depth=1
	v_dual_mov_b32 v6, 0 :: v_dual_mov_b32 v9, 0
	v_mov_b32_e32 v8, 0
	s_and_saveexec_b32 s24, s0
	s_cbranch_execz .LBB54_38
; %bb.37:                               ;   in Loop: Header=BB54_8 Depth=1
	v_add_nc_u32_e32 v7, s23, v24
	s_delay_alu instid0(VALU_DEP_1) | instskip(NEXT) | instid1(VALU_DEP_1)
	v_ashrrev_i32_e32 v8, 31, v7
	v_lshlrev_b64 v[7:8], 3, v[7:8]
	s_delay_alu instid0(VALU_DEP_1) | instskip(NEXT) | instid1(VALU_DEP_2)
	v_add_co_u32 v7, vcc_lo, s18, v7
	v_add_co_ci_u32_e32 v8, vcc_lo, s19, v8, vcc_lo
	global_load_b64 v[8:9], v[7:8], off
.LBB54_38:                              ;   in Loop: Header=BB54_8 Depth=1
	s_or_b32 exec_lo, exec_lo, s24
	v_mov_b32_e32 v7, 0
	s_and_saveexec_b32 s24, s1
	s_cbranch_execz .LBB54_40
; %bb.39:                               ;   in Loop: Header=BB54_8 Depth=1
	v_add_nc_u32_e32 v6, s23, v25
	s_delay_alu instid0(VALU_DEP_1) | instskip(NEXT) | instid1(VALU_DEP_1)
	v_ashrrev_i32_e32 v7, 31, v6
	v_lshlrev_b64 v[6:7], 3, v[6:7]
	s_delay_alu instid0(VALU_DEP_1) | instskip(NEXT) | instid1(VALU_DEP_2)
	v_add_co_u32 v6, vcc_lo, s18, v6
	v_add_co_ci_u32_e32 v7, vcc_lo, s19, v7, vcc_lo
	global_load_b64 v[6:7], v[6:7], off
.LBB54_40:                              ;   in Loop: Header=BB54_8 Depth=1
	s_or_b32 exec_lo, exec_lo, s24
	s_waitcnt vmcnt(0)
	v_fmac_f32_e32 v23, v8, v6
	v_fmac_f32_e32 v22, v9, v6
	s_delay_alu instid0(VALU_DEP_2) | instskip(NEXT) | instid1(VALU_DEP_2)
	v_fmac_f32_e32 v23, v9, v7
	v_fma_f32 v7, v8, -v7, v22
	s_delay_alu instid0(VALU_DEP_2)
	v_mov_b32_e32 v6, v23
.LBB54_41:                              ;   in Loop: Header=BB54_8 Depth=1
	v_add_nc_u32_e32 v3, s29, v3
	v_add_nc_u32_e32 v5, s29, v5
	s_add_i32 s23, s23, 1
	s_delay_alu instid0(SALU_CYCLE_1)
	s_cmp_eq_u32 s29, s23
	s_cbranch_scc1 .LBB54_44
; %bb.42:                               ;   in Loop: Header=BB54_8 Depth=1
	v_dual_mov_b32 v22, v7 :: v_dual_mov_b32 v23, v6
	s_and_b32 vcc_lo, exec_lo, s33
	s_cbranch_vccz .LBB54_35
	s_branch .LBB54_30
.LBB54_43:                              ;   in Loop: Header=BB54_8 Depth=1
	v_dual_mov_b32 v7, v22 :: v_dual_mov_b32 v6, v23
.LBB54_44:                              ;   in Loop: Header=BB54_8 Depth=1
	s_add_i32 s23, s22, 1
	s_cmp_eq_u32 s22, s3
	s_cbranch_scc1 .LBB54_46
; %bb.45:                               ;   in Loop: Header=BB54_8 Depth=1
	s_delay_alu instid0(VALU_DEP_1)
	v_dual_mov_b32 v22, v7 :: v_dual_mov_b32 v23, v6
	s_mov_b32 s22, s23
	s_and_not1_b32 vcc_lo, exec_lo, s35
	s_cbranch_vccz .LBB54_29
	s_branch .LBB54_43
.LBB54_46:                              ;   in Loop: Header=BB54_8 Depth=1
	s_and_not1_b32 vcc_lo, exec_lo, s35
	ds_store_b64 v20, v[6:7]
	s_waitcnt lgkmcnt(0)
	buffer_gl0_inv
	s_cbranch_vccnz .LBB54_56
; %bb.47:                               ;   in Loop: Header=BB54_8 Depth=1
	s_mov_b32 s22, 0
	s_mov_b32 s23, 0
	s_branch .LBB54_49
.LBB54_48:                              ;   in Loop: Header=BB54_49 Depth=2
	v_dual_mul_f32 v10, v8, v8 :: v_dual_add_nc_u32 v9, 0x480, v9
	s_waitcnt lgkmcnt(0)
	v_dual_sub_f32 v4, v4, v6 :: v_dual_sub_f32 v3, v3, v5
	s_addk_i32 s22, 0x48
	s_delay_alu instid0(VALU_DEP_1) | instskip(NEXT) | instid1(VALU_DEP_2)
	v_dual_fmac_f32 v10, v7, v7 :: v_dual_mul_f32 v5, v8, v4
	v_mul_f32_e64 v8, v8, -v3
	s_delay_alu instid0(VALU_DEP_2) | instskip(SKIP_1) | instid1(VALU_DEP_3)
	v_div_scale_f32 v22, null, v10, v10, 1.0
	v_div_scale_f32 v25, vcc_lo, 1.0, v10, 1.0
	v_fmac_f32_e32 v8, v4, v7
	s_delay_alu instid0(VALU_DEP_3) | instskip(SKIP_4) | instid1(VALU_DEP_1)
	v_rcp_f32_e32 v23, v22
	v_fmac_f32_e32 v5, v3, v7
	v_mul_u32_u24_e32 v7, 0x48, v11
	s_waitcnt_depctr 0xfff
	v_fma_f32 v24, -v22, v23, 1.0
	v_fmac_f32_e32 v23, v24, v23
	s_delay_alu instid0(VALU_DEP_1) | instskip(NEXT) | instid1(VALU_DEP_1)
	v_mul_f32_e32 v24, v25, v23
	v_fma_f32 v26, -v22, v24, v25
	s_delay_alu instid0(VALU_DEP_1) | instskip(NEXT) | instid1(VALU_DEP_1)
	v_fmac_f32_e32 v24, v26, v23
	v_fma_f32 v6, -v22, v24, v25
	s_delay_alu instid0(VALU_DEP_1) | instskip(NEXT) | instid1(VALU_DEP_1)
	v_div_fmas_f32 v6, v6, v23, v24
	v_div_fixup_f32 v6, v6, v10, 1.0
	s_delay_alu instid0(VALU_DEP_1) | instskip(SKIP_3) | instid1(SALU_CYCLE_1)
	v_mul_f32_e32 v3, v6, v5
	v_mul_f32_e32 v4, v6, v8
	v_lshl_add_u32 v5, s23, 3, v7
	s_add_i32 s23, s23, 1
	s_cmp_eq_u32 s23, s29
	ds_store_b64 v9, v[3:4]
	s_waitcnt lgkmcnt(0)
	s_waitcnt_vscnt null, 0x0
	buffer_gl0_inv
	ds_load_b64 v[5:6], v5 offset:1152
	ds_load_b64 v[7:8], v14
	s_waitcnt lgkmcnt(0)
	v_fma_f32 v7, v3, v5, v7
	v_fmac_f32_e32 v8, v4, v5
	s_delay_alu instid0(VALU_DEP_2) | instskip(NEXT) | instid1(VALU_DEP_2)
	v_fmac_f32_e32 v7, v4, v6
	v_fma_f32 v8, v3, -v6, v8
	ds_store_b64 v14, v[7:8]
	s_waitcnt lgkmcnt(0)
	buffer_gl0_inv
	s_cbranch_scc1 .LBB54_56
.LBB54_49:                              ;   Parent Loop BB54_8 Depth=1
                                        ; =>  This Loop Header: Depth=2
                                        ;       Child Loop BB54_55 Depth 3
	s_lshl_b32 s3, s23, 3
	s_mul_i32 s24, s23, 0x48
	v_mad_u32_u24 v9, 0x48, v12, s3
	s_add_i32 s24, s3, s24
	s_delay_alu instid0(SALU_CYCLE_1)
	v_mov_b32_e32 v3, s24
	ds_load_b64 v[5:6], v3
	ds_load_b64 v[3:4], v9 offset:1152
	s_waitcnt lgkmcnt(1)
	v_cmp_neq_f32_e32 vcc_lo, 0, v5
	v_cmp_neq_f32_e64 s3, 0, v6
	s_delay_alu instid0(VALU_DEP_1) | instskip(SKIP_2) | instid1(SALU_CYCLE_1)
	s_or_b32 vcc_lo, vcc_lo, s3
	v_dual_cndmask_b32 v8, 0, v6 :: v_dual_cndmask_b32 v7, 1.0, v5
	s_or_b32 s3, vcc_lo, s2
	s_xor_b32 s24, s3, -1
	s_delay_alu instid0(SALU_CYCLE_1)
	s_and_saveexec_b32 s3, s24
	s_cbranch_execz .LBB54_53
; %bb.50:                               ;   in Loop: Header=BB54_49 Depth=2
	v_mbcnt_lo_u32_b32 v5, exec_lo, 0
	s_mov_b32 s24, exec_lo
	s_delay_alu instid0(VALU_DEP_1)
	v_cmpx_eq_u32_e32 0, v5
	s_cbranch_execz .LBB54_52
; %bb.51:                               ;   in Loop: Header=BB54_49 Depth=2
	v_mov_b32_e32 v5, s21
	global_atomic_min_i32 v21, v5, s[10:11]
.LBB54_52:                              ;   in Loop: Header=BB54_49 Depth=2
	s_or_b32 exec_lo, exec_lo, s24
	v_dual_mov_b32 v8, 0 :: v_dual_mov_b32 v7, 1.0
.LBB54_53:                              ;   in Loop: Header=BB54_49 Depth=2
	s_or_b32 exec_lo, exec_lo, s3
	v_mul_u32_u24_e32 v5, 0x48, v12
	s_cmp_eq_u32 s23, 0
	s_delay_alu instid0(VALU_DEP_1)
	v_lshl_add_u32 v5, s23, 3, v5
	ds_load_b64 v[5:6], v5 offset:576
	s_cbranch_scc1 .LBB54_48
; %bb.54:                               ;   in Loop: Header=BB54_49 Depth=2
	v_mov_b32_e32 v10, v16
	s_mov_b32 s3, 0
	s_mov_b32 s24, s22
.LBB54_55:                              ;   Parent Loop BB54_8 Depth=1
                                        ;     Parent Loop BB54_49 Depth=2
                                        ; =>    This Inner Loop Header: Depth=3
	s_delay_alu instid0(SALU_CYCLE_1)
	v_mov_b32_e32 v24, s24
	s_add_i32 s3, s3, 1
	s_add_i32 s24, s24, 8
	s_cmp_ge_u32 s3, s23
	ds_load_b64 v[22:23], v10
	ds_load_b64 v[24:25], v24
	v_add_nc_u32_e32 v10, 8, v10
	s_waitcnt lgkmcnt(0)
	v_fmac_f32_e32 v5, v24, v22
	v_fmac_f32_e32 v6, v25, v22
	s_delay_alu instid0(VALU_DEP_2) | instskip(NEXT) | instid1(VALU_DEP_2)
	v_fmac_f32_e32 v5, v25, v23
	v_fma_f32 v6, v24, -v23, v6
	s_cbranch_scc0 .LBB54_55
	s_branch .LBB54_48
.LBB54_56:                              ;   in Loop: Header=BB54_8 Depth=1
	s_and_saveexec_b32 s3, s34
	s_cbranch_execz .LBB54_6
; %bb.57:                               ;   in Loop: Header=BB54_8 Depth=1
	v_mad_u64_u32 v[3:4], null, s20, s29, v[2:3]
	ds_load_b64 v[6:7], v17
	v_mad_u64_u32 v[4:5], null, v3, s29, v[1:2]
	s_delay_alu instid0(VALU_DEP_1) | instskip(NEXT) | instid1(VALU_DEP_1)
	v_ashrrev_i32_e32 v5, 31, v4
	v_lshlrev_b64 v[3:4], 3, v[4:5]
	s_delay_alu instid0(VALU_DEP_1) | instskip(NEXT) | instid1(VALU_DEP_2)
	v_add_co_u32 v3, vcc_lo, s18, v3
	v_add_co_ci_u32_e32 v4, vcc_lo, s19, v4, vcc_lo
	s_waitcnt lgkmcnt(0)
	global_store_b64 v[3:4], v[6:7], off
	s_branch .LBB54_6
.LBB54_58:
	v_max_i32_e32 v1, v11, v12
	s_cmp_eq_u32 s31, 0
	s_cselect_b32 vcc_lo, -1, 0
	v_dual_cndmask_b32 v2, v12, v11 :: v_dual_cndmask_b32 v3, v11, v12
	s_delay_alu instid0(VALU_DEP_2) | instskip(SKIP_1) | instid1(VALU_DEP_2)
	v_cmp_gt_i32_e64 s0, s29, v1
	v_mov_b32_e32 v1, 0
	s_and_saveexec_b32 s1, s0
	s_cbranch_execz .LBB54_60
; %bb.59:
	v_mad_u64_u32 v[0:1], null, s28, s29, v[3:4]
	s_delay_alu instid0(VALU_DEP_1) | instskip(NEXT) | instid1(VALU_DEP_1)
	v_mad_u64_u32 v[4:5], null, v0, s29, v[2:3]
	v_ashrrev_i32_e32 v5, 31, v4
	s_delay_alu instid0(VALU_DEP_1) | instskip(NEXT) | instid1(VALU_DEP_1)
	v_lshlrev_b64 v[0:1], 3, v[4:5]
	v_add_co_u32 v0, vcc_lo, s18, v0
	s_delay_alu instid0(VALU_DEP_2)
	v_add_co_ci_u32_e32 v1, vcc_lo, s19, v1, vcc_lo
	global_load_b64 v[0:1], v[0:1], off
.LBB54_60:
	s_or_b32 exec_lo, exec_lo, s1
	s_movk_i32 s3, 0x480
	s_cmp_lt_i32 s29, 1
	s_waitcnt vmcnt(0)
	ds_store_b64 v13, v[0:1] offset:1152
	s_waitcnt lgkmcnt(0)
	buffer_gl0_inv
	s_cbranch_scc1 .LBB54_77
; %bb.61:
	v_or_b32_e32 v0, v11, v12
	v_mad_u32_u24 v4, 0x48, v12, s3
	v_mul_u32_u24_e32 v1, 0x48, v12
	v_mad_u32_u24 v7, 0x48, v11, s3
	s_mov_b32 s4, 0
	v_cmp_ne_u32_e64 s1, 0, v0
	v_add_nc_u32_e32 v5, v4, v15
	v_add3_u32 v6, v1, v15, 0x6c0
	v_mov_b32_e32 v1, 0
	s_add_i32 s5, s16, s17
	s_branch .LBB54_63
.LBB54_62:                              ;   in Loop: Header=BB54_63 Depth=1
	s_or_b32 exec_lo, exec_lo, s2
	v_add_nc_u32_e32 v4, 8, v4
	v_add_nc_u32_e32 v7, 8, v7
	s_add_i32 s4, s4, 1
	s_addk_i32 s3, 0x50
	s_cmp_eq_u32 s29, s4
	s_waitcnt lgkmcnt(0)
	s_waitcnt_vscnt null, 0x0
	buffer_gl0_inv
	s_cbranch_scc1 .LBB54_77
.LBB54_63:                              ; =>This Inner Loop Header: Depth=1
	s_mov_b32 s12, exec_lo
	v_cmpx_eq_u32_e64 s4, v12
	s_cbranch_execz .LBB54_71
; %bb.64:                               ;   in Loop: Header=BB54_63 Depth=1
	ds_load_b64 v[8:9], v5
	ds_load_b64 v[15:16], v6
	s_mov_b32 s2, exec_lo
	s_waitcnt lgkmcnt(0)
	v_sub_f32_e32 v0, v8, v15
	v_sub_f32_e32 v10, v9, v16
                                        ; implicit-def: $vgpr9
	s_delay_alu instid0(VALU_DEP_2) | instskip(SKIP_1) | instid1(VALU_DEP_3)
	v_cmp_gt_f32_e32 vcc_lo, 0, v0
	v_cndmask_b32_e64 v0, v0, -v0, vcc_lo
	v_cmp_gt_f32_e32 vcc_lo, 0, v10
	v_cndmask_b32_e64 v8, v10, -v10, vcc_lo
	s_delay_alu instid0(VALU_DEP_1)
	v_cmpx_ngt_f32_e32 v0, v8
	s_xor_b32 s13, exec_lo, s2
	s_cbranch_execz .LBB54_68
; %bb.65:                               ;   in Loop: Header=BB54_63 Depth=1
	v_mov_b32_e32 v9, 0
	s_mov_b32 s14, exec_lo
	v_cmpx_neq_f32_e32 0, v10
	s_cbranch_execz .LBB54_67
; %bb.66:                               ;   in Loop: Header=BB54_63 Depth=1
	v_div_scale_f32 v9, null, v8, v8, v0
	v_div_scale_f32 v16, vcc_lo, v0, v8, v0
	s_delay_alu instid0(VALU_DEP_2) | instskip(SKIP_2) | instid1(VALU_DEP_1)
	v_rcp_f32_e32 v10, v9
	s_waitcnt_depctr 0xfff
	v_fma_f32 v15, -v9, v10, 1.0
	v_fmac_f32_e32 v10, v15, v10
	s_delay_alu instid0(VALU_DEP_1) | instskip(NEXT) | instid1(VALU_DEP_1)
	v_mul_f32_e32 v15, v16, v10
	v_fma_f32 v17, -v9, v15, v16
	s_delay_alu instid0(VALU_DEP_1) | instskip(NEXT) | instid1(VALU_DEP_1)
	v_fmac_f32_e32 v15, v17, v10
	v_fma_f32 v9, -v9, v15, v16
	s_delay_alu instid0(VALU_DEP_1) | instskip(NEXT) | instid1(VALU_DEP_1)
	v_div_fmas_f32 v9, v9, v10, v15
	v_div_fixup_f32 v0, v9, v8, v0
	s_delay_alu instid0(VALU_DEP_1) | instskip(NEXT) | instid1(VALU_DEP_1)
	v_fma_f32 v0, v0, v0, 1.0
	v_mul_f32_e32 v9, 0x4f800000, v0
	v_cmp_gt_f32_e32 vcc_lo, 0xf800000, v0
	s_delay_alu instid0(VALU_DEP_2) | instskip(NEXT) | instid1(VALU_DEP_1)
	v_cndmask_b32_e32 v0, v0, v9, vcc_lo
	v_sqrt_f32_e32 v9, v0
	s_waitcnt_depctr 0xfff
	v_add_nc_u32_e32 v10, -1, v9
	v_add_nc_u32_e32 v15, 1, v9
	s_delay_alu instid0(VALU_DEP_2) | instskip(NEXT) | instid1(VALU_DEP_2)
	v_fma_f32 v16, -v10, v9, v0
	v_fma_f32 v17, -v15, v9, v0
	s_delay_alu instid0(VALU_DEP_2) | instskip(NEXT) | instid1(VALU_DEP_1)
	v_cmp_ge_f32_e64 s2, 0, v16
	v_cndmask_b32_e64 v9, v9, v10, s2
	s_delay_alu instid0(VALU_DEP_3) | instskip(NEXT) | instid1(VALU_DEP_1)
	v_cmp_lt_f32_e64 s2, 0, v17
	v_cndmask_b32_e64 v9, v9, v15, s2
	s_delay_alu instid0(VALU_DEP_1) | instskip(NEXT) | instid1(VALU_DEP_1)
	v_mul_f32_e32 v10, 0x37800000, v9
	v_cndmask_b32_e32 v9, v9, v10, vcc_lo
	v_cmp_class_f32_e64 vcc_lo, v0, 0x260
	s_delay_alu instid0(VALU_DEP_2) | instskip(NEXT) | instid1(VALU_DEP_1)
	v_cndmask_b32_e32 v0, v9, v0, vcc_lo
	v_mul_f32_e32 v9, v8, v0
.LBB54_67:                              ;   in Loop: Header=BB54_63 Depth=1
	s_or_b32 exec_lo, exec_lo, s14
                                        ; implicit-def: $vgpr0
                                        ; implicit-def: $vgpr8
.LBB54_68:                              ;   in Loop: Header=BB54_63 Depth=1
	s_and_not1_saveexec_b32 s13, s13
	s_cbranch_execz .LBB54_70
; %bb.69:                               ;   in Loop: Header=BB54_63 Depth=1
	v_div_scale_f32 v9, null, v0, v0, v8
	v_div_scale_f32 v16, vcc_lo, v8, v0, v8
	s_delay_alu instid0(VALU_DEP_2) | instskip(SKIP_2) | instid1(VALU_DEP_1)
	v_rcp_f32_e32 v10, v9
	s_waitcnt_depctr 0xfff
	v_fma_f32 v15, -v9, v10, 1.0
	v_fmac_f32_e32 v10, v15, v10
	s_delay_alu instid0(VALU_DEP_1) | instskip(NEXT) | instid1(VALU_DEP_1)
	v_mul_f32_e32 v15, v16, v10
	v_fma_f32 v17, -v9, v15, v16
	s_delay_alu instid0(VALU_DEP_1) | instskip(NEXT) | instid1(VALU_DEP_1)
	v_fmac_f32_e32 v15, v17, v10
	v_fma_f32 v9, -v9, v15, v16
	s_delay_alu instid0(VALU_DEP_1) | instskip(NEXT) | instid1(VALU_DEP_1)
	v_div_fmas_f32 v9, v9, v10, v15
	v_div_fixup_f32 v8, v9, v0, v8
	s_delay_alu instid0(VALU_DEP_1) | instskip(NEXT) | instid1(VALU_DEP_1)
	v_fma_f32 v8, v8, v8, 1.0
	v_mul_f32_e32 v9, 0x4f800000, v8
	v_cmp_gt_f32_e32 vcc_lo, 0xf800000, v8
	s_delay_alu instid0(VALU_DEP_2) | instskip(NEXT) | instid1(VALU_DEP_1)
	v_cndmask_b32_e32 v8, v8, v9, vcc_lo
	v_sqrt_f32_e32 v9, v8
	s_waitcnt_depctr 0xfff
	v_add_nc_u32_e32 v10, -1, v9
	v_add_nc_u32_e32 v15, 1, v9
	s_delay_alu instid0(VALU_DEP_2) | instskip(NEXT) | instid1(VALU_DEP_2)
	v_fma_f32 v16, -v10, v9, v8
	v_fma_f32 v17, -v15, v9, v8
	s_delay_alu instid0(VALU_DEP_2) | instskip(NEXT) | instid1(VALU_DEP_1)
	v_cmp_ge_f32_e64 s2, 0, v16
	v_cndmask_b32_e64 v9, v9, v10, s2
	s_delay_alu instid0(VALU_DEP_3) | instskip(NEXT) | instid1(VALU_DEP_1)
	v_cmp_lt_f32_e64 s2, 0, v17
	v_cndmask_b32_e64 v9, v9, v15, s2
	s_delay_alu instid0(VALU_DEP_1) | instskip(NEXT) | instid1(VALU_DEP_1)
	v_mul_f32_e32 v10, 0x37800000, v9
	v_cndmask_b32_e32 v9, v9, v10, vcc_lo
	v_cmp_class_f32_e64 vcc_lo, v8, 0x260
	s_delay_alu instid0(VALU_DEP_2) | instskip(NEXT) | instid1(VALU_DEP_1)
	v_cndmask_b32_e32 v8, v9, v8, vcc_lo
	v_mul_f32_e32 v9, v0, v8
.LBB54_70:                              ;   in Loop: Header=BB54_63 Depth=1
	s_or_b32 exec_lo, exec_lo, s13
	s_delay_alu instid0(VALU_DEP_1) | instskip(SKIP_1) | instid1(VALU_DEP_2)
	v_mul_f32_e32 v0, 0x4f800000, v9
	v_cmp_gt_f32_e32 vcc_lo, 0xf800000, v9
	v_cndmask_b32_e32 v0, v9, v0, vcc_lo
	s_delay_alu instid0(VALU_DEP_1) | instskip(SKIP_3) | instid1(VALU_DEP_2)
	v_sqrt_f32_e32 v8, v0
	s_waitcnt_depctr 0xfff
	v_add_nc_u32_e32 v9, -1, v8
	v_add_nc_u32_e32 v10, 1, v8
	v_fma_f32 v15, -v9, v8, v0
	s_delay_alu instid0(VALU_DEP_2) | instskip(NEXT) | instid1(VALU_DEP_2)
	v_fma_f32 v16, -v10, v8, v0
	v_cmp_ge_f32_e64 s2, 0, v15
	s_delay_alu instid0(VALU_DEP_1) | instskip(NEXT) | instid1(VALU_DEP_3)
	v_cndmask_b32_e64 v8, v8, v9, s2
	v_cmp_lt_f32_e64 s2, 0, v16
	s_delay_alu instid0(VALU_DEP_1) | instskip(NEXT) | instid1(VALU_DEP_1)
	v_cndmask_b32_e64 v8, v8, v10, s2
	v_mul_f32_e32 v9, 0x37800000, v8
	s_delay_alu instid0(VALU_DEP_1) | instskip(SKIP_1) | instid1(VALU_DEP_2)
	v_cndmask_b32_e32 v8, v8, v9, vcc_lo
	v_cmp_class_f32_e64 vcc_lo, v0, 0x260
	v_cndmask_b32_e32 v0, v8, v0, vcc_lo
	ds_store_b64 v5, v[0:1]
.LBB54_71:                              ;   in Loop: Header=BB54_63 Depth=1
	s_or_b32 exec_lo, exec_lo, s12
	v_mov_b32_e32 v0, s3
	s_waitcnt lgkmcnt(0)
	buffer_gl0_inv
	ds_load_b64 v[9:10], v0
	s_waitcnt lgkmcnt(0)
	v_cmp_neq_f32_e32 vcc_lo, 0, v9
	v_cmp_neq_f32_e64 s2, 0, v10
	s_delay_alu instid0(VALU_DEP_1) | instskip(SKIP_3) | instid1(SALU_CYCLE_1)
	s_or_b32 vcc_lo, vcc_lo, s2
	v_cndmask_b32_e32 v8, 0, v10, vcc_lo
	v_cndmask_b32_e32 v0, 1.0, v9, vcc_lo
	s_or_b32 s2, vcc_lo, s1
	s_xor_b32 s12, s2, -1
	s_delay_alu instid0(SALU_CYCLE_1)
	s_and_saveexec_b32 s2, s12
	s_cbranch_execz .LBB54_75
; %bb.72:                               ;   in Loop: Header=BB54_63 Depth=1
	v_mbcnt_lo_u32_b32 v0, exec_lo, 0
	s_mov_b32 s12, exec_lo
	s_delay_alu instid0(VALU_DEP_1)
	v_cmpx_eq_u32_e32 0, v0
	s_cbranch_execz .LBB54_74
; %bb.73:                               ;   in Loop: Header=BB54_63 Depth=1
	v_mov_b32_e32 v0, s5
	global_atomic_min_i32 v1, v0, s[10:11]
.LBB54_74:                              ;   in Loop: Header=BB54_63 Depth=1
	s_or_b32 exec_lo, exec_lo, s12
	v_mov_b32_e32 v8, 0
	v_mov_b32_e32 v0, 1.0
.LBB54_75:                              ;   in Loop: Header=BB54_63 Depth=1
	s_or_b32 exec_lo, exec_lo, s2
	s_delay_alu instid0(SALU_CYCLE_1)
	s_mov_b32 s2, exec_lo
	v_cmpx_lt_u32_e64 s4, v12
	s_cbranch_execz .LBB54_62
; %bb.76:                               ;   in Loop: Header=BB54_63 Depth=1
	v_mul_f32_e32 v9, v8, v8
	ds_load_2addr_b64 v[15:18], v4 offset1:72
	v_fmac_f32_e32 v9, v0, v0
	s_delay_alu instid0(VALU_DEP_1) | instskip(SKIP_1) | instid1(VALU_DEP_2)
	v_div_scale_f32 v10, null, v9, v9, 1.0
	v_div_scale_f32 v21, vcc_lo, 1.0, v9, 1.0
	v_rcp_f32_e32 v19, v10
	s_waitcnt lgkmcnt(0)
	v_dual_sub_f32 v16, v16, v18 :: v_dual_sub_f32 v15, v15, v17
	s_waitcnt_depctr 0xfff
	v_fma_f32 v20, -v10, v19, 1.0
	v_mul_f32_e32 v17, v8, v16
	v_mul_f32_e64 v18, v8, -v15
	s_delay_alu instid0(VALU_DEP_2) | instskip(NEXT) | instid1(VALU_DEP_4)
	v_fmac_f32_e32 v17, v15, v0
	v_fmac_f32_e32 v19, v20, v19
	s_delay_alu instid0(VALU_DEP_3) | instskip(NEXT) | instid1(VALU_DEP_2)
	v_fmac_f32_e32 v18, v16, v0
	v_mul_f32_e32 v20, v21, v19
	s_delay_alu instid0(VALU_DEP_1) | instskip(NEXT) | instid1(VALU_DEP_1)
	v_fma_f32 v22, -v10, v20, v21
	v_fmac_f32_e32 v20, v22, v19
	s_delay_alu instid0(VALU_DEP_1) | instskip(NEXT) | instid1(VALU_DEP_1)
	v_fma_f32 v10, -v10, v20, v21
	v_div_fmas_f32 v10, v10, v19, v20
	s_delay_alu instid0(VALU_DEP_1) | instskip(NEXT) | instid1(VALU_DEP_1)
	v_div_fixup_f32 v9, v10, v9, 1.0
	v_mul_f32_e32 v8, v9, v17
	v_mul_f32_e32 v9, v9, v18
	ds_store_b64 v4, v[8:9]
	s_waitcnt lgkmcnt(0)
	s_waitcnt_vscnt null, 0x0
	buffer_gl0_inv
	ds_load_b64 v[15:16], v7
	ds_load_b64 v[17:18], v14
	s_waitcnt lgkmcnt(0)
	v_fma_f32 v17, v8, v15, v17
	v_fmac_f32_e32 v18, v9, v15
	s_delay_alu instid0(VALU_DEP_2) | instskip(NEXT) | instid1(VALU_DEP_2)
	v_fmac_f32_e32 v17, v9, v16
	v_fma_f32 v18, v8, -v16, v18
	ds_store_b64 v14, v[17:18]
	s_branch .LBB54_62
.LBB54_77:
	s_and_saveexec_b32 s1, s0
	s_cbranch_execz .LBB54_79
; %bb.78:
	v_mad_u64_u32 v[0:1], null, s28, s29, v[3:4]
	s_delay_alu instid0(VALU_DEP_1) | instskip(SKIP_3) | instid1(VALU_DEP_1)
	v_mad_u64_u32 v[3:4], null, v0, s29, v[2:3]
	v_add_nc_u32_e32 v0, 0x480, v13
	ds_load_b64 v[0:1], v0
	v_ashrrev_i32_e32 v4, 31, v3
	v_lshlrev_b64 v[2:3], 3, v[3:4]
	s_delay_alu instid0(VALU_DEP_1) | instskip(NEXT) | instid1(VALU_DEP_2)
	v_add_co_u32 v2, vcc_lo, s18, v2
	v_add_co_ci_u32_e32 v3, vcc_lo, s19, v3, vcc_lo
	s_waitcnt lgkmcnt(0)
	global_store_b64 v[2:3], v[0:1], off
.LBB54_79:
	s_or_b32 exec_lo, exec_lo, s1
	v_or_b32_e32 v0, v11, v12
	s_delay_alu instid0(VALU_DEP_1)
	v_cmp_eq_u32_e64 s3, 0, v0
.LBB54_80:
	s_delay_alu instid0(VALU_DEP_1)
	s_and_saveexec_b32 s0, s3
	s_cbranch_execnz .LBB54_88
.LBB54_81:
	s_nop 0
	s_sendmsg sendmsg(MSG_DEALLOC_VGPRS)
	s_endpgm
.LBB54_82:
	s_cbranch_execz .LBB54_80
; %bb.83:
	v_or_b32_e32 v0, v11, v12
	s_mov_b32 s0, exec_lo
	s_delay_alu instid0(VALU_DEP_1)
	v_cmpx_eq_u32_e32 0, v0
	s_cbranch_execz .LBB54_87
; %bb.84:
	v_mbcnt_lo_u32_b32 v0, exec_lo, 0
	s_mov_b32 s1, exec_lo
	s_delay_alu instid0(VALU_DEP_1)
	v_cmpx_eq_u32_e32 0, v0
	s_cbranch_execz .LBB54_86
; %bb.85:
	s_add_i32 s2, s16, s17
	s_delay_alu instid0(SALU_CYCLE_1)
	v_dual_mov_b32 v0, 0 :: v_dual_mov_b32 v1, s2
	global_atomic_min_i32 v0, v1, s[10:11]
.LBB54_86:
	s_or_b32 exec_lo, exec_lo, s1
	s_delay_alu instid0(SALU_CYCLE_1)
	s_or_b32 s3, s3, exec_lo
.LBB54_87:
	s_or_b32 exec_lo, exec_lo, s0
	s_and_saveexec_b32 s0, s3
	s_cbranch_execz .LBB54_81
.LBB54_88:
	v_dual_mov_b32 v0, 0 :: v_dual_mov_b32 v1, 1
	s_add_u32 s0, s6, s8
	s_addc_u32 s1, s7, s9
	s_waitcnt_vscnt null, 0x0
	global_store_b32 v0, v1, s[0:1]
	s_nop 0
	s_sendmsg sendmsg(MSG_DEALLOC_VGPRS)
	s_endpgm
	.section	.rodata,"a",@progbits
	.p2align	6, 0x0
	.amdhsa_kernel _ZN9rocsparseL17bsric0_2_8_kernelILi64ELi128ELi8E21rocsparse_complex_numIfEEEv20rocsparse_direction_iiPKiS5_PT2_S5_PiS5_S8_21rocsparse_index_base_
		.amdhsa_group_segment_fixed_size 3840
		.amdhsa_private_segment_fixed_size 0
		.amdhsa_kernarg_size 76
		.amdhsa_user_sgpr_count 15
		.amdhsa_user_sgpr_dispatch_ptr 0
		.amdhsa_user_sgpr_queue_ptr 0
		.amdhsa_user_sgpr_kernarg_segment_ptr 1
		.amdhsa_user_sgpr_dispatch_id 0
		.amdhsa_user_sgpr_private_segment_size 0
		.amdhsa_wavefront_size32 1
		.amdhsa_uses_dynamic_stack 0
		.amdhsa_enable_private_segment 0
		.amdhsa_system_sgpr_workgroup_id_x 1
		.amdhsa_system_sgpr_workgroup_id_y 0
		.amdhsa_system_sgpr_workgroup_id_z 0
		.amdhsa_system_sgpr_workgroup_info 0
		.amdhsa_system_vgpr_workitem_id 1
		.amdhsa_next_free_vgpr 27
		.amdhsa_next_free_sgpr 43
		.amdhsa_reserve_vcc 1
		.amdhsa_float_round_mode_32 0
		.amdhsa_float_round_mode_16_64 0
		.amdhsa_float_denorm_mode_32 3
		.amdhsa_float_denorm_mode_16_64 3
		.amdhsa_dx10_clamp 1
		.amdhsa_ieee_mode 1
		.amdhsa_fp16_overflow 0
		.amdhsa_workgroup_processor_mode 1
		.amdhsa_memory_ordered 1
		.amdhsa_forward_progress 0
		.amdhsa_shared_vgpr_count 0
		.amdhsa_exception_fp_ieee_invalid_op 0
		.amdhsa_exception_fp_denorm_src 0
		.amdhsa_exception_fp_ieee_div_zero 0
		.amdhsa_exception_fp_ieee_overflow 0
		.amdhsa_exception_fp_ieee_underflow 0
		.amdhsa_exception_fp_ieee_inexact 0
		.amdhsa_exception_int_div_zero 0
	.end_amdhsa_kernel
	.section	.text._ZN9rocsparseL17bsric0_2_8_kernelILi64ELi128ELi8E21rocsparse_complex_numIfEEEv20rocsparse_direction_iiPKiS5_PT2_S5_PiS5_S8_21rocsparse_index_base_,"axG",@progbits,_ZN9rocsparseL17bsric0_2_8_kernelILi64ELi128ELi8E21rocsparse_complex_numIfEEEv20rocsparse_direction_iiPKiS5_PT2_S5_PiS5_S8_21rocsparse_index_base_,comdat
.Lfunc_end54:
	.size	_ZN9rocsparseL17bsric0_2_8_kernelILi64ELi128ELi8E21rocsparse_complex_numIfEEEv20rocsparse_direction_iiPKiS5_PT2_S5_PiS5_S8_21rocsparse_index_base_, .Lfunc_end54-_ZN9rocsparseL17bsric0_2_8_kernelILi64ELi128ELi8E21rocsparse_complex_numIfEEEv20rocsparse_direction_iiPKiS5_PT2_S5_PiS5_S8_21rocsparse_index_base_
                                        ; -- End function
	.section	.AMDGPU.csdata,"",@progbits
; Kernel info:
; codeLenInByte = 4116
; NumSgprs: 45
; NumVgprs: 27
; ScratchSize: 0
; MemoryBound: 0
; FloatMode: 240
; IeeeMode: 1
; LDSByteSize: 3840 bytes/workgroup (compile time only)
; SGPRBlocks: 5
; VGPRBlocks: 3
; NumSGPRsForWavesPerEU: 45
; NumVGPRsForWavesPerEU: 27
; Occupancy: 16
; WaveLimiterHint : 1
; COMPUTE_PGM_RSRC2:SCRATCH_EN: 0
; COMPUTE_PGM_RSRC2:USER_SGPR: 15
; COMPUTE_PGM_RSRC2:TRAP_HANDLER: 0
; COMPUTE_PGM_RSRC2:TGID_X_EN: 1
; COMPUTE_PGM_RSRC2:TGID_Y_EN: 0
; COMPUTE_PGM_RSRC2:TGID_Z_EN: 0
; COMPUTE_PGM_RSRC2:TIDIG_COMP_CNT: 1
	.section	.text._ZN9rocsparseL18bsric0_9_16_kernelILi64ELi128ELi16E21rocsparse_complex_numIfEEEv20rocsparse_direction_iiPKiS5_PT2_S5_PiS5_S8_21rocsparse_index_base_,"axG",@progbits,_ZN9rocsparseL18bsric0_9_16_kernelILi64ELi128ELi16E21rocsparse_complex_numIfEEEv20rocsparse_direction_iiPKiS5_PT2_S5_PiS5_S8_21rocsparse_index_base_,comdat
	.globl	_ZN9rocsparseL18bsric0_9_16_kernelILi64ELi128ELi16E21rocsparse_complex_numIfEEEv20rocsparse_direction_iiPKiS5_PT2_S5_PiS5_S8_21rocsparse_index_base_ ; -- Begin function _ZN9rocsparseL18bsric0_9_16_kernelILi64ELi128ELi16E21rocsparse_complex_numIfEEEv20rocsparse_direction_iiPKiS5_PT2_S5_PiS5_S8_21rocsparse_index_base_
	.p2align	8
	.type	_ZN9rocsparseL18bsric0_9_16_kernelILi64ELi128ELi16E21rocsparse_complex_numIfEEEv20rocsparse_direction_iiPKiS5_PT2_S5_PiS5_S8_21rocsparse_index_base_,@function
_ZN9rocsparseL18bsric0_9_16_kernelILi64ELi128ELi16E21rocsparse_complex_numIfEEEv20rocsparse_direction_iiPKiS5_PT2_S5_PiS5_S8_21rocsparse_index_base_: ; @_ZN9rocsparseL18bsric0_9_16_kernelILi64ELi128ELi16E21rocsparse_complex_numIfEEEv20rocsparse_direction_iiPKiS5_PT2_S5_PiS5_S8_21rocsparse_index_base_
; %bb.0:
	s_load_b256 s[4:11], s[0:1], 0x28
	s_mov_b32 s2, s15
	s_mov_b32 s3, 0
	v_and_b32_e32 v10, 0x3ff, v0
	s_lshl_b64 s[12:13], s[2:3], 2
	v_bfe_u32 v0, v0, 10, 10
	s_waitcnt lgkmcnt(0)
	s_add_u32 s8, s8, s12
	s_addc_u32 s9, s9, s13
	s_load_b32 s16, s[8:9], 0x0
	s_waitcnt lgkmcnt(0)
	s_ashr_i32 s17, s16, 31
	s_delay_alu instid0(SALU_CYCLE_1) | instskip(NEXT) | instid1(SALU_CYCLE_1)
	s_lshl_b64 s[8:9], s[16:17], 2
	s_add_u32 s12, s4, s8
	s_addc_u32 s13, s5, s9
	s_load_b32 s28, s[12:13], 0x0
	s_load_b32 s17, s[0:1], 0x48
	s_waitcnt lgkmcnt(0)
	s_cmp_lg_u32 s28, -1
	s_cbranch_scc0 .LBB55_137
; %bb.1:
	s_clause 0x1
	s_load_b128 s[12:15], s[0:1], 0x10
	s_load_b64 s[18:19], s[0:1], 0x20
	v_lshlrev_b32_e32 v1, 2, v0
	s_waitcnt lgkmcnt(0)
	s_add_u32 s2, s12, s8
	s_addc_u32 s3, s13, s9
	s_load_b32 s2, s[2:3], 0x0
	s_waitcnt lgkmcnt(0)
	s_sub_i32 s31, s2, s17
	s_mov_b32 s2, exec_lo
	v_add3_u32 v1, v1, v10, s31
	s_delay_alu instid0(VALU_DEP_1)
	v_cmpx_ge_i32_e64 s28, v1
	s_cbranch_execz .LBB55_4
; %bb.2:
	v_lshlrev_b32_e32 v2, 4, v0
	v_lshlrev_b32_e32 v3, 2, v10
	s_mov_b32 s3, 0
	s_delay_alu instid0(VALU_DEP_1)
	v_add3_u32 v3, v2, v3, 0x2600
	.p2align	6
.LBB55_3:                               ; =>This Inner Loop Header: Depth=1
	v_ashrrev_i32_e32 v2, 31, v1
	s_delay_alu instid0(VALU_DEP_1) | instskip(SKIP_1) | instid1(VALU_DEP_2)
	v_lshlrev_b64 v[4:5], 2, v[1:2]
	v_add_nc_u32_e32 v1, 64, v1
	v_add_co_u32 v4, vcc_lo, s14, v4
	s_delay_alu instid0(VALU_DEP_3) | instskip(NEXT) | instid1(VALU_DEP_3)
	v_add_co_ci_u32_e32 v5, vcc_lo, s15, v5, vcc_lo
	v_cmp_lt_i32_e32 vcc_lo, s28, v1
	global_load_b32 v2, v[4:5], off
	s_or_b32 s3, vcc_lo, s3
	s_waitcnt vmcnt(0)
	v_subrev_nc_u32_e32 v2, s17, v2
	ds_store_b32 v3, v2
	v_add_nc_u32_e32 v3, 0x100, v3
	s_and_not1_b32 exec_lo, exec_lo, s3
	s_cbranch_execnz .LBB55_3
.LBB55_4:
	s_or_b32 exec_lo, exec_lo, s2
	v_mul_u32_u24_e32 v11, 0x88, v0
	v_lshlrev_b32_e32 v12, 3, v10
	s_mov_b32 s2, exec_lo
	v_cmpx_gt_u32_e32 16, v10
	s_cbranch_execz .LBB55_7
; %bb.5:
	v_mov_b32_e32 v1, 0
	v_add_nc_u32_e32 v3, -4, v10
	v_add3_u32 v4, v11, v12, 0x1980
	s_mov_b32 s3, 0
	s_delay_alu instid0(VALU_DEP_3)
	v_mov_b32_e32 v2, v1
.LBB55_6:                               ; =>This Inner Loop Header: Depth=1
	s_delay_alu instid0(VALU_DEP_3) | instskip(SKIP_4) | instid1(SALU_CYCLE_1)
	v_add_nc_u32_e32 v3, 4, v3
	ds_store_b64 v4, v[1:2]
	v_add_nc_u32_e32 v4, 32, v4
	v_cmp_lt_u32_e32 vcc_lo, 11, v3
	s_or_b32 s3, vcc_lo, s3
	s_and_not1_b32 exec_lo, exec_lo, s3
	s_cbranch_execnz .LBB55_6
.LBB55_7:
	s_or_b32 exec_lo, exec_lo, s2
	s_clause 0x1
	s_load_b32 s29, s[0:1], 0x8
	s_load_b32 s30, s[0:1], 0x0
	s_cmp_ge_i32 s31, s28
	s_waitcnt lgkmcnt(0)
	buffer_gl0_inv
	v_cmp_gt_i32_e64 s0, s29, v10
	s_cbranch_scc1 .LBB55_92
; %bb.8:
	v_mad_u64_u32 v[1:2], null, s29, s31, v[0:1]
	v_or_b32_e32 v2, v10, v0
	v_mad_u32_u24 v13, 0x88, v0, v12
	v_mul_lo_u32 v14, v0, s29
	v_mul_lo_u32 v16, v10, s29
	s_movk_i32 s3, 0x1100
	s_cmp_lg_u32 s30, 0
	v_mul_lo_u32 v18, s29, v1
	v_cmp_gt_i32_e64 s1, s29, v0
	v_cmp_ne_u32_e64 s2, 0, v2
	v_add_nc_u32_e32 v15, 0x880, v13
	v_mad_u32_u24 v17, 0x88, v0, s3
	v_mad_u32_u24 v19, 0x88, v10, s3
	v_dual_mov_b32 v1, 0 :: v_dual_add_nc_u32 v20, 0x1980, v13
	v_add_nc_u32_e32 v21, 0x1100, v13
	s_cselect_b32 s33, -1, 0
	s_cmp_gt_i32 s29, 0
	s_mul_i32 s35, s29, s29
	s_cselect_b32 s34, -1, 0
	s_lshl_b32 s36, s29, 2
	s_mov_b32 s20, s31
	s_branch .LBB55_10
.LBB55_9:                               ;   in Loop: Header=BB55_10 Depth=1
	s_set_inst_prefetch_distance 0x2
	s_or_b32 exec_lo, exec_lo, s3
	s_add_i32 s20, s20, 1
	v_add_nc_u32_e32 v18, s35, v18
	s_cmp_ge_i32 s20, s28
	s_waitcnt_vscnt null, 0x0
	buffer_gl1_inv
	buffer_gl0_inv
	s_cselect_b32 s3, -1, 0
	s_delay_alu instid0(SALU_CYCLE_1)
	s_and_b32 vcc_lo, exec_lo, s3
	s_cbranch_vccnz .LBB55_92
.LBB55_10:                              ; =>This Loop Header: Depth=1
                                        ;     Child Loop BB55_14 Depth 2
                                        ;     Child Loop BB55_27 Depth 2
                                        ;     Child Loop BB55_38 Depth 2
                                        ;     Child Loop BB55_42 Depth 2
                                        ;     Child Loop BB55_56 Depth 2
                                        ;       Child Loop BB55_59 Depth 3
                                        ;     Child Loop BB55_72 Depth 2
                                        ;       Child Loop BB55_78 Depth 3
                                        ;       Child Loop BB55_81 Depth 3
                                        ;     Child Loop BB55_86 Depth 2
	s_ashr_i32 s21, s20, 31
	s_delay_alu instid0(SALU_CYCLE_1) | instskip(NEXT) | instid1(SALU_CYCLE_1)
	s_lshl_b64 s[22:23], s[20:21], 2
	s_add_u32 s22, s14, s22
	s_addc_u32 s23, s15, s23
	s_load_b32 s37, s[22:23], 0x0
	s_waitcnt lgkmcnt(0)
	s_sub_i32 s24, s37, s17
	s_delay_alu instid0(SALU_CYCLE_1) | instskip(NEXT) | instid1(SALU_CYCLE_1)
	s_ashr_i32 s25, s24, 31
	s_lshl_b64 s[22:23], s[24:25], 2
	s_delay_alu instid0(SALU_CYCLE_1)
	s_add_u32 s26, s4, s22
	s_addc_u32 s27, s5, s23
	s_load_b32 s3, s[26:27], 0x0
	s_waitcnt lgkmcnt(0)
	s_cmp_eq_u32 s3, -1
	s_cbranch_scc1 .LBB55_91
; %bb.11:                               ;   in Loop: Header=BB55_10 Depth=1
	s_add_u32 s26, s12, s22
	s_addc_u32 s27, s13, s23
	s_mul_i32 s21, s20, s29
	s_load_b32 s25, s[26:27], 0x0
	s_and_saveexec_b32 s26, s0
	s_cbranch_execz .LBB55_24
; %bb.12:                               ;   in Loop: Header=BB55_10 Depth=1
	v_dual_mov_b32 v5, v15 :: v_dual_mov_b32 v6, v10
	s_mov_b32 s27, 0
	s_branch .LBB55_14
.LBB55_13:                              ;   in Loop: Header=BB55_14 Depth=2
	s_or_b32 exec_lo, exec_lo, s39
	v_add_nc_u32_e32 v6, 4, v6
	v_mov_b32_e32 v2, v1
	s_waitcnt vmcnt(0)
	ds_store_b64 v5, v[3:4] offset:2176
	ds_store_b64 v5, v[1:2]
	v_add_nc_u32_e32 v5, 32, v5
	v_cmp_le_i32_e32 vcc_lo, s29, v6
	s_or_b32 s27, vcc_lo, s27
	s_delay_alu instid0(SALU_CYCLE_1)
	s_and_not1_b32 exec_lo, exec_lo, s27
	s_cbranch_execz .LBB55_24
.LBB55_14:                              ;   Parent Loop BB55_10 Depth=1
                                        ; =>  This Inner Loop Header: Depth=2
	s_and_b32 vcc_lo, exec_lo, s33
	s_cbranch_vccz .LBB55_19
; %bb.15:                               ;   in Loop: Header=BB55_14 Depth=2
	s_mov_b32 s39, 0
	s_mov_b32 s38, 0
                                        ; implicit-def: $vgpr2
	s_and_saveexec_b32 s40, s1
	s_delay_alu instid0(SALU_CYCLE_1)
	s_xor_b32 s40, exec_lo, s40
; %bb.16:                               ;   in Loop: Header=BB55_14 Depth=2
	v_add_nc_u32_e32 v4, s21, v6
	s_mov_b32 s38, exec_lo
	s_delay_alu instid0(VALU_DEP_1)
	v_mad_u64_u32 v[2:3], null, v4, s29, v[0:1]
; %bb.17:                               ;   in Loop: Header=BB55_14 Depth=2
	s_or_b32 exec_lo, exec_lo, s40
	s_delay_alu instid0(SALU_CYCLE_1)
	s_and_b32 vcc_lo, exec_lo, s39
	s_cbranch_vccnz .LBB55_20
.LBB55_18:                              ;   in Loop: Header=BB55_14 Depth=2
	v_dual_mov_b32 v3, s39 :: v_dual_mov_b32 v4, s39
	s_and_saveexec_b32 s39, s38
	s_cbranch_execz .LBB55_13
	s_branch .LBB55_23
.LBB55_19:                              ;   in Loop: Header=BB55_14 Depth=2
	s_mov_b32 s39, -1
	s_mov_b32 s38, 0
                                        ; implicit-def: $vgpr2
	s_cbranch_execz .LBB55_18
.LBB55_20:                              ;   in Loop: Header=BB55_14 Depth=2
                                        ; implicit-def: $vgpr2
	s_and_saveexec_b32 s39, s1
; %bb.21:                               ;   in Loop: Header=BB55_14 Depth=2
	v_add_nc_u32_e32 v2, v18, v6
	s_or_b32 s38, s38, exec_lo
; %bb.22:                               ;   in Loop: Header=BB55_14 Depth=2
	s_or_b32 exec_lo, exec_lo, s39
	s_mov_b32 s39, 0
	s_delay_alu instid0(SALU_CYCLE_1)
	v_dual_mov_b32 v3, s39 :: v_dual_mov_b32 v4, s39
	s_and_saveexec_b32 s39, s38
	s_cbranch_execz .LBB55_13
.LBB55_23:                              ;   in Loop: Header=BB55_14 Depth=2
	v_ashrrev_i32_e32 v3, 31, v2
	s_delay_alu instid0(VALU_DEP_1) | instskip(NEXT) | instid1(VALU_DEP_1)
	v_lshlrev_b64 v[2:3], 3, v[2:3]
	v_add_co_u32 v2, vcc_lo, s18, v2
	s_delay_alu instid0(VALU_DEP_2)
	v_add_co_ci_u32_e32 v3, vcc_lo, s19, v3, vcc_lo
	global_load_b64 v[3:4], v[2:3], off
	s_branch .LBB55_13
.LBB55_24:                              ;   in Loop: Header=BB55_10 Depth=1
	s_or_b32 exec_lo, exec_lo, s26
; %bb.25:                               ;   in Loop: Header=BB55_10 Depth=1
	ds_load_b32 v2, v1 offset:9728
	s_waitcnt lgkmcnt(0)
	s_sub_i32 s26, s25, s17
	s_delay_alu instid0(SALU_CYCLE_1) | instskip(SKIP_3) | instid1(SALU_CYCLE_1)
	s_cmp_le_i32 s26, s3
	s_cselect_b32 s25, -1, 0
	v_cmp_ge_i32_e32 vcc_lo, s24, v2
	s_and_b32 s25, s25, vcc_lo
	s_and_not1_b32 vcc_lo, exec_lo, s25
	s_mov_b32 s25, 0
	s_cbranch_vccnz .LBB55_37
; %bb.26:                               ;   in Loop: Header=BB55_10 Depth=1
	s_mov_b32 s38, 0
	s_mov_b32 s39, 0
.LBB55_27:                              ;   Parent Loop BB55_10 Depth=1
                                        ; =>  This Inner Loop Header: Depth=2
	s_ashr_i32 s27, s26, 31
	s_mov_b32 s42, -1
	s_lshl_b64 s[40:41], s[26:27], 2
	s_delay_alu instid0(SALU_CYCLE_1) | instskip(SKIP_2) | instid1(SALU_CYCLE_1)
	s_add_u32 s40, s14, s40
	s_addc_u32 s41, s15, s41
	s_lshl_b32 s25, s39, 2
	v_mov_b32_e32 v2, s25
	s_load_b32 s25, s[40:41], 0x0
                                        ; implicit-def: $sgpr41
                                        ; implicit-def: $sgpr40
	ds_load_b32 v2, v2 offset:9728
	s_waitcnt lgkmcnt(0)
	s_sub_i32 s43, s25, s17
                                        ; implicit-def: $sgpr25
	s_delay_alu instid0(SALU_CYCLE_1)
	v_cmp_ge_i32_e32 vcc_lo, s43, v2
	v_readfirstlane_b32 s27, v2
	s_cbranch_vccz .LBB55_33
; %bb.28:                               ;   in Loop: Header=BB55_27 Depth=2
	s_delay_alu instid0(VALU_DEP_1)
	s_cmp_le_i32 s43, s27
                                        ; implicit-def: $sgpr25
                                        ; implicit-def: $sgpr41
                                        ; implicit-def: $sgpr40
	s_cbranch_scc0 .LBB55_30
; %bb.29:                               ;   in Loop: Header=BB55_27 Depth=2
	s_add_i32 s25, s39, s31
	s_lshl_b32 s40, s38, 2
	s_mul_i32 s25, s25, s35
	s_delay_alu instid0(SALU_CYCLE_1)
	v_dual_mov_b32 v2, s40 :: v_dual_mov_b32 v3, s25
	s_mul_i32 s40, s26, s35
	s_add_i32 s41, s26, 1
	v_mov_b32_e32 v4, s40
	s_add_i32 s40, s39, 1
	s_add_i32 s25, s38, 1
	s_mov_b32 s42, 0
	ds_store_2addr_stride64_b32 v2, v4, v3 offset0:34 offset1:36
.LBB55_30:                              ;   in Loop: Header=BB55_27 Depth=2
	s_and_not1_b32 vcc_lo, exec_lo, s42
	s_cbranch_vccnz .LBB55_32
; %bb.31:                               ;   in Loop: Header=BB55_27 Depth=2
	s_add_i32 s40, s39, 1
	s_mov_b32 s25, s38
	s_mov_b32 s41, s26
.LBB55_32:                              ;   in Loop: Header=BB55_27 Depth=2
	s_mov_b32 s42, 0
.LBB55_33:                              ;   in Loop: Header=BB55_27 Depth=2
	s_delay_alu instid0(SALU_CYCLE_1)
	s_and_not1_b32 vcc_lo, exec_lo, s42
	s_cbranch_vccnz .LBB55_35
; %bb.34:                               ;   in Loop: Header=BB55_27 Depth=2
	s_add_i32 s41, s26, 1
	s_mov_b32 s40, s39
	s_mov_b32 s25, s38
.LBB55_35:                              ;   in Loop: Header=BB55_27 Depth=2
	s_cmp_le_i32 s41, s3
	s_cselect_b32 s26, -1, 0
	s_cmp_le_i32 s27, s24
	s_cselect_b32 s27, -1, 0
	s_delay_alu instid0(SALU_CYCLE_1) | instskip(NEXT) | instid1(SALU_CYCLE_1)
	s_and_b32 s26, s26, s27
	s_and_b32 vcc_lo, exec_lo, s26
	s_cbranch_vccz .LBB55_37
; %bb.36:                               ;   in Loop: Header=BB55_27 Depth=2
	s_mov_b32 s38, s25
	s_mov_b32 s26, s41
	;; [unrolled: 1-line block ×3, first 2 shown]
	s_branch .LBB55_27
.LBB55_37:                              ;   in Loop: Header=BB55_10 Depth=1
	s_add_u32 s22, s6, s22
	s_addc_u32 s23, s7, s23
	s_waitcnt lgkmcnt(0)
	buffer_gl0_inv
.LBB55_38:                              ;   Parent Loop BB55_10 Depth=1
                                        ; =>  This Inner Loop Header: Depth=2
	global_load_b32 v2, v1, s[22:23] glc
	s_waitcnt vmcnt(0)
	v_cmp_eq_u32_e32 vcc_lo, 0, v2
	s_cbranch_vccnz .LBB55_38
; %bb.39:                               ;   in Loop: Header=BB55_10 Depth=1
	buffer_gl1_inv
	buffer_gl0_inv
	s_and_saveexec_b32 s22, s0
	s_cbranch_execz .LBB55_52
; %bb.40:                               ;   in Loop: Header=BB55_10 Depth=1
	s_mul_i32 s3, s3, s29
	v_mov_b32_e32 v6, v13
	v_dual_mov_b32 v7, v10 :: v_dual_add_nc_u32 v2, s3, v0
	s_mov_b32 s23, 0
	s_delay_alu instid0(VALU_DEP_1)
	v_mul_lo_u32 v5, v2, s29
	s_branch .LBB55_42
.LBB55_41:                              ;   in Loop: Header=BB55_42 Depth=2
	s_or_b32 exec_lo, exec_lo, s26
	v_add_nc_u32_e32 v7, 4, v7
	s_waitcnt vmcnt(0)
	ds_store_b64 v6, v[3:4]
	v_add_nc_u32_e32 v6, 32, v6
	v_cmp_le_i32_e32 vcc_lo, s29, v7
	s_or_b32 s23, vcc_lo, s23
	s_delay_alu instid0(SALU_CYCLE_1)
	s_and_not1_b32 exec_lo, exec_lo, s23
	s_cbranch_execz .LBB55_52
.LBB55_42:                              ;   Parent Loop BB55_10 Depth=1
                                        ; =>  This Inner Loop Header: Depth=2
	s_and_b32 vcc_lo, exec_lo, s33
	s_cbranch_vccz .LBB55_47
; %bb.43:                               ;   in Loop: Header=BB55_42 Depth=2
	s_mov_b32 s26, 0
	s_mov_b32 s24, 0
                                        ; implicit-def: $vgpr2
	s_and_saveexec_b32 s27, s1
	s_delay_alu instid0(SALU_CYCLE_1)
	s_xor_b32 s27, exec_lo, s27
; %bb.44:                               ;   in Loop: Header=BB55_42 Depth=2
	v_add_nc_u32_e32 v4, s3, v7
	s_mov_b32 s24, exec_lo
	s_delay_alu instid0(VALU_DEP_1)
	v_mad_u64_u32 v[2:3], null, v4, s29, v[0:1]
; %bb.45:                               ;   in Loop: Header=BB55_42 Depth=2
	s_or_b32 exec_lo, exec_lo, s27
	s_delay_alu instid0(SALU_CYCLE_1)
	s_and_b32 vcc_lo, exec_lo, s26
	s_cbranch_vccnz .LBB55_48
.LBB55_46:                              ;   in Loop: Header=BB55_42 Depth=2
	v_dual_mov_b32 v3, s26 :: v_dual_mov_b32 v4, s26
	s_and_saveexec_b32 s26, s24
	s_cbranch_execz .LBB55_41
	s_branch .LBB55_51
.LBB55_47:                              ;   in Loop: Header=BB55_42 Depth=2
	s_mov_b32 s26, -1
	s_mov_b32 s24, 0
                                        ; implicit-def: $vgpr2
	s_cbranch_execz .LBB55_46
.LBB55_48:                              ;   in Loop: Header=BB55_42 Depth=2
                                        ; implicit-def: $vgpr2
	s_and_saveexec_b32 s26, s1
; %bb.49:                               ;   in Loop: Header=BB55_42 Depth=2
	v_add_nc_u32_e32 v2, v5, v7
	s_or_b32 s24, s24, exec_lo
; %bb.50:                               ;   in Loop: Header=BB55_42 Depth=2
	s_or_b32 exec_lo, exec_lo, s26
	s_mov_b32 s26, 0
	s_delay_alu instid0(SALU_CYCLE_1)
	v_dual_mov_b32 v3, s26 :: v_dual_mov_b32 v4, s26
	s_and_saveexec_b32 s26, s24
	s_cbranch_execz .LBB55_41
.LBB55_51:                              ;   in Loop: Header=BB55_42 Depth=2
	v_ashrrev_i32_e32 v3, 31, v2
	s_delay_alu instid0(VALU_DEP_1) | instskip(NEXT) | instid1(VALU_DEP_1)
	v_lshlrev_b64 v[2:3], 3, v[2:3]
	v_add_co_u32 v2, vcc_lo, s18, v2
	s_delay_alu instid0(VALU_DEP_2)
	v_add_co_ci_u32_e32 v3, vcc_lo, s19, v3, vcc_lo
	global_load_b64 v[3:4], v[2:3], off
	s_branch .LBB55_41
.LBB55_52:                              ;   in Loop: Header=BB55_10 Depth=1
	s_or_b32 exec_lo, exec_lo, s22
; %bb.53:                               ;   in Loop: Header=BB55_10 Depth=1
	s_cmp_lt_i32 s25, 2
	s_cbranch_scc1 .LBB55_69
; %bb.54:                               ;   in Loop: Header=BB55_10 Depth=1
	s_add_i32 s3, s25, -2
	s_mov_b32 s22, 0
	s_branch .LBB55_56
.LBB55_55:                              ;   in Loop: Header=BB55_56 Depth=2
	s_or_b32 exec_lo, exec_lo, s23
	s_add_i32 s23, s22, 1
	s_cmp_eq_u32 s22, s3
	s_mov_b32 s22, s23
	s_cbranch_scc1 .LBB55_69
.LBB55_56:                              ;   Parent Loop BB55_10 Depth=1
                                        ; =>  This Loop Header: Depth=2
                                        ;       Child Loop BB55_59 Depth 3
	s_and_saveexec_b32 s23, s0
	s_cbranch_execz .LBB55_55
; %bb.57:                               ;   in Loop: Header=BB55_56 Depth=2
	s_lshl_b32 s24, s22, 2
	v_mov_b32_e32 v26, v10
	v_mov_b32_e32 v2, s24
	s_mov_b32 s24, 0
	ds_load_2addr_stride64_b32 v[2:3], v2 offset0:34 offset1:36
	s_waitcnt lgkmcnt(0)
	v_add_nc_u32_e32 v23, v0, v3
	v_add_nc_u32_e32 v22, v3, v14
	;; [unrolled: 1-line block ×4, first 2 shown]
	s_branch .LBB55_59
.LBB55_58:                              ;   in Loop: Header=BB55_59 Depth=3
	v_lshlrev_b32_e32 v2, 3, v26
	v_add_nc_u32_e32 v26, 4, v26
	v_add_nc_u32_e32 v24, 4, v24
	;; [unrolled: 1-line block ×3, first 2 shown]
	s_delay_alu instid0(VALU_DEP_4) | instskip(NEXT) | instid1(VALU_DEP_4)
	v_mad_u32_u24 v4, 0x88, v0, v2
	v_cmp_le_i32_e32 vcc_lo, s29, v26
	ds_load_b64 v[6:7], v4 offset:2176
	s_or_b32 s24, vcc_lo, s24
	s_waitcnt lgkmcnt(0)
	v_dual_add_f32 v2, v3, v6 :: v_dual_add_f32 v3, v5, v7
	ds_store_b64 v4, v[2:3] offset:2176
	s_and_not1_b32 exec_lo, exec_lo, s24
	s_cbranch_execz .LBB55_55
.LBB55_59:                              ;   Parent Loop BB55_10 Depth=1
                                        ;     Parent Loop BB55_56 Depth=2
                                        ; =>    This Inner Loop Header: Depth=3
	s_delay_alu instid0(VALU_DEP_2)
	v_dual_mov_b32 v27, 0 :: v_dual_mov_b32 v2, v24
	v_mov_b32_e32 v4, v23
	v_mov_b32_e32 v28, 0
	s_mov_b32 s25, 0
	s_and_b32 vcc_lo, exec_lo, s33
	s_cbranch_vccz .LBB55_63
.LBB55_60:                              ;   in Loop: Header=BB55_59 Depth=3
	v_ashrrev_i32_e32 v3, 31, v2
	v_dual_mov_b32 v8, 0 :: v_dual_mov_b32 v9, 0
	s_mov_b32 s26, 0
	s_delay_alu instid0(VALU_DEP_2) | instskip(NEXT) | instid1(VALU_DEP_1)
	v_lshlrev_b64 v[5:6], 3, v[2:3]
	v_add_co_u32 v5, vcc_lo, s18, v5
	s_delay_alu instid0(VALU_DEP_2)
	v_add_co_ci_u32_e32 v6, vcc_lo, s19, v6, vcc_lo
	global_load_b64 v[6:7], v[5:6], off
	s_and_saveexec_b32 s27, s1
	s_cbranch_execz .LBB55_62
; %bb.61:                               ;   in Loop: Header=BB55_59 Depth=3
	v_ashrrev_i32_e32 v5, 31, v4
	s_delay_alu instid0(VALU_DEP_1) | instskip(NEXT) | instid1(VALU_DEP_1)
	v_lshlrev_b64 v[8:9], 3, v[4:5]
	v_add_co_u32 v8, vcc_lo, s18, v8
	s_delay_alu instid0(VALU_DEP_2)
	v_add_co_ci_u32_e32 v9, vcc_lo, s19, v9, vcc_lo
	global_load_b64 v[8:9], v[8:9], off
.LBB55_62:                              ;   in Loop: Header=BB55_59 Depth=3
	s_or_b32 exec_lo, exec_lo, s27
	s_waitcnt vmcnt(0)
	v_fma_f32 v3, v6, v8, v28
	v_fma_f32 v5, v7, v8, v27
	s_delay_alu instid0(VALU_DEP_2) | instskip(NEXT) | instid1(VALU_DEP_2)
	v_fmac_f32_e32 v3, v7, v9
	v_fma_f32 v5, v6, -v9, v5
	s_and_b32 vcc_lo, exec_lo, s26
	s_cbranch_vccnz .LBB55_64
	s_branch .LBB55_67
.LBB55_63:                              ;   in Loop: Header=BB55_59 Depth=3
                                        ; implicit-def: $vgpr5
                                        ; implicit-def: $vgpr3
	s_cbranch_execz .LBB55_67
.LBB55_64:                              ;   in Loop: Header=BB55_59 Depth=3
	v_dual_mov_b32 v8, 0 :: v_dual_add_nc_u32 v5, s25, v25
	v_mov_b32_e32 v7, 0
	s_delay_alu instid0(VALU_DEP_2) | instskip(NEXT) | instid1(VALU_DEP_1)
	v_ashrrev_i32_e32 v6, 31, v5
	v_lshlrev_b64 v[5:6], 3, v[5:6]
	s_delay_alu instid0(VALU_DEP_1) | instskip(NEXT) | instid1(VALU_DEP_2)
	v_add_co_u32 v5, vcc_lo, s18, v5
	v_add_co_ci_u32_e32 v6, vcc_lo, s19, v6, vcc_lo
	global_load_b64 v[5:6], v[5:6], off
	s_and_saveexec_b32 s26, s1
	s_cbranch_execz .LBB55_66
; %bb.65:                               ;   in Loop: Header=BB55_59 Depth=3
	v_add_nc_u32_e32 v7, s25, v22
	s_delay_alu instid0(VALU_DEP_1) | instskip(NEXT) | instid1(VALU_DEP_1)
	v_ashrrev_i32_e32 v8, 31, v7
	v_lshlrev_b64 v[7:8], 3, v[7:8]
	s_delay_alu instid0(VALU_DEP_1) | instskip(NEXT) | instid1(VALU_DEP_2)
	v_add_co_u32 v7, vcc_lo, s18, v7
	v_add_co_ci_u32_e32 v8, vcc_lo, s19, v8, vcc_lo
	global_load_b64 v[7:8], v[7:8], off
.LBB55_66:                              ;   in Loop: Header=BB55_59 Depth=3
	s_or_b32 exec_lo, exec_lo, s26
	s_waitcnt vmcnt(0)
	v_fmac_f32_e32 v28, v5, v7
	v_fmac_f32_e32 v27, v6, v7
	s_delay_alu instid0(VALU_DEP_2) | instskip(NEXT) | instid1(VALU_DEP_2)
	v_fmac_f32_e32 v28, v6, v8
	v_fma_f32 v5, v5, -v8, v27
	s_delay_alu instid0(VALU_DEP_2)
	v_mov_b32_e32 v3, v28
.LBB55_67:                              ;   in Loop: Header=BB55_59 Depth=3
	v_add_nc_u32_e32 v4, s29, v4
	v_add_nc_u32_e32 v2, s29, v2
	s_add_i32 s25, s25, 1
	s_delay_alu instid0(SALU_CYCLE_1)
	s_cmp_eq_u32 s29, s25
	s_cbranch_scc1 .LBB55_58
; %bb.68:                               ;   in Loop: Header=BB55_59 Depth=3
	v_dual_mov_b32 v27, v5 :: v_dual_mov_b32 v28, v3
	s_and_b32 vcc_lo, exec_lo, s33
	s_cbranch_vccnz .LBB55_60
	s_branch .LBB55_63
.LBB55_69:                              ;   in Loop: Header=BB55_10 Depth=1
	s_and_not1_b32 vcc_lo, exec_lo, s34
	s_waitcnt lgkmcnt(0)
	buffer_gl0_inv
	s_cbranch_vccnz .LBB55_82
; %bb.70:                               ;   in Loop: Header=BB55_10 Depth=1
	v_mov_b32_e32 v6, v19
	s_mov_b32 s22, 0
	s_mov_b32 s23, 0
	s_branch .LBB55_72
.LBB55_71:                              ;   in Loop: Header=BB55_72 Depth=2
	s_or_b32 exec_lo, exec_lo, s3
	v_add_nc_u32_e32 v6, 8, v6
	s_add_i32 s23, s23, 1
	s_addk_i32 s22, 0x88
	s_cmp_eq_u32 s23, s29
	s_waitcnt lgkmcnt(0)
	buffer_gl0_inv
	s_cbranch_scc1 .LBB55_82
.LBB55_72:                              ;   Parent Loop BB55_10 Depth=1
                                        ; =>  This Loop Header: Depth=2
                                        ;       Child Loop BB55_78 Depth 3
                                        ;       Child Loop BB55_81 Depth 3
	s_lshl_b32 s3, s23, 3
	s_mul_i32 s24, s23, 0x88
	v_mad_u32_u24 v9, 0x88, v0, s3
	s_add_i32 s24, s3, s24
	s_delay_alu instid0(SALU_CYCLE_1)
	v_mov_b32_e32 v2, s24
	ds_load_b64 v[4:5], v2
	ds_load_b64 v[2:3], v9 offset:4352
	s_waitcnt lgkmcnt(1)
	v_cmp_neq_f32_e32 vcc_lo, 0, v4
	v_cmp_neq_f32_e64 s3, 0, v5
	s_delay_alu instid0(VALU_DEP_1) | instskip(SKIP_2) | instid1(SALU_CYCLE_1)
	s_or_b32 vcc_lo, vcc_lo, s3
	v_dual_cndmask_b32 v7, 1.0, v4 :: v_dual_cndmask_b32 v8, 0, v5
	s_or_b32 s3, vcc_lo, s2
	s_xor_b32 s24, s3, -1
	s_delay_alu instid0(SALU_CYCLE_1)
	s_and_saveexec_b32 s3, s24
	s_cbranch_execz .LBB55_76
; %bb.73:                               ;   in Loop: Header=BB55_72 Depth=2
	v_mbcnt_lo_u32_b32 v4, exec_lo, 0
	s_mov_b32 s24, exec_lo
	s_delay_alu instid0(VALU_DEP_1)
	v_cmpx_eq_u32_e32 0, v4
	s_cbranch_execz .LBB55_75
; %bb.74:                               ;   in Loop: Header=BB55_72 Depth=2
	v_mov_b32_e32 v4, s37
	global_atomic_min_i32 v1, v4, s[10:11]
.LBB55_75:                              ;   in Loop: Header=BB55_72 Depth=2
	s_or_b32 exec_lo, exec_lo, s24
	v_dual_mov_b32 v7, 1.0 :: v_dual_mov_b32 v8, 0
.LBB55_76:                              ;   in Loop: Header=BB55_72 Depth=2
	s_or_b32 exec_lo, exec_lo, s3
	v_lshl_add_u32 v4, s23, 3, v11
	s_cmp_eq_u32 s23, 0
	ds_load_b64 v[4:5], v4 offset:2176
	s_cbranch_scc1 .LBB55_79
; %bb.77:                               ;   in Loop: Header=BB55_72 Depth=2
	v_mov_b32_e32 v22, v17
	s_mov_b32 s3, 0
	s_mov_b32 s24, s22
.LBB55_78:                              ;   Parent Loop BB55_10 Depth=1
                                        ;     Parent Loop BB55_72 Depth=2
                                        ; =>    This Inner Loop Header: Depth=3
	s_delay_alu instid0(SALU_CYCLE_1)
	v_mov_b32_e32 v25, s24
	s_add_i32 s3, s3, 1
	s_add_i32 s24, s24, 8
	s_cmp_ge_u32 s3, s23
	ds_load_b64 v[23:24], v22
	ds_load_b64 v[25:26], v25
	v_add_nc_u32_e32 v22, 8, v22
	s_waitcnt lgkmcnt(0)
	v_fmac_f32_e32 v4, v25, v23
	v_fmac_f32_e32 v5, v26, v23
	s_delay_alu instid0(VALU_DEP_2) | instskip(NEXT) | instid1(VALU_DEP_2)
	v_fmac_f32_e32 v4, v26, v24
	v_fma_f32 v5, v25, -v24, v5
	s_cbranch_scc0 .LBB55_78
.LBB55_79:                              ;   in Loop: Header=BB55_72 Depth=2
	v_dual_mul_f32 v22, v8, v8 :: v_dual_add_nc_u32 v9, 0x1100, v9
	s_waitcnt lgkmcnt(0)
	s_delay_alu instid0(VALU_DEP_2) | instskip(NEXT) | instid1(VALU_DEP_2)
	v_dual_sub_f32 v2, v2, v4 :: v_dual_sub_f32 v3, v3, v5
	v_fmac_f32_e32 v22, v7, v7
	s_delay_alu instid0(VALU_DEP_2) | instskip(NEXT) | instid1(VALU_DEP_3)
	v_mul_f32_e32 v4, v8, v3
	v_mul_f32_e64 v8, v8, -v2
	s_delay_alu instid0(VALU_DEP_3) | instskip(SKIP_1) | instid1(VALU_DEP_3)
	v_div_scale_f32 v23, null, v22, v22, 1.0
	v_div_scale_f32 v26, vcc_lo, 1.0, v22, 1.0
	v_fmac_f32_e32 v8, v3, v7
	s_delay_alu instid0(VALU_DEP_3) | instskip(SKIP_2) | instid1(VALU_DEP_1)
	v_rcp_f32_e32 v24, v23
	s_waitcnt_depctr 0xfff
	v_fma_f32 v25, -v23, v24, 1.0
	v_fmac_f32_e32 v24, v25, v24
	s_delay_alu instid0(VALU_DEP_1) | instskip(NEXT) | instid1(VALU_DEP_1)
	v_mul_f32_e32 v25, v26, v24
	v_fma_f32 v27, -v23, v25, v26
	s_delay_alu instid0(VALU_DEP_1) | instskip(NEXT) | instid1(VALU_DEP_1)
	v_fmac_f32_e32 v25, v27, v24
	v_fma_f32 v5, -v23, v25, v26
	s_delay_alu instid0(VALU_DEP_1) | instskip(NEXT) | instid1(VALU_DEP_1)
	v_div_fmas_f32 v5, v5, v24, v25
	v_div_fixup_f32 v5, v5, v22, 1.0
	s_delay_alu instid0(VALU_DEP_1) | instskip(NEXT) | instid1(VALU_DEP_1)
	v_dual_fmac_f32 v4, v2, v7 :: v_dual_mul_f32 v3, v5, v8
	v_mul_f32_e32 v2, v5, v4
	ds_store_b64 v9, v[2:3]
	s_waitcnt lgkmcnt(0)
	s_waitcnt_vscnt null, 0x0
	buffer_gl0_inv
	s_and_saveexec_b32 s3, s0
	s_cbranch_execz .LBB55_71
; %bb.80:                               ;   in Loop: Header=BB55_72 Depth=2
	v_dual_mov_b32 v4, v20 :: v_dual_mov_b32 v5, v6
	v_mov_b32_e32 v7, v10
	s_mov_b32 s24, 0
	.p2align	6
.LBB55_81:                              ;   Parent Loop BB55_10 Depth=1
                                        ;     Parent Loop BB55_72 Depth=2
                                        ; =>    This Inner Loop Header: Depth=3
	ds_load_b64 v[8:9], v5
	ds_load_b64 v[22:23], v4
	v_add_nc_u32_e32 v5, 0x220, v5
	s_waitcnt lgkmcnt(0)
	v_fma_f32 v22, v2, v8, v22
	v_fmac_f32_e32 v23, v3, v8
	s_delay_alu instid0(VALU_DEP_2) | instskip(NEXT) | instid1(VALU_DEP_2)
	v_dual_fmac_f32 v22, v3, v9 :: v_dual_add_nc_u32 v7, 4, v7
	v_fma_f32 v23, v2, -v9, v23
	s_delay_alu instid0(VALU_DEP_2) | instskip(SKIP_3) | instid1(SALU_CYCLE_1)
	v_cmp_le_i32_e32 vcc_lo, s29, v7
	ds_store_b64 v4, v[22:23]
	v_add_nc_u32_e32 v4, 32, v4
	s_or_b32 s24, vcc_lo, s24
	s_and_not1_b32 exec_lo, exec_lo, s24
	s_cbranch_execnz .LBB55_81
	s_branch .LBB55_71
.LBB55_82:                              ;   in Loop: Header=BB55_10 Depth=1
	s_and_saveexec_b32 s3, s0
	s_cbranch_execz .LBB55_9
; %bb.83:                               ;   in Loop: Header=BB55_10 Depth=1
	v_dual_mov_b32 v4, v21 :: v_dual_mov_b32 v5, v10
	s_mov_b32 s22, 0
	s_set_inst_prefetch_distance 0x1
	s_branch .LBB55_86
	.p2align	6
.LBB55_84:                              ;   in Loop: Header=BB55_86 Depth=2
	ds_load_b64 v[6:7], v4
	v_ashrrev_i32_e32 v3, 31, v2
	s_delay_alu instid0(VALU_DEP_1) | instskip(NEXT) | instid1(VALU_DEP_1)
	v_lshlrev_b64 v[2:3], 3, v[2:3]
	v_add_co_u32 v2, vcc_lo, s18, v2
	s_delay_alu instid0(VALU_DEP_2)
	v_add_co_ci_u32_e32 v3, vcc_lo, s19, v3, vcc_lo
	s_waitcnt lgkmcnt(0)
	global_store_b64 v[2:3], v[6:7], off
.LBB55_85:                              ;   in Loop: Header=BB55_86 Depth=2
	s_or_b32 exec_lo, exec_lo, s23
	v_add_nc_u32_e32 v5, 4, v5
	v_add_nc_u32_e32 v4, 32, v4
	s_delay_alu instid0(VALU_DEP_2) | instskip(SKIP_1) | instid1(SALU_CYCLE_1)
	v_cmp_le_i32_e32 vcc_lo, s29, v5
	s_or_b32 s22, vcc_lo, s22
	s_and_not1_b32 exec_lo, exec_lo, s22
	s_cbranch_execz .LBB55_9
.LBB55_86:                              ;   Parent Loop BB55_10 Depth=1
                                        ; =>  This Inner Loop Header: Depth=2
	s_and_saveexec_b32 s23, s1
	s_cbranch_execz .LBB55_85
; %bb.87:                               ;   in Loop: Header=BB55_86 Depth=2
	s_and_b32 vcc_lo, exec_lo, s33
	s_cbranch_vccz .LBB55_89
; %bb.88:                               ;   in Loop: Header=BB55_86 Depth=2
	v_add_nc_u32_e32 v6, s21, v5
	s_delay_alu instid0(VALU_DEP_1)
	v_mad_u64_u32 v[2:3], null, v6, s29, v[0:1]
	s_cbranch_execnz .LBB55_84
	s_branch .LBB55_90
.LBB55_89:                              ;   in Loop: Header=BB55_86 Depth=2
                                        ; implicit-def: $vgpr2
.LBB55_90:                              ;   in Loop: Header=BB55_86 Depth=2
	v_add_nc_u32_e32 v2, v18, v5
	s_branch .LBB55_84
.LBB55_91:                              ;   in Loop: Header=BB55_10 Depth=1
                                        ; implicit-def: $sgpr20
                                        ; implicit-def: $vgpr18
	s_cbranch_execz .LBB55_10
.LBB55_92:
	v_cmp_gt_i32_e64 s0, s29, v10
	s_delay_alu instid0(VALU_DEP_1)
	s_and_saveexec_b32 s2, s0
	s_cbranch_execz .LBB55_105
; %bb.93:
	s_mul_i32 s3, s28, s29
	v_cmp_gt_i32_e64 s1, s29, v0
	v_dual_mov_b32 v6, v10 :: v_dual_add_nc_u32 v1, s3, v0
	v_add3_u32 v5, v11, v12, 0x1100
	s_cmp_lg_u32 s30, 0
	s_mov_b32 s4, 0
	s_delay_alu instid0(VALU_DEP_2)
	v_mul_lo_u32 v4, v1, s29
	s_cselect_b32 s5, -1, 0
	s_branch .LBB55_95
.LBB55_94:                              ;   in Loop: Header=BB55_95 Depth=1
	s_or_b32 exec_lo, exec_lo, s13
	v_add_nc_u32_e32 v6, 4, v6
	s_waitcnt vmcnt(0)
	ds_store_b64 v5, v[2:3]
	v_add_nc_u32_e32 v5, 32, v5
	v_cmp_le_i32_e32 vcc_lo, s29, v6
	s_or_b32 s4, vcc_lo, s4
	s_delay_alu instid0(SALU_CYCLE_1)
	s_and_not1_b32 exec_lo, exec_lo, s4
	s_cbranch_execz .LBB55_105
.LBB55_95:                              ; =>This Inner Loop Header: Depth=1
	s_and_b32 vcc_lo, exec_lo, s5
	s_cbranch_vccz .LBB55_100
; %bb.96:                               ;   in Loop: Header=BB55_95 Depth=1
	s_mov_b32 s13, 0
	s_mov_b32 s12, 0
                                        ; implicit-def: $vgpr1
	s_and_saveexec_b32 s14, s1
	s_delay_alu instid0(SALU_CYCLE_1)
	s_xor_b32 s14, exec_lo, s14
; %bb.97:                               ;   in Loop: Header=BB55_95 Depth=1
	v_add_nc_u32_e32 v3, s3, v6
	s_mov_b32 s12, exec_lo
	s_delay_alu instid0(VALU_DEP_1)
	v_mad_u64_u32 v[1:2], null, v3, s29, v[0:1]
; %bb.98:                               ;   in Loop: Header=BB55_95 Depth=1
	s_or_b32 exec_lo, exec_lo, s14
	s_delay_alu instid0(SALU_CYCLE_1)
	s_and_b32 vcc_lo, exec_lo, s13
	s_cbranch_vccnz .LBB55_101
.LBB55_99:                              ;   in Loop: Header=BB55_95 Depth=1
	v_dual_mov_b32 v2, s13 :: v_dual_mov_b32 v3, s13
	s_and_saveexec_b32 s13, s12
	s_cbranch_execz .LBB55_94
	s_branch .LBB55_104
.LBB55_100:                             ;   in Loop: Header=BB55_95 Depth=1
	s_mov_b32 s13, -1
	s_mov_b32 s12, 0
                                        ; implicit-def: $vgpr1
	s_cbranch_execz .LBB55_99
.LBB55_101:                             ;   in Loop: Header=BB55_95 Depth=1
                                        ; implicit-def: $vgpr1
	s_and_saveexec_b32 s13, s1
; %bb.102:                              ;   in Loop: Header=BB55_95 Depth=1
	v_add_nc_u32_e32 v1, v4, v6
	s_or_b32 s12, s12, exec_lo
; %bb.103:                              ;   in Loop: Header=BB55_95 Depth=1
	s_or_b32 exec_lo, exec_lo, s13
	s_mov_b32 s13, 0
	s_delay_alu instid0(SALU_CYCLE_1)
	v_dual_mov_b32 v2, s13 :: v_dual_mov_b32 v3, s13
	s_and_saveexec_b32 s13, s12
	s_cbranch_execz .LBB55_94
.LBB55_104:                             ;   in Loop: Header=BB55_95 Depth=1
	v_ashrrev_i32_e32 v2, 31, v1
	s_delay_alu instid0(VALU_DEP_1) | instskip(NEXT) | instid1(VALU_DEP_1)
	v_lshlrev_b64 v[1:2], 3, v[1:2]
	v_add_co_u32 v1, vcc_lo, s18, v1
	s_delay_alu instid0(VALU_DEP_2)
	v_add_co_ci_u32_e32 v2, vcc_lo, s19, v2, vcc_lo
	global_load_b64 v[2:3], v[1:2], off
	s_branch .LBB55_94
.LBB55_105:
	s_or_b32 exec_lo, exec_lo, s2
; %bb.106:
	s_cmp_lt_i32 s29, 1
	s_waitcnt lgkmcnt(0)
	buffer_gl0_inv
	s_cbranch_scc1 .LBB55_125
; %bb.107:
	v_lshlrev_b32_e32 v1, 3, v0
	v_or_b32_e32 v2, v10, v0
	s_movk_i32 s1, 0x1100
	v_add3_u32 v5, v11, v12, 0x1980
	v_mad_u32_u24 v6, 0x88, v10, s1
	s_mov_b32 s3, 0
	v_cmp_ne_u32_e64 s1, 0, v2
	v_mov_b32_e32 v2, 0
	v_mad_u32_u24 v1, 0x88, v0, v1
	s_add_i32 s4, s16, s17
	s_delay_alu instid0(VALU_DEP_1)
	v_add_nc_u32_e32 v7, 0x1100, v1
	v_add_nc_u32_e32 v8, 0x1980, v1
	s_branch .LBB55_109
.LBB55_108:                             ;   in Loop: Header=BB55_109 Depth=1
	s_or_b32 exec_lo, exec_lo, s2
	v_add_nc_u32_e32 v6, 8, v6
	s_add_i32 s3, s3, 1
	s_waitcnt lgkmcnt(0)
	s_waitcnt_vscnt null, 0x0
	buffer_gl0_inv
	s_cmp_eq_u32 s3, s29
	s_cbranch_scc1 .LBB55_125
.LBB55_109:                             ; =>This Loop Header: Depth=1
                                        ;     Child Loop BB55_124 Depth 2
	s_mov_b32 s5, exec_lo
	v_cmpx_eq_u32_e64 s3, v0
	s_cbranch_execz .LBB55_117
; %bb.110:                              ;   in Loop: Header=BB55_109 Depth=1
	ds_load_b64 v[3:4], v7
	ds_load_b64 v[13:14], v8
	s_mov_b32 s2, exec_lo
	s_waitcnt lgkmcnt(0)
	v_sub_f32_e32 v1, v3, v13
	v_sub_f32_e32 v9, v4, v14
                                        ; implicit-def: $vgpr4
	s_delay_alu instid0(VALU_DEP_2) | instskip(SKIP_1) | instid1(VALU_DEP_3)
	v_cmp_gt_f32_e32 vcc_lo, 0, v1
	v_cndmask_b32_e64 v1, v1, -v1, vcc_lo
	v_cmp_gt_f32_e32 vcc_lo, 0, v9
	v_cndmask_b32_e64 v3, v9, -v9, vcc_lo
	s_delay_alu instid0(VALU_DEP_1)
	v_cmpx_ngt_f32_e32 v1, v3
	s_xor_b32 s12, exec_lo, s2
	s_cbranch_execz .LBB55_114
; %bb.111:                              ;   in Loop: Header=BB55_109 Depth=1
	v_mov_b32_e32 v4, 0
	s_mov_b32 s13, exec_lo
	v_cmpx_neq_f32_e32 0, v9
	s_cbranch_execz .LBB55_113
; %bb.112:                              ;   in Loop: Header=BB55_109 Depth=1
	v_div_scale_f32 v4, null, v3, v3, v1
	v_div_scale_f32 v14, vcc_lo, v1, v3, v1
	s_delay_alu instid0(VALU_DEP_2) | instskip(SKIP_2) | instid1(VALU_DEP_1)
	v_rcp_f32_e32 v9, v4
	s_waitcnt_depctr 0xfff
	v_fma_f32 v13, -v4, v9, 1.0
	v_fmac_f32_e32 v9, v13, v9
	s_delay_alu instid0(VALU_DEP_1) | instskip(NEXT) | instid1(VALU_DEP_1)
	v_mul_f32_e32 v13, v14, v9
	v_fma_f32 v15, -v4, v13, v14
	s_delay_alu instid0(VALU_DEP_1) | instskip(NEXT) | instid1(VALU_DEP_1)
	v_fmac_f32_e32 v13, v15, v9
	v_fma_f32 v4, -v4, v13, v14
	s_delay_alu instid0(VALU_DEP_1) | instskip(NEXT) | instid1(VALU_DEP_1)
	v_div_fmas_f32 v4, v4, v9, v13
	v_div_fixup_f32 v1, v4, v3, v1
	s_delay_alu instid0(VALU_DEP_1) | instskip(NEXT) | instid1(VALU_DEP_1)
	v_fma_f32 v1, v1, v1, 1.0
	v_mul_f32_e32 v4, 0x4f800000, v1
	v_cmp_gt_f32_e32 vcc_lo, 0xf800000, v1
	s_delay_alu instid0(VALU_DEP_2) | instskip(NEXT) | instid1(VALU_DEP_1)
	v_cndmask_b32_e32 v1, v1, v4, vcc_lo
	v_sqrt_f32_e32 v4, v1
	s_waitcnt_depctr 0xfff
	v_add_nc_u32_e32 v9, -1, v4
	v_add_nc_u32_e32 v13, 1, v4
	s_delay_alu instid0(VALU_DEP_2) | instskip(NEXT) | instid1(VALU_DEP_2)
	v_fma_f32 v14, -v9, v4, v1
	v_fma_f32 v15, -v13, v4, v1
	s_delay_alu instid0(VALU_DEP_2) | instskip(NEXT) | instid1(VALU_DEP_1)
	v_cmp_ge_f32_e64 s2, 0, v14
	v_cndmask_b32_e64 v4, v4, v9, s2
	s_delay_alu instid0(VALU_DEP_3) | instskip(NEXT) | instid1(VALU_DEP_1)
	v_cmp_lt_f32_e64 s2, 0, v15
	v_cndmask_b32_e64 v4, v4, v13, s2
	s_delay_alu instid0(VALU_DEP_1) | instskip(NEXT) | instid1(VALU_DEP_1)
	v_mul_f32_e32 v9, 0x37800000, v4
	v_cndmask_b32_e32 v4, v4, v9, vcc_lo
	v_cmp_class_f32_e64 vcc_lo, v1, 0x260
	s_delay_alu instid0(VALU_DEP_2) | instskip(NEXT) | instid1(VALU_DEP_1)
	v_cndmask_b32_e32 v1, v4, v1, vcc_lo
	v_mul_f32_e32 v4, v3, v1
.LBB55_113:                             ;   in Loop: Header=BB55_109 Depth=1
	s_or_b32 exec_lo, exec_lo, s13
                                        ; implicit-def: $vgpr1
                                        ; implicit-def: $vgpr3
.LBB55_114:                             ;   in Loop: Header=BB55_109 Depth=1
	s_and_not1_saveexec_b32 s12, s12
	s_cbranch_execz .LBB55_116
; %bb.115:                              ;   in Loop: Header=BB55_109 Depth=1
	v_div_scale_f32 v4, null, v1, v1, v3
	v_div_scale_f32 v14, vcc_lo, v3, v1, v3
	s_delay_alu instid0(VALU_DEP_2) | instskip(SKIP_2) | instid1(VALU_DEP_1)
	v_rcp_f32_e32 v9, v4
	s_waitcnt_depctr 0xfff
	v_fma_f32 v13, -v4, v9, 1.0
	v_fmac_f32_e32 v9, v13, v9
	s_delay_alu instid0(VALU_DEP_1) | instskip(NEXT) | instid1(VALU_DEP_1)
	v_mul_f32_e32 v13, v14, v9
	v_fma_f32 v15, -v4, v13, v14
	s_delay_alu instid0(VALU_DEP_1) | instskip(NEXT) | instid1(VALU_DEP_1)
	v_fmac_f32_e32 v13, v15, v9
	v_fma_f32 v4, -v4, v13, v14
	s_delay_alu instid0(VALU_DEP_1) | instskip(NEXT) | instid1(VALU_DEP_1)
	v_div_fmas_f32 v4, v4, v9, v13
	v_div_fixup_f32 v3, v4, v1, v3
	s_delay_alu instid0(VALU_DEP_1) | instskip(NEXT) | instid1(VALU_DEP_1)
	v_fma_f32 v3, v3, v3, 1.0
	v_mul_f32_e32 v4, 0x4f800000, v3
	v_cmp_gt_f32_e32 vcc_lo, 0xf800000, v3
	s_delay_alu instid0(VALU_DEP_2) | instskip(NEXT) | instid1(VALU_DEP_1)
	v_cndmask_b32_e32 v3, v3, v4, vcc_lo
	v_sqrt_f32_e32 v4, v3
	s_waitcnt_depctr 0xfff
	v_add_nc_u32_e32 v9, -1, v4
	v_add_nc_u32_e32 v13, 1, v4
	s_delay_alu instid0(VALU_DEP_2) | instskip(NEXT) | instid1(VALU_DEP_2)
	v_fma_f32 v14, -v9, v4, v3
	v_fma_f32 v15, -v13, v4, v3
	s_delay_alu instid0(VALU_DEP_2) | instskip(NEXT) | instid1(VALU_DEP_1)
	v_cmp_ge_f32_e64 s2, 0, v14
	v_cndmask_b32_e64 v4, v4, v9, s2
	s_delay_alu instid0(VALU_DEP_3) | instskip(NEXT) | instid1(VALU_DEP_1)
	v_cmp_lt_f32_e64 s2, 0, v15
	v_cndmask_b32_e64 v4, v4, v13, s2
	s_delay_alu instid0(VALU_DEP_1) | instskip(NEXT) | instid1(VALU_DEP_1)
	v_mul_f32_e32 v9, 0x37800000, v4
	v_cndmask_b32_e32 v4, v4, v9, vcc_lo
	v_cmp_class_f32_e64 vcc_lo, v3, 0x260
	s_delay_alu instid0(VALU_DEP_2) | instskip(NEXT) | instid1(VALU_DEP_1)
	v_cndmask_b32_e32 v3, v4, v3, vcc_lo
	v_mul_f32_e32 v4, v1, v3
.LBB55_116:                             ;   in Loop: Header=BB55_109 Depth=1
	s_or_b32 exec_lo, exec_lo, s12
	s_delay_alu instid0(VALU_DEP_1) | instskip(SKIP_1) | instid1(VALU_DEP_2)
	v_mul_f32_e32 v1, 0x4f800000, v4
	v_cmp_gt_f32_e32 vcc_lo, 0xf800000, v4
	v_cndmask_b32_e32 v1, v4, v1, vcc_lo
	s_delay_alu instid0(VALU_DEP_1) | instskip(SKIP_3) | instid1(VALU_DEP_2)
	v_sqrt_f32_e32 v3, v1
	s_waitcnt_depctr 0xfff
	v_add_nc_u32_e32 v4, -1, v3
	v_add_nc_u32_e32 v9, 1, v3
	v_fma_f32 v13, -v4, v3, v1
	s_delay_alu instid0(VALU_DEP_2) | instskip(NEXT) | instid1(VALU_DEP_2)
	v_fma_f32 v14, -v9, v3, v1
	v_cmp_ge_f32_e64 s2, 0, v13
	s_delay_alu instid0(VALU_DEP_1) | instskip(NEXT) | instid1(VALU_DEP_3)
	v_cndmask_b32_e64 v3, v3, v4, s2
	v_cmp_lt_f32_e64 s2, 0, v14
	s_delay_alu instid0(VALU_DEP_1) | instskip(NEXT) | instid1(VALU_DEP_1)
	v_cndmask_b32_e64 v3, v3, v9, s2
	v_mul_f32_e32 v4, 0x37800000, v3
	s_delay_alu instid0(VALU_DEP_1) | instskip(SKIP_1) | instid1(VALU_DEP_2)
	v_cndmask_b32_e32 v3, v3, v4, vcc_lo
	v_cmp_class_f32_e64 vcc_lo, v1, 0x260
	v_cndmask_b32_e32 v1, v3, v1, vcc_lo
	ds_store_b64 v7, v[1:2]
.LBB55_117:                             ;   in Loop: Header=BB55_109 Depth=1
	s_or_b32 exec_lo, exec_lo, s5
	s_lshl_b32 s2, s3, 3
	s_mul_i32 s5, s3, 0x88
	s_waitcnt lgkmcnt(0)
	buffer_gl0_inv
	s_add_i32 s5, s5, s2
	s_delay_alu instid0(SALU_CYCLE_1)
	v_mov_b32_e32 v1, s5
	ds_load_b64 v[14:15], v1 offset:4352
	v_mad_u32_u24 v1, 0x88, v0, s2
	ds_load_b64 v[3:4], v1 offset:4352
	s_waitcnt lgkmcnt(1)
	v_cmp_neq_f32_e32 vcc_lo, 0, v14
	v_cmp_neq_f32_e64 s2, 0, v15
	s_delay_alu instid0(VALU_DEP_1) | instskip(SKIP_3) | instid1(SALU_CYCLE_1)
	s_or_b32 vcc_lo, vcc_lo, s2
	v_cndmask_b32_e32 v13, 0, v15, vcc_lo
	v_cndmask_b32_e32 v9, 1.0, v14, vcc_lo
	s_or_b32 s2, vcc_lo, s1
	s_xor_b32 s5, s2, -1
	s_delay_alu instid0(SALU_CYCLE_1)
	s_and_saveexec_b32 s2, s5
	s_cbranch_execz .LBB55_121
; %bb.118:                              ;   in Loop: Header=BB55_109 Depth=1
	v_mbcnt_lo_u32_b32 v9, exec_lo, 0
	s_mov_b32 s5, exec_lo
	s_delay_alu instid0(VALU_DEP_1)
	v_cmpx_eq_u32_e32 0, v9
	s_cbranch_execz .LBB55_120
; %bb.119:                              ;   in Loop: Header=BB55_109 Depth=1
	v_mov_b32_e32 v9, s4
	global_atomic_min_i32 v2, v9, s[10:11]
.LBB55_120:                             ;   in Loop: Header=BB55_109 Depth=1
	s_or_b32 exec_lo, exec_lo, s5
	v_mov_b32_e32 v13, 0
	v_mov_b32_e32 v9, 1.0
.LBB55_121:                             ;   in Loop: Header=BB55_109 Depth=1
	s_or_b32 exec_lo, exec_lo, s2
	s_delay_alu instid0(SALU_CYCLE_1)
	s_mov_b32 s2, exec_lo
	v_cmpx_lt_u32_e64 s3, v0
	s_cbranch_execz .LBB55_108
; %bb.122:                              ;   in Loop: Header=BB55_109 Depth=1
	v_lshl_add_u32 v14, s3, 3, v11
	v_mul_f32_e32 v16, v13, v13
	v_add_nc_u32_e32 v1, 0x1100, v1
	ds_load_b64 v[14:15], v14 offset:6528
	s_waitcnt lgkmcnt(0)
	v_dual_fmac_f32 v16, v9, v9 :: v_dual_sub_f32 v3, v3, v14
	s_delay_alu instid0(VALU_DEP_1) | instskip(SKIP_2) | instid1(VALU_DEP_3)
	v_div_scale_f32 v17, null, v16, v16, 1.0
	v_sub_f32_e32 v4, v4, v15
	v_div_scale_f32 v20, vcc_lo, 1.0, v16, 1.0
	v_rcp_f32_e32 v18, v17
	s_delay_alu instid0(VALU_DEP_2) | instskip(SKIP_1) | instid1(VALU_DEP_2)
	v_mul_f32_e32 v14, v13, v4
	v_mul_f32_e64 v13, v13, -v3
	v_fmac_f32_e32 v14, v3, v9
	s_delay_alu instid0(VALU_DEP_2) | instskip(SKIP_2) | instid1(VALU_DEP_1)
	v_fmac_f32_e32 v13, v4, v9
	s_waitcnt_depctr 0xfff
	v_fma_f32 v19, -v17, v18, 1.0
	v_fmac_f32_e32 v18, v19, v18
	s_delay_alu instid0(VALU_DEP_1) | instskip(NEXT) | instid1(VALU_DEP_1)
	v_mul_f32_e32 v19, v20, v18
	v_fma_f32 v21, -v17, v19, v20
	s_delay_alu instid0(VALU_DEP_1) | instskip(NEXT) | instid1(VALU_DEP_1)
	v_fmac_f32_e32 v19, v21, v18
	v_fma_f32 v15, -v17, v19, v20
	s_delay_alu instid0(VALU_DEP_1) | instskip(NEXT) | instid1(VALU_DEP_1)
	v_div_fmas_f32 v15, v15, v18, v19
	v_div_fixup_f32 v15, v15, v16, 1.0
	s_delay_alu instid0(VALU_DEP_1)
	v_mul_f32_e32 v3, v15, v14
	v_mul_f32_e32 v4, v15, v13
	ds_store_b64 v1, v[3:4]
	s_waitcnt lgkmcnt(0)
	s_waitcnt_vscnt null, 0x0
	buffer_gl0_inv
	s_and_b32 exec_lo, exec_lo, s0
	s_cbranch_execz .LBB55_108
; %bb.123:                              ;   in Loop: Header=BB55_109 Depth=1
	v_mov_b32_e32 v1, v5
	v_mov_b32_e32 v9, v6
	;; [unrolled: 1-line block ×3, first 2 shown]
	s_mov_b32 s5, 0
	.p2align	6
.LBB55_124:                             ;   Parent Loop BB55_109 Depth=1
                                        ; =>  This Inner Loop Header: Depth=2
	ds_load_b64 v[14:15], v9
	ds_load_b64 v[16:17], v1
	v_add_nc_u32_e32 v9, 0x220, v9
	s_waitcnt lgkmcnt(0)
	v_fma_f32 v16, v3, v14, v16
	v_fmac_f32_e32 v17, v4, v14
	s_delay_alu instid0(VALU_DEP_2) | instskip(NEXT) | instid1(VALU_DEP_2)
	v_dual_fmac_f32 v16, v4, v15 :: v_dual_add_nc_u32 v13, 4, v13
	v_fma_f32 v17, v3, -v15, v17
	s_delay_alu instid0(VALU_DEP_2) | instskip(SKIP_3) | instid1(SALU_CYCLE_1)
	v_cmp_le_i32_e32 vcc_lo, s29, v13
	ds_store_b64 v1, v[16:17]
	v_add_nc_u32_e32 v1, 32, v1
	s_or_b32 s5, vcc_lo, s5
	s_and_not1_b32 exec_lo, exec_lo, s5
	s_cbranch_execnz .LBB55_124
	s_branch .LBB55_108
.LBB55_125:
	s_and_saveexec_b32 s1, s0
	s_cbranch_execz .LBB55_134
; %bb.126:
	s_mul_i32 s28, s28, s29
	v_cmp_gt_i32_e64 s0, s29, v0
	v_add_nc_u32_e32 v1, s28, v0
	v_add3_u32 v4, v11, v12, 0x1100
	v_mov_b32_e32 v5, v10
	s_cmp_lg_u32 s30, 0
	s_mov_b32 s2, 0
	v_mul_lo_u32 v3, v1, s29
	s_cselect_b32 s3, -1, 0
	s_set_inst_prefetch_distance 0x1
	s_branch .LBB55_129
	.p2align	6
.LBB55_127:                             ;   in Loop: Header=BB55_129 Depth=1
	ds_load_b64 v[6:7], v4
	v_ashrrev_i32_e32 v2, 31, v1
	s_delay_alu instid0(VALU_DEP_1) | instskip(NEXT) | instid1(VALU_DEP_1)
	v_lshlrev_b64 v[1:2], 3, v[1:2]
	v_add_co_u32 v1, vcc_lo, s18, v1
	s_delay_alu instid0(VALU_DEP_2)
	v_add_co_ci_u32_e32 v2, vcc_lo, s19, v2, vcc_lo
	s_waitcnt lgkmcnt(0)
	global_store_b64 v[1:2], v[6:7], off
.LBB55_128:                             ;   in Loop: Header=BB55_129 Depth=1
	s_or_b32 exec_lo, exec_lo, s4
	v_add_nc_u32_e32 v5, 4, v5
	v_add_nc_u32_e32 v4, 32, v4
	s_delay_alu instid0(VALU_DEP_2) | instskip(SKIP_1) | instid1(SALU_CYCLE_1)
	v_cmp_le_i32_e32 vcc_lo, s29, v5
	s_or_b32 s2, vcc_lo, s2
	s_and_not1_b32 exec_lo, exec_lo, s2
	s_cbranch_execz .LBB55_134
.LBB55_129:                             ; =>This Inner Loop Header: Depth=1
	s_and_saveexec_b32 s4, s0
	s_cbranch_execz .LBB55_128
; %bb.130:                              ;   in Loop: Header=BB55_129 Depth=1
	s_and_b32 vcc_lo, exec_lo, s3
	s_cbranch_vccz .LBB55_132
; %bb.131:                              ;   in Loop: Header=BB55_129 Depth=1
	v_add_nc_u32_e32 v6, s28, v5
	s_delay_alu instid0(VALU_DEP_1)
	v_mad_u64_u32 v[1:2], null, v6, s29, v[0:1]
	s_cbranch_execnz .LBB55_127
	s_branch .LBB55_133
.LBB55_132:                             ;   in Loop: Header=BB55_129 Depth=1
                                        ; implicit-def: $vgpr1
.LBB55_133:                             ;   in Loop: Header=BB55_129 Depth=1
	v_add_nc_u32_e32 v1, v3, v5
	s_branch .LBB55_127
.LBB55_134:
	s_set_inst_prefetch_distance 0x2
	s_or_b32 exec_lo, exec_lo, s1
	v_or_b32_e32 v1, v10, v0
	s_delay_alu instid0(VALU_DEP_1)
	v_cmp_eq_u32_e64 s3, 0, v1
.LBB55_135:
	s_delay_alu instid0(VALU_DEP_1)
	s_and_saveexec_b32 s0, s3
	s_cbranch_execnz .LBB55_143
.LBB55_136:
	s_nop 0
	s_sendmsg sendmsg(MSG_DEALLOC_VGPRS)
	s_endpgm
.LBB55_137:
	s_cbranch_execz .LBB55_135
; %bb.138:
	v_or_b32_e32 v0, v10, v0
	s_mov_b32 s0, exec_lo
	s_delay_alu instid0(VALU_DEP_1)
	v_cmpx_eq_u32_e32 0, v0
	s_cbranch_execz .LBB55_142
; %bb.139:
	v_mbcnt_lo_u32_b32 v0, exec_lo, 0
	s_mov_b32 s1, exec_lo
	s_delay_alu instid0(VALU_DEP_1)
	v_cmpx_eq_u32_e32 0, v0
	s_cbranch_execz .LBB55_141
; %bb.140:
	s_add_i32 s2, s16, s17
	s_delay_alu instid0(SALU_CYCLE_1)
	v_dual_mov_b32 v0, 0 :: v_dual_mov_b32 v1, s2
	global_atomic_min_i32 v0, v1, s[10:11]
.LBB55_141:
	s_or_b32 exec_lo, exec_lo, s1
	s_delay_alu instid0(SALU_CYCLE_1)
	s_or_b32 s3, s3, exec_lo
.LBB55_142:
	s_or_b32 exec_lo, exec_lo, s0
	s_and_saveexec_b32 s0, s3
	s_cbranch_execz .LBB55_136
.LBB55_143:
	v_dual_mov_b32 v0, 0 :: v_dual_mov_b32 v1, 1
	s_add_u32 s0, s6, s8
	s_addc_u32 s1, s7, s9
	s_waitcnt_vscnt null, 0x0
	global_store_b32 v0, v1, s[0:1]
	s_nop 0
	s_sendmsg sendmsg(MSG_DEALLOC_VGPRS)
	s_endpgm
	.section	.rodata,"a",@progbits
	.p2align	6, 0x0
	.amdhsa_kernel _ZN9rocsparseL18bsric0_9_16_kernelILi64ELi128ELi16E21rocsparse_complex_numIfEEEv20rocsparse_direction_iiPKiS5_PT2_S5_PiS5_S8_21rocsparse_index_base_
		.amdhsa_group_segment_fixed_size 10240
		.amdhsa_private_segment_fixed_size 0
		.amdhsa_kernarg_size 76
		.amdhsa_user_sgpr_count 15
		.amdhsa_user_sgpr_dispatch_ptr 0
		.amdhsa_user_sgpr_queue_ptr 0
		.amdhsa_user_sgpr_kernarg_segment_ptr 1
		.amdhsa_user_sgpr_dispatch_id 0
		.amdhsa_user_sgpr_private_segment_size 0
		.amdhsa_wavefront_size32 1
		.amdhsa_uses_dynamic_stack 0
		.amdhsa_enable_private_segment 0
		.amdhsa_system_sgpr_workgroup_id_x 1
		.amdhsa_system_sgpr_workgroup_id_y 0
		.amdhsa_system_sgpr_workgroup_id_z 0
		.amdhsa_system_sgpr_workgroup_info 0
		.amdhsa_system_vgpr_workitem_id 1
		.amdhsa_next_free_vgpr 29
		.amdhsa_next_free_sgpr 44
		.amdhsa_reserve_vcc 1
		.amdhsa_float_round_mode_32 0
		.amdhsa_float_round_mode_16_64 0
		.amdhsa_float_denorm_mode_32 3
		.amdhsa_float_denorm_mode_16_64 3
		.amdhsa_dx10_clamp 1
		.amdhsa_ieee_mode 1
		.amdhsa_fp16_overflow 0
		.amdhsa_workgroup_processor_mode 1
		.amdhsa_memory_ordered 1
		.amdhsa_forward_progress 0
		.amdhsa_shared_vgpr_count 0
		.amdhsa_exception_fp_ieee_invalid_op 0
		.amdhsa_exception_fp_denorm_src 0
		.amdhsa_exception_fp_ieee_div_zero 0
		.amdhsa_exception_fp_ieee_overflow 0
		.amdhsa_exception_fp_ieee_underflow 0
		.amdhsa_exception_fp_ieee_inexact 0
		.amdhsa_exception_int_div_zero 0
	.end_amdhsa_kernel
	.section	.text._ZN9rocsparseL18bsric0_9_16_kernelILi64ELi128ELi16E21rocsparse_complex_numIfEEEv20rocsparse_direction_iiPKiS5_PT2_S5_PiS5_S8_21rocsparse_index_base_,"axG",@progbits,_ZN9rocsparseL18bsric0_9_16_kernelILi64ELi128ELi16E21rocsparse_complex_numIfEEEv20rocsparse_direction_iiPKiS5_PT2_S5_PiS5_S8_21rocsparse_index_base_,comdat
.Lfunc_end55:
	.size	_ZN9rocsparseL18bsric0_9_16_kernelILi64ELi128ELi16E21rocsparse_complex_numIfEEEv20rocsparse_direction_iiPKiS5_PT2_S5_PiS5_S8_21rocsparse_index_base_, .Lfunc_end55-_ZN9rocsparseL18bsric0_9_16_kernelILi64ELi128ELi16E21rocsparse_complex_numIfEEEv20rocsparse_direction_iiPKiS5_PT2_S5_PiS5_S8_21rocsparse_index_base_
                                        ; -- End function
	.section	.AMDGPU.csdata,"",@progbits
; Kernel info:
; codeLenInByte = 5104
; NumSgprs: 46
; NumVgprs: 29
; ScratchSize: 0
; MemoryBound: 0
; FloatMode: 240
; IeeeMode: 1
; LDSByteSize: 10240 bytes/workgroup (compile time only)
; SGPRBlocks: 5
; VGPRBlocks: 3
; NumSGPRsForWavesPerEU: 46
; NumVGPRsForWavesPerEU: 29
; Occupancy: 6
; WaveLimiterHint : 1
; COMPUTE_PGM_RSRC2:SCRATCH_EN: 0
; COMPUTE_PGM_RSRC2:USER_SGPR: 15
; COMPUTE_PGM_RSRC2:TRAP_HANDLER: 0
; COMPUTE_PGM_RSRC2:TGID_X_EN: 1
; COMPUTE_PGM_RSRC2:TGID_Y_EN: 0
; COMPUTE_PGM_RSRC2:TGID_Z_EN: 0
; COMPUTE_PGM_RSRC2:TIDIG_COMP_CNT: 1
	.section	.text._ZN9rocsparseL19bsric0_17_32_kernelILi64ELi128ELi32E21rocsparse_complex_numIfEEEv20rocsparse_direction_iiPKiS5_PT2_S5_PiS5_S8_21rocsparse_index_base_,"axG",@progbits,_ZN9rocsparseL19bsric0_17_32_kernelILi64ELi128ELi32E21rocsparse_complex_numIfEEEv20rocsparse_direction_iiPKiS5_PT2_S5_PiS5_S8_21rocsparse_index_base_,comdat
	.globl	_ZN9rocsparseL19bsric0_17_32_kernelILi64ELi128ELi32E21rocsparse_complex_numIfEEEv20rocsparse_direction_iiPKiS5_PT2_S5_PiS5_S8_21rocsparse_index_base_ ; -- Begin function _ZN9rocsparseL19bsric0_17_32_kernelILi64ELi128ELi32E21rocsparse_complex_numIfEEEv20rocsparse_direction_iiPKiS5_PT2_S5_PiS5_S8_21rocsparse_index_base_
	.p2align	8
	.type	_ZN9rocsparseL19bsric0_17_32_kernelILi64ELi128ELi32E21rocsparse_complex_numIfEEEv20rocsparse_direction_iiPKiS5_PT2_S5_PiS5_S8_21rocsparse_index_base_,@function
_ZN9rocsparseL19bsric0_17_32_kernelILi64ELi128ELi32E21rocsparse_complex_numIfEEEv20rocsparse_direction_iiPKiS5_PT2_S5_PiS5_S8_21rocsparse_index_base_: ; @_ZN9rocsparseL19bsric0_17_32_kernelILi64ELi128ELi32E21rocsparse_complex_numIfEEEv20rocsparse_direction_iiPKiS5_PT2_S5_PiS5_S8_21rocsparse_index_base_
; %bb.0:
	s_load_b256 s[4:11], s[0:1], 0x28
	s_mov_b32 s2, s15
	s_mov_b32 s3, 0
	v_and_b32_e32 v10, 0x3ff, v0
	s_lshl_b64 s[12:13], s[2:3], 2
	v_bfe_u32 v0, v0, 10, 10
	s_waitcnt lgkmcnt(0)
	s_add_u32 s8, s8, s12
	s_addc_u32 s9, s9, s13
	s_load_b32 s16, s[8:9], 0x0
	s_waitcnt lgkmcnt(0)
	s_ashr_i32 s17, s16, 31
	s_delay_alu instid0(SALU_CYCLE_1) | instskip(NEXT) | instid1(SALU_CYCLE_1)
	s_lshl_b64 s[8:9], s[16:17], 2
	s_add_u32 s12, s4, s8
	s_addc_u32 s13, s5, s9
	s_load_b32 s28, s[12:13], 0x0
	s_load_b32 s17, s[0:1], 0x48
	s_waitcnt lgkmcnt(0)
	s_cmp_lg_u32 s28, -1
	s_cbranch_scc0 .LBB56_125
; %bb.1:
	s_clause 0x1
	s_load_b128 s[12:15], s[0:1], 0x10
	s_load_b64 s[18:19], s[0:1], 0x20
	v_lshlrev_b32_e32 v1, 1, v0
	v_lshlrev_b32_e32 v13, 3, v0
	s_waitcnt lgkmcnt(0)
	s_add_u32 s2, s12, s8
	s_addc_u32 s3, s13, s9
	s_load_b32 s2, s[2:3], 0x0
	s_waitcnt lgkmcnt(0)
	s_sub_i32 s31, s2, s17
	s_mov_b32 s2, exec_lo
	v_add3_u32 v1, v1, v10, s31
	s_delay_alu instid0(VALU_DEP_1)
	v_cmpx_ge_i32_e64 s28, v1
	s_cbranch_execz .LBB56_4
; %bb.2:
	v_lshlrev_b32_e32 v2, 2, v10
	s_mov_b32 s3, 0
	s_delay_alu instid0(VALU_DEP_1)
	v_add3_u32 v3, v13, v2, 0x6700
	.p2align	6
.LBB56_3:                               ; =>This Inner Loop Header: Depth=1
	v_ashrrev_i32_e32 v2, 31, v1
	s_delay_alu instid0(VALU_DEP_1) | instskip(SKIP_1) | instid1(VALU_DEP_2)
	v_lshlrev_b64 v[4:5], 2, v[1:2]
	v_add_nc_u32_e32 v1, 64, v1
	v_add_co_u32 v4, vcc_lo, s14, v4
	s_delay_alu instid0(VALU_DEP_3) | instskip(NEXT) | instid1(VALU_DEP_3)
	v_add_co_ci_u32_e32 v5, vcc_lo, s15, v5, vcc_lo
	v_cmp_lt_i32_e32 vcc_lo, s28, v1
	global_load_b32 v2, v[4:5], off
	s_or_b32 s3, vcc_lo, s3
	s_waitcnt vmcnt(0)
	v_subrev_nc_u32_e32 v2, s17, v2
	ds_store_b32 v3, v2
	v_add_nc_u32_e32 v3, 0x100, v3
	s_and_not1_b32 exec_lo, exec_lo, s3
	s_cbranch_execnz .LBB56_3
.LBB56_4:
	s_or_b32 exec_lo, exec_lo, s2
	v_mul_u32_u24_e32 v11, 0x108, v0
	v_lshlrev_b32_e32 v12, 3, v10
	s_mov_b32 s2, exec_lo
	v_cmpx_gt_u32_e32 32, v10
	s_cbranch_execz .LBB56_7
; %bb.5:
	v_mov_b32_e32 v1, 0
	v_add_nc_u32_e32 v3, -2, v10
	v_add3_u32 v4, v11, v12, 0x4200
	s_mov_b32 s3, 0
	s_delay_alu instid0(VALU_DEP_3)
	v_mov_b32_e32 v2, v1
.LBB56_6:                               ; =>This Inner Loop Header: Depth=1
	s_delay_alu instid0(VALU_DEP_3) | instskip(SKIP_4) | instid1(SALU_CYCLE_1)
	v_add_nc_u32_e32 v3, 2, v3
	ds_store_b64 v4, v[1:2]
	v_add_nc_u32_e32 v4, 16, v4
	v_cmp_lt_u32_e32 vcc_lo, 29, v3
	s_or_b32 s3, vcc_lo, s3
	s_and_not1_b32 exec_lo, exec_lo, s3
	s_cbranch_execnz .LBB56_6
.LBB56_7:
	s_or_b32 exec_lo, exec_lo, s2
	s_clause 0x1
	s_load_b32 s29, s[0:1], 0x8
	s_load_b32 s30, s[0:1], 0x0
	s_cmp_ge_i32 s31, s28
	s_waitcnt lgkmcnt(0)
	buffer_gl0_inv
	v_cmp_gt_i32_e64 s0, s29, v10
	s_cbranch_scc1 .LBB56_80
; %bb.8:
	v_mad_u64_u32 v[1:2], null, s29, s31, v[0:1]
	v_or_b32_e32 v2, v10, v0
	v_mad_u32_u24 v15, 0x108, v0, v12
	s_cmp_eq_u32 s30, 0
	v_mul_lo_u32 v14, v0, s29
	v_mul_lo_u32 v16, v10, s29
	s_movk_i32 s3, 0x2100
	v_mul_lo_u32 v18, s29, v1
	s_cselect_b32 s33, -1, 0
	s_cmp_lg_u32 s30, 0
	v_cmp_gt_i32_e64 s1, s29, v0
	v_cmp_ne_u32_e64 s2, 0, v2
	v_mad_u32_u24 v17, 0x108, v0, s3
	v_mad_u32_u24 v19, 0x108, v10, s3
	v_dual_mov_b32 v1, 0 :: v_dual_add_nc_u32 v20, 0x4200, v15
	v_add_nc_u32_e32 v21, 0x2100, v15
	s_cselect_b32 s34, -1, 0
	s_cmp_gt_i32 s29, 0
	s_mul_i32 s36, s29, s29
	s_cselect_b32 s35, -1, 0
	s_lshl_b32 s37, s29, 1
	s_mov_b32 s20, s31
	s_branch .LBB56_10
.LBB56_9:                               ;   in Loop: Header=BB56_10 Depth=1
	s_set_inst_prefetch_distance 0x2
	s_or_b32 exec_lo, exec_lo, s3
	s_add_i32 s20, s20, 1
	v_add_nc_u32_e32 v18, s36, v18
	s_cmp_ge_i32 s20, s28
	s_waitcnt_vscnt null, 0x0
	buffer_gl1_inv
	buffer_gl0_inv
	s_cselect_b32 s3, -1, 0
	s_delay_alu instid0(SALU_CYCLE_1)
	s_and_b32 vcc_lo, exec_lo, s3
	s_cbranch_vccnz .LBB56_80
.LBB56_10:                              ; =>This Loop Header: Depth=1
                                        ;     Child Loop BB56_14 Depth 2
                                        ;     Child Loop BB56_27 Depth 2
	;; [unrolled: 1-line block ×4, first 2 shown]
                                        ;       Child Loop BB56_45 Depth 3
                                        ;     Child Loop BB56_58 Depth 2
                                        ;       Child Loop BB56_65 Depth 3
                                        ;       Child Loop BB56_69 Depth 3
                                        ;     Child Loop BB56_74 Depth 2
	s_ashr_i32 s21, s20, 31
	s_delay_alu instid0(SALU_CYCLE_1) | instskip(NEXT) | instid1(SALU_CYCLE_1)
	s_lshl_b64 s[22:23], s[20:21], 2
	s_add_u32 s22, s14, s22
	s_addc_u32 s23, s15, s23
	s_load_b32 s38, s[22:23], 0x0
	s_waitcnt lgkmcnt(0)
	s_sub_i32 s24, s38, s17
	s_delay_alu instid0(SALU_CYCLE_1) | instskip(NEXT) | instid1(SALU_CYCLE_1)
	s_ashr_i32 s25, s24, 31
	s_lshl_b64 s[22:23], s[24:25], 2
	s_delay_alu instid0(SALU_CYCLE_1)
	s_add_u32 s26, s4, s22
	s_addc_u32 s27, s5, s23
	s_load_b32 s3, s[26:27], 0x0
	s_waitcnt lgkmcnt(0)
	s_cmp_eq_u32 s3, -1
	s_cbranch_scc1 .LBB56_79
; %bb.11:                               ;   in Loop: Header=BB56_10 Depth=1
	s_add_u32 s26, s12, s22
	s_addc_u32 s27, s13, s23
	s_mul_i32 s21, s20, s29
	s_load_b32 s25, s[26:27], 0x0
	s_and_saveexec_b32 s26, s0
	s_cbranch_execz .LBB56_24
; %bb.12:                               ;   in Loop: Header=BB56_10 Depth=1
	v_dual_mov_b32 v5, v15 :: v_dual_mov_b32 v6, v10
	s_mov_b32 s27, 0
	s_branch .LBB56_14
.LBB56_13:                              ;   in Loop: Header=BB56_14 Depth=2
	s_or_b32 exec_lo, exec_lo, s40
	v_add_nc_u32_e32 v6, 2, v6
	v_mov_b32_e32 v2, v1
	s_waitcnt vmcnt(0)
	ds_store_b64 v5, v[3:4] offset:8448
	ds_store_b64 v5, v[1:2]
	v_add_nc_u32_e32 v5, 16, v5
	v_cmp_le_i32_e32 vcc_lo, s29, v6
	s_or_b32 s27, vcc_lo, s27
	s_delay_alu instid0(SALU_CYCLE_1)
	s_and_not1_b32 exec_lo, exec_lo, s27
	s_cbranch_execz .LBB56_24
.LBB56_14:                              ;   Parent Loop BB56_10 Depth=1
                                        ; =>  This Inner Loop Header: Depth=2
	s_and_b32 vcc_lo, exec_lo, s34
	s_cbranch_vccz .LBB56_18
; %bb.15:                               ;   in Loop: Header=BB56_14 Depth=2
	s_mov_b32 s40, 0
	s_mov_b32 s39, 0
                                        ; implicit-def: $vgpr2
	s_and_saveexec_b32 s41, s1
	s_delay_alu instid0(SALU_CYCLE_1)
	s_xor_b32 s41, exec_lo, s41
; %bb.16:                               ;   in Loop: Header=BB56_14 Depth=2
	v_add_nc_u32_e32 v4, s21, v6
	s_mov_b32 s39, exec_lo
	s_delay_alu instid0(VALU_DEP_1)
	v_mad_u64_u32 v[2:3], null, v4, s29, v[0:1]
; %bb.17:                               ;   in Loop: Header=BB56_14 Depth=2
	s_or_b32 exec_lo, exec_lo, s41
	s_delay_alu instid0(SALU_CYCLE_1)
	s_and_b32 vcc_lo, exec_lo, s40
	s_cbranch_vccnz .LBB56_19
	s_branch .LBB56_22
.LBB56_18:                              ;   in Loop: Header=BB56_14 Depth=2
	s_mov_b32 s40, -1
	s_mov_b32 s39, 0
                                        ; implicit-def: $vgpr2
	s_cbranch_execz .LBB56_22
.LBB56_19:                              ;   in Loop: Header=BB56_14 Depth=2
                                        ; implicit-def: $vgpr2
	s_and_saveexec_b32 s40, s1
; %bb.20:                               ;   in Loop: Header=BB56_14 Depth=2
	v_add_nc_u32_e32 v2, v18, v6
	s_or_b32 s39, s39, exec_lo
; %bb.21:                               ;   in Loop: Header=BB56_14 Depth=2
	s_or_b32 exec_lo, exec_lo, s40
	s_mov_b32 s40, 0
.LBB56_22:                              ;   in Loop: Header=BB56_14 Depth=2
	s_delay_alu instid0(SALU_CYCLE_1)
	v_dual_mov_b32 v3, s40 :: v_dual_mov_b32 v4, s40
	s_and_saveexec_b32 s40, s39
	s_cbranch_execz .LBB56_13
; %bb.23:                               ;   in Loop: Header=BB56_14 Depth=2
	v_ashrrev_i32_e32 v3, 31, v2
	s_delay_alu instid0(VALU_DEP_1) | instskip(NEXT) | instid1(VALU_DEP_1)
	v_lshlrev_b64 v[2:3], 3, v[2:3]
	v_add_co_u32 v2, vcc_lo, s18, v2
	s_delay_alu instid0(VALU_DEP_2)
	v_add_co_ci_u32_e32 v3, vcc_lo, s19, v3, vcc_lo
	global_load_b64 v[3:4], v[2:3], off
	s_branch .LBB56_13
.LBB56_24:                              ;   in Loop: Header=BB56_10 Depth=1
	s_or_b32 exec_lo, exec_lo, s26
; %bb.25:                               ;   in Loop: Header=BB56_10 Depth=1
	ds_load_b32 v2, v1 offset:26368
	s_waitcnt lgkmcnt(0)
	s_sub_i32 s26, s25, s17
	s_mov_b32 s27, 0
	s_cmp_le_i32 s26, s3
	s_cselect_b32 s25, -1, 0
	v_cmp_ge_i32_e32 vcc_lo, s24, v2
	s_and_b32 s25, s25, vcc_lo
	s_delay_alu instid0(SALU_CYCLE_1)
	s_and_not1_b32 vcc_lo, exec_lo, s25
	s_cbranch_vccnz .LBB56_37
; %bb.26:                               ;   in Loop: Header=BB56_10 Depth=1
	s_mov_b32 s25, 0
	s_mov_b32 s39, 0
.LBB56_27:                              ;   Parent Loop BB56_10 Depth=1
                                        ; =>  This Inner Loop Header: Depth=2
	s_ashr_i32 s27, s26, 31
	s_mov_b32 s43, -1
	s_lshl_b64 s[40:41], s[26:27], 2
                                        ; implicit-def: $sgpr42
	s_delay_alu instid0(SALU_CYCLE_1) | instskip(SKIP_2) | instid1(SALU_CYCLE_1)
	s_add_u32 s40, s14, s40
	s_addc_u32 s41, s15, s41
	s_lshl_b32 s27, s39, 2
	v_mov_b32_e32 v2, s27
	s_load_b32 s27, s[40:41], 0x0
                                        ; implicit-def: $sgpr41
	ds_load_b32 v2, v2 offset:26368
	s_waitcnt lgkmcnt(0)
	s_sub_i32 s44, s27, s17
                                        ; implicit-def: $sgpr27
	s_delay_alu instid0(SALU_CYCLE_1)
	v_cmp_ge_i32_e32 vcc_lo, s44, v2
	v_readfirstlane_b32 s40, v2
	s_cbranch_vccz .LBB56_33
; %bb.28:                               ;   in Loop: Header=BB56_27 Depth=2
	s_delay_alu instid0(VALU_DEP_1)
	s_cmp_le_i32 s44, s40
                                        ; implicit-def: $sgpr27
                                        ; implicit-def: $sgpr42
                                        ; implicit-def: $sgpr41
	s_cbranch_scc0 .LBB56_30
; %bb.29:                               ;   in Loop: Header=BB56_27 Depth=2
	s_add_i32 s27, s39, s31
	s_lshl_b32 s41, s25, 2
	s_mul_i32 s27, s27, s36
	s_delay_alu instid0(SALU_CYCLE_1)
	v_dual_mov_b32 v2, s41 :: v_dual_mov_b32 v3, s27
	s_mul_i32 s41, s26, s36
	s_add_i32 s42, s26, 1
	v_mov_b32_e32 v4, s41
	s_add_i32 s41, s39, 1
	s_add_i32 s27, s25, 1
	s_mov_b32 s43, 0
	ds_store_2addr_stride64_b32 v2, v4, v3 offset0:99 offset1:101
.LBB56_30:                              ;   in Loop: Header=BB56_27 Depth=2
	s_and_not1_b32 vcc_lo, exec_lo, s43
	s_cbranch_vccnz .LBB56_32
; %bb.31:                               ;   in Loop: Header=BB56_27 Depth=2
	s_add_i32 s41, s39, 1
	s_mov_b32 s27, s25
	s_mov_b32 s42, s26
.LBB56_32:                              ;   in Loop: Header=BB56_27 Depth=2
	s_mov_b32 s43, 0
.LBB56_33:                              ;   in Loop: Header=BB56_27 Depth=2
	s_delay_alu instid0(SALU_CYCLE_1)
	s_and_not1_b32 vcc_lo, exec_lo, s43
	s_cbranch_vccnz .LBB56_35
; %bb.34:                               ;   in Loop: Header=BB56_27 Depth=2
	s_add_i32 s42, s26, 1
	s_mov_b32 s41, s39
	s_mov_b32 s27, s25
.LBB56_35:                              ;   in Loop: Header=BB56_27 Depth=2
	s_cmp_le_i32 s42, s3
	s_cselect_b32 s25, -1, 0
	s_cmp_le_i32 s40, s24
	s_cselect_b32 s26, -1, 0
	s_delay_alu instid0(SALU_CYCLE_1) | instskip(NEXT) | instid1(SALU_CYCLE_1)
	s_and_b32 s25, s25, s26
	s_and_b32 vcc_lo, exec_lo, s25
	s_cbranch_vccz .LBB56_37
; %bb.36:                               ;   in Loop: Header=BB56_27 Depth=2
	s_mov_b32 s25, s27
	s_mov_b32 s26, s42
	;; [unrolled: 1-line block ×3, first 2 shown]
	s_branch .LBB56_27
.LBB56_37:                              ;   in Loop: Header=BB56_10 Depth=1
	s_add_u32 s22, s6, s22
	s_addc_u32 s23, s7, s23
	s_waitcnt lgkmcnt(0)
	buffer_gl0_inv
.LBB56_38:                              ;   Parent Loop BB56_10 Depth=1
                                        ; =>  This Inner Loop Header: Depth=2
	global_load_b32 v2, v1, s[22:23] glc
	s_waitcnt vmcnt(0)
	v_cmp_eq_u32_e32 vcc_lo, 0, v2
	s_cbranch_vccnz .LBB56_38
; %bb.39:                               ;   in Loop: Header=BB56_10 Depth=1
	s_cmp_lt_i32 s27, 2
	buffer_gl1_inv
	buffer_gl0_inv
	s_cbranch_scc1 .LBB56_55
; %bb.40:                               ;   in Loop: Header=BB56_10 Depth=1
	s_add_i32 s22, s27, -2
	s_mov_b32 s23, 0
	s_branch .LBB56_42
.LBB56_41:                              ;   in Loop: Header=BB56_42 Depth=2
	s_or_b32 exec_lo, exec_lo, s24
	s_add_i32 s24, s23, 1
	s_cmp_eq_u32 s23, s22
	s_mov_b32 s23, s24
	s_cbranch_scc1 .LBB56_55
.LBB56_42:                              ;   Parent Loop BB56_10 Depth=1
                                        ; =>  This Loop Header: Depth=2
                                        ;       Child Loop BB56_45 Depth 3
	s_and_saveexec_b32 s24, s0
	s_cbranch_execz .LBB56_41
; %bb.43:                               ;   in Loop: Header=BB56_42 Depth=2
	s_lshl_b32 s25, s23, 2
	v_mov_b32_e32 v26, v10
	v_mov_b32_e32 v2, s25
	s_mov_b32 s25, 0
	ds_load_2addr_stride64_b32 v[2:3], v2 offset0:99 offset1:101
	s_waitcnt lgkmcnt(0)
	v_add_nc_u32_e32 v23, v0, v3
	v_add_nc_u32_e32 v22, v3, v14
	;; [unrolled: 1-line block ×4, first 2 shown]
	s_branch .LBB56_45
.LBB56_44:                              ;   in Loop: Header=BB56_45 Depth=3
	v_lshlrev_b32_e32 v2, 3, v26
	v_add_nc_u32_e32 v26, 2, v26
	v_add_nc_u32_e32 v24, 2, v24
	;; [unrolled: 1-line block ×3, first 2 shown]
	s_delay_alu instid0(VALU_DEP_4) | instskip(NEXT) | instid1(VALU_DEP_4)
	v_mad_u32_u24 v4, 0x108, v0, v2
	v_cmp_le_i32_e32 vcc_lo, s29, v26
	ds_load_b64 v[6:7], v4
	s_or_b32 s25, vcc_lo, s25
	s_waitcnt lgkmcnt(0)
	v_dual_add_f32 v2, v3, v6 :: v_dual_add_f32 v3, v5, v7
	ds_store_b64 v4, v[2:3]
	s_and_not1_b32 exec_lo, exec_lo, s25
	s_cbranch_execz .LBB56_41
.LBB56_45:                              ;   Parent Loop BB56_10 Depth=1
                                        ;     Parent Loop BB56_42 Depth=2
                                        ; =>    This Inner Loop Header: Depth=3
	s_delay_alu instid0(VALU_DEP_2)
	v_dual_mov_b32 v27, 0 :: v_dual_mov_b32 v2, v24
	v_mov_b32_e32 v4, v23
	v_mov_b32_e32 v28, 0
	s_mov_b32 s26, 0
	s_and_b32 vcc_lo, exec_lo, s34
	s_cbranch_vccz .LBB56_49
.LBB56_46:                              ;   in Loop: Header=BB56_45 Depth=3
	v_ashrrev_i32_e32 v3, 31, v2
	v_dual_mov_b32 v8, 0 :: v_dual_mov_b32 v9, 0
	s_mov_b32 s27, 0
	s_delay_alu instid0(VALU_DEP_2) | instskip(NEXT) | instid1(VALU_DEP_1)
	v_lshlrev_b64 v[5:6], 3, v[2:3]
	v_add_co_u32 v5, vcc_lo, s18, v5
	s_delay_alu instid0(VALU_DEP_2)
	v_add_co_ci_u32_e32 v6, vcc_lo, s19, v6, vcc_lo
	global_load_b64 v[6:7], v[5:6], off
	s_and_saveexec_b32 s39, s1
	s_cbranch_execz .LBB56_48
; %bb.47:                               ;   in Loop: Header=BB56_45 Depth=3
	v_ashrrev_i32_e32 v5, 31, v4
	s_delay_alu instid0(VALU_DEP_1) | instskip(NEXT) | instid1(VALU_DEP_1)
	v_lshlrev_b64 v[8:9], 3, v[4:5]
	v_add_co_u32 v8, vcc_lo, s18, v8
	s_delay_alu instid0(VALU_DEP_2)
	v_add_co_ci_u32_e32 v9, vcc_lo, s19, v9, vcc_lo
	global_load_b64 v[8:9], v[8:9], off
.LBB56_48:                              ;   in Loop: Header=BB56_45 Depth=3
	s_or_b32 exec_lo, exec_lo, s39
	s_waitcnt vmcnt(0)
	v_fma_f32 v3, v6, v8, v28
	v_fma_f32 v5, v7, v8, v27
	s_delay_alu instid0(VALU_DEP_2) | instskip(NEXT) | instid1(VALU_DEP_2)
	v_fmac_f32_e32 v3, v7, v9
	v_fma_f32 v5, v6, -v9, v5
	s_and_b32 vcc_lo, exec_lo, s27
	s_cbranch_vccnz .LBB56_50
	s_branch .LBB56_53
.LBB56_49:                              ;   in Loop: Header=BB56_45 Depth=3
                                        ; implicit-def: $vgpr5
                                        ; implicit-def: $vgpr3
	s_cbranch_execz .LBB56_53
.LBB56_50:                              ;   in Loop: Header=BB56_45 Depth=3
	v_dual_mov_b32 v8, 0 :: v_dual_add_nc_u32 v5, s26, v25
	v_mov_b32_e32 v7, 0
	s_delay_alu instid0(VALU_DEP_2) | instskip(NEXT) | instid1(VALU_DEP_1)
	v_ashrrev_i32_e32 v6, 31, v5
	v_lshlrev_b64 v[5:6], 3, v[5:6]
	s_delay_alu instid0(VALU_DEP_1) | instskip(NEXT) | instid1(VALU_DEP_2)
	v_add_co_u32 v5, vcc_lo, s18, v5
	v_add_co_ci_u32_e32 v6, vcc_lo, s19, v6, vcc_lo
	global_load_b64 v[5:6], v[5:6], off
	s_and_saveexec_b32 s27, s1
	s_cbranch_execz .LBB56_52
; %bb.51:                               ;   in Loop: Header=BB56_45 Depth=3
	v_add_nc_u32_e32 v7, s26, v22
	s_delay_alu instid0(VALU_DEP_1) | instskip(NEXT) | instid1(VALU_DEP_1)
	v_ashrrev_i32_e32 v8, 31, v7
	v_lshlrev_b64 v[7:8], 3, v[7:8]
	s_delay_alu instid0(VALU_DEP_1) | instskip(NEXT) | instid1(VALU_DEP_2)
	v_add_co_u32 v7, vcc_lo, s18, v7
	v_add_co_ci_u32_e32 v8, vcc_lo, s19, v8, vcc_lo
	global_load_b64 v[7:8], v[7:8], off
.LBB56_52:                              ;   in Loop: Header=BB56_45 Depth=3
	s_or_b32 exec_lo, exec_lo, s27
	s_waitcnt vmcnt(0)
	v_fmac_f32_e32 v28, v5, v7
	v_fmac_f32_e32 v27, v6, v7
	s_delay_alu instid0(VALU_DEP_2) | instskip(NEXT) | instid1(VALU_DEP_2)
	v_fmac_f32_e32 v28, v6, v8
	v_fma_f32 v5, v5, -v8, v27
	s_delay_alu instid0(VALU_DEP_2)
	v_mov_b32_e32 v3, v28
.LBB56_53:                              ;   in Loop: Header=BB56_45 Depth=3
	v_add_nc_u32_e32 v4, s29, v4
	v_add_nc_u32_e32 v2, s29, v2
	s_add_i32 s26, s26, 1
	s_delay_alu instid0(SALU_CYCLE_1)
	s_cmp_eq_u32 s29, s26
	s_cbranch_scc1 .LBB56_44
; %bb.54:                               ;   in Loop: Header=BB56_45 Depth=3
	v_dual_mov_b32 v27, v5 :: v_dual_mov_b32 v28, v3
	s_and_b32 vcc_lo, exec_lo, s34
	s_cbranch_vccz .LBB56_49
	s_branch .LBB56_46
.LBB56_55:                              ;   in Loop: Header=BB56_10 Depth=1
	s_and_not1_b32 vcc_lo, exec_lo, s35
	s_waitcnt lgkmcnt(0)
	buffer_gl0_inv
	s_cbranch_vccnz .LBB56_70
; %bb.56:                               ;   in Loop: Header=BB56_10 Depth=1
	v_mov_b32_e32 v6, v19
	s_mul_i32 s24, s36, s3
	s_mov_b32 s25, 0
	s_mov_b32 s26, s24
	s_branch .LBB56_58
.LBB56_57:                              ;   in Loop: Header=BB56_58 Depth=2
	s_or_b32 exec_lo, exec_lo, s3
	v_add_nc_u32_e32 v6, 8, v6
	s_add_i32 s25, s25, 1
	s_add_i32 s26, s26, 1
	s_cmp_eq_u32 s25, s29
	s_waitcnt lgkmcnt(0)
	buffer_gl0_inv
	s_cbranch_scc1 .LBB56_70
.LBB56_58:                              ;   Parent Loop BB56_10 Depth=1
                                        ; =>  This Loop Header: Depth=2
                                        ;       Child Loop BB56_65 Depth 3
                                        ;       Child Loop BB56_69 Depth 3
	s_mul_i32 s27, s25, s29
	v_lshl_add_u32 v9, s25, 3, v11
	s_add_i32 s27, s27, s24
	s_delay_alu instid0(SALU_CYCLE_1) | instskip(SKIP_2) | instid1(SALU_CYCLE_1)
	s_add_i32 s22, s27, s25
	ds_load_b64 v[2:3], v9 offset:8448
	s_ashr_i32 s23, s22, 31
	s_lshl_b64 s[22:23], s[22:23], 3
	s_delay_alu instid0(SALU_CYCLE_1)
	s_add_u32 s22, s18, s22
	s_addc_u32 s23, s19, s23
	global_load_b64 v[4:5], v1, s[22:23]
	s_waitcnt vmcnt(0)
	v_cmp_neq_f32_e32 vcc_lo, 0, v4
	v_cmp_neq_f32_e64 s3, 0, v5
	s_delay_alu instid0(VALU_DEP_1) | instskip(SKIP_2) | instid1(SALU_CYCLE_1)
	s_or_b32 vcc_lo, vcc_lo, s3
	v_dual_cndmask_b32 v7, 1.0, v4 :: v_dual_cndmask_b32 v8, 0, v5
	s_or_b32 s3, vcc_lo, s2
	s_xor_b32 s22, s3, -1
	s_delay_alu instid0(SALU_CYCLE_1)
	s_and_saveexec_b32 s3, s22
	s_cbranch_execz .LBB56_62
; %bb.59:                               ;   in Loop: Header=BB56_58 Depth=2
	v_mbcnt_lo_u32_b32 v4, exec_lo, 0
	s_mov_b32 s22, exec_lo
	s_delay_alu instid0(VALU_DEP_1)
	v_cmpx_eq_u32_e32 0, v4
	s_cbranch_execz .LBB56_61
; %bb.60:                               ;   in Loop: Header=BB56_58 Depth=2
	v_mov_b32_e32 v4, s38
	global_atomic_min_i32 v1, v4, s[10:11]
.LBB56_61:                              ;   in Loop: Header=BB56_58 Depth=2
	s_or_b32 exec_lo, exec_lo, s22
	v_dual_mov_b32 v7, 1.0 :: v_dual_mov_b32 v8, 0
.LBB56_62:                              ;   in Loop: Header=BB56_58 Depth=2
	s_or_b32 exec_lo, exec_lo, s3
	ds_load_b64 v[4:5], v9
	s_cmp_eq_u32 s25, 0
	s_cbranch_scc1 .LBB56_67
; %bb.63:                               ;   in Loop: Header=BB56_58 Depth=2
	v_mov_b32_e32 v22, v17
	s_mov_b32 s3, 0
	s_mov_b32 s39, s26
	s_branch .LBB56_65
	.p2align	6
.LBB56_64:                              ;   in Loop: Header=BB56_65 Depth=3
	s_ashr_i32 s23, s22, 31
	ds_load_b64 v[25:26], v22
	s_lshl_b64 s[22:23], s[22:23], 3
	v_add_nc_u32_e32 v22, 8, v22
	s_add_u32 s22, s18, s22
	s_addc_u32 s23, s19, s23
	s_add_i32 s3, s3, 1
	global_load_b64 v[23:24], v1, s[22:23]
	s_add_i32 s39, s39, s29
	s_cmp_ge_u32 s3, s25
	s_waitcnt vmcnt(0) lgkmcnt(0)
	v_fmac_f32_e32 v4, v23, v25
	v_fmac_f32_e32 v5, v24, v25
	s_delay_alu instid0(VALU_DEP_2) | instskip(NEXT) | instid1(VALU_DEP_2)
	v_fmac_f32_e32 v4, v24, v26
	v_fma_f32 v5, v23, -v26, v5
	s_cbranch_scc1 .LBB56_67
.LBB56_65:                              ;   Parent Loop BB56_10 Depth=1
                                        ;     Parent Loop BB56_58 Depth=2
                                        ; =>    This Inner Loop Header: Depth=3
	s_and_not1_b32 vcc_lo, exec_lo, s33
	s_mov_b32 s22, s39
	s_cbranch_vccnz .LBB56_64
; %bb.66:                               ;   in Loop: Header=BB56_65 Depth=3
	s_add_i32 s22, s3, s27
	s_branch .LBB56_64
.LBB56_67:                              ;   in Loop: Header=BB56_58 Depth=2
	v_dual_mul_f32 v22, v8, v8 :: v_dual_add_nc_u32 v9, 0x2100, v9
	s_waitcnt lgkmcnt(0)
	s_delay_alu instid0(VALU_DEP_2) | instskip(NEXT) | instid1(VALU_DEP_2)
	v_dual_sub_f32 v2, v2, v4 :: v_dual_sub_f32 v3, v3, v5
	v_fmac_f32_e32 v22, v7, v7
	s_delay_alu instid0(VALU_DEP_2) | instskip(NEXT) | instid1(VALU_DEP_3)
	v_mul_f32_e32 v4, v8, v3
	v_mul_f32_e64 v8, v8, -v2
	s_delay_alu instid0(VALU_DEP_3) | instskip(SKIP_1) | instid1(VALU_DEP_3)
	v_div_scale_f32 v23, null, v22, v22, 1.0
	v_div_scale_f32 v26, vcc_lo, 1.0, v22, 1.0
	v_fmac_f32_e32 v8, v3, v7
	s_delay_alu instid0(VALU_DEP_3) | instskip(SKIP_2) | instid1(VALU_DEP_1)
	v_rcp_f32_e32 v24, v23
	s_waitcnt_depctr 0xfff
	v_fma_f32 v25, -v23, v24, 1.0
	v_fmac_f32_e32 v24, v25, v24
	s_delay_alu instid0(VALU_DEP_1) | instskip(NEXT) | instid1(VALU_DEP_1)
	v_mul_f32_e32 v25, v26, v24
	v_fma_f32 v27, -v23, v25, v26
	s_delay_alu instid0(VALU_DEP_1) | instskip(NEXT) | instid1(VALU_DEP_1)
	v_fmac_f32_e32 v25, v27, v24
	v_fma_f32 v5, -v23, v25, v26
	s_delay_alu instid0(VALU_DEP_1) | instskip(NEXT) | instid1(VALU_DEP_1)
	v_div_fmas_f32 v5, v5, v24, v25
	v_div_fixup_f32 v5, v5, v22, 1.0
	s_delay_alu instid0(VALU_DEP_1) | instskip(NEXT) | instid1(VALU_DEP_1)
	v_dual_fmac_f32 v4, v2, v7 :: v_dual_mul_f32 v3, v5, v8
	v_mul_f32_e32 v2, v5, v4
	ds_store_b64 v9, v[2:3]
	s_waitcnt lgkmcnt(0)
	s_waitcnt_vscnt null, 0x0
	buffer_gl0_inv
	s_and_saveexec_b32 s3, s0
	s_cbranch_execz .LBB56_57
; %bb.68:                               ;   in Loop: Header=BB56_58 Depth=2
	v_dual_mov_b32 v4, v20 :: v_dual_mov_b32 v5, v6
	v_mov_b32_e32 v7, v10
	s_mov_b32 s22, 0
	.p2align	6
.LBB56_69:                              ;   Parent Loop BB56_10 Depth=1
                                        ;     Parent Loop BB56_58 Depth=2
                                        ; =>    This Inner Loop Header: Depth=3
	ds_load_b64 v[8:9], v5
	ds_load_b64 v[22:23], v4
	v_add_nc_u32_e32 v5, 0x210, v5
	s_waitcnt lgkmcnt(0)
	v_fma_f32 v22, v2, v8, v22
	v_fmac_f32_e32 v23, v3, v8
	s_delay_alu instid0(VALU_DEP_2) | instskip(NEXT) | instid1(VALU_DEP_2)
	v_dual_fmac_f32 v22, v3, v9 :: v_dual_add_nc_u32 v7, 2, v7
	v_fma_f32 v23, v2, -v9, v23
	s_delay_alu instid0(VALU_DEP_2) | instskip(SKIP_3) | instid1(SALU_CYCLE_1)
	v_cmp_le_i32_e32 vcc_lo, s29, v7
	ds_store_b64 v4, v[22:23]
	v_add_nc_u32_e32 v4, 16, v4
	s_or_b32 s22, vcc_lo, s22
	s_and_not1_b32 exec_lo, exec_lo, s22
	s_cbranch_execnz .LBB56_69
	s_branch .LBB56_57
.LBB56_70:                              ;   in Loop: Header=BB56_10 Depth=1
	s_and_saveexec_b32 s3, s0
	s_cbranch_execz .LBB56_9
; %bb.71:                               ;   in Loop: Header=BB56_10 Depth=1
	v_dual_mov_b32 v4, v21 :: v_dual_mov_b32 v5, v10
	s_mov_b32 s22, 0
	s_set_inst_prefetch_distance 0x1
	s_branch .LBB56_74
	.p2align	6
.LBB56_72:                              ;   in Loop: Header=BB56_74 Depth=2
	ds_load_b64 v[6:7], v4
	v_ashrrev_i32_e32 v3, 31, v2
	s_delay_alu instid0(VALU_DEP_1) | instskip(NEXT) | instid1(VALU_DEP_1)
	v_lshlrev_b64 v[2:3], 3, v[2:3]
	v_add_co_u32 v2, vcc_lo, s18, v2
	s_delay_alu instid0(VALU_DEP_2)
	v_add_co_ci_u32_e32 v3, vcc_lo, s19, v3, vcc_lo
	s_waitcnt lgkmcnt(0)
	global_store_b64 v[2:3], v[6:7], off
.LBB56_73:                              ;   in Loop: Header=BB56_74 Depth=2
	s_or_b32 exec_lo, exec_lo, s23
	v_add_nc_u32_e32 v5, 2, v5
	v_add_nc_u32_e32 v4, 16, v4
	s_delay_alu instid0(VALU_DEP_2) | instskip(SKIP_1) | instid1(SALU_CYCLE_1)
	v_cmp_le_i32_e32 vcc_lo, s29, v5
	s_or_b32 s22, vcc_lo, s22
	s_and_not1_b32 exec_lo, exec_lo, s22
	s_cbranch_execz .LBB56_9
.LBB56_74:                              ;   Parent Loop BB56_10 Depth=1
                                        ; =>  This Inner Loop Header: Depth=2
	s_and_saveexec_b32 s23, s1
	s_cbranch_execz .LBB56_73
; %bb.75:                               ;   in Loop: Header=BB56_74 Depth=2
	s_and_b32 vcc_lo, exec_lo, s34
	s_cbranch_vccz .LBB56_77
; %bb.76:                               ;   in Loop: Header=BB56_74 Depth=2
	v_add_nc_u32_e32 v6, s21, v5
	s_delay_alu instid0(VALU_DEP_1)
	v_mad_u64_u32 v[2:3], null, v6, s29, v[0:1]
	s_cbranch_execnz .LBB56_72
	s_branch .LBB56_78
	.p2align	6
.LBB56_77:                              ;   in Loop: Header=BB56_74 Depth=2
                                        ; implicit-def: $vgpr2
.LBB56_78:                              ;   in Loop: Header=BB56_74 Depth=2
	v_add_nc_u32_e32 v2, v18, v5
	s_branch .LBB56_72
.LBB56_79:                              ;   in Loop: Header=BB56_10 Depth=1
                                        ; implicit-def: $sgpr20
                                        ; implicit-def: $vgpr18
	s_cbranch_execz .LBB56_10
.LBB56_80:
	v_cmp_gt_i32_e64 s0, s29, v10
	s_delay_alu instid0(VALU_DEP_1)
	s_and_saveexec_b32 s2, s0
	s_cbranch_execz .LBB56_93
; %bb.81:
	s_mul_i32 s3, s28, s29
	v_cmp_gt_i32_e64 s1, s29, v0
	v_dual_mov_b32 v6, v10 :: v_dual_add_nc_u32 v1, s3, v0
	v_add3_u32 v5, v11, v12, 0x2100
	s_cmp_lg_u32 s30, 0
	s_mov_b32 s4, 0
	s_delay_alu instid0(VALU_DEP_2)
	v_mul_lo_u32 v4, v1, s29
	s_cselect_b32 s5, -1, 0
	s_branch .LBB56_83
.LBB56_82:                              ;   in Loop: Header=BB56_83 Depth=1
	s_or_b32 exec_lo, exec_lo, s13
	v_add_nc_u32_e32 v6, 2, v6
	s_waitcnt vmcnt(0)
	ds_store_b64 v5, v[2:3]
	v_add_nc_u32_e32 v5, 16, v5
	v_cmp_le_i32_e32 vcc_lo, s29, v6
	s_or_b32 s4, vcc_lo, s4
	s_delay_alu instid0(SALU_CYCLE_1)
	s_and_not1_b32 exec_lo, exec_lo, s4
	s_cbranch_execz .LBB56_93
.LBB56_83:                              ; =>This Inner Loop Header: Depth=1
	s_and_b32 vcc_lo, exec_lo, s5
	s_cbranch_vccz .LBB56_88
; %bb.84:                               ;   in Loop: Header=BB56_83 Depth=1
	s_mov_b32 s13, 0
	s_mov_b32 s12, 0
                                        ; implicit-def: $vgpr1
	s_and_saveexec_b32 s14, s1
	s_delay_alu instid0(SALU_CYCLE_1)
	s_xor_b32 s14, exec_lo, s14
; %bb.85:                               ;   in Loop: Header=BB56_83 Depth=1
	v_add_nc_u32_e32 v3, s3, v6
	s_mov_b32 s12, exec_lo
	s_delay_alu instid0(VALU_DEP_1)
	v_mad_u64_u32 v[1:2], null, v3, s29, v[0:1]
; %bb.86:                               ;   in Loop: Header=BB56_83 Depth=1
	s_or_b32 exec_lo, exec_lo, s14
	s_delay_alu instid0(SALU_CYCLE_1)
	s_and_b32 vcc_lo, exec_lo, s13
	s_cbranch_vccnz .LBB56_89
.LBB56_87:                              ;   in Loop: Header=BB56_83 Depth=1
	v_dual_mov_b32 v2, s13 :: v_dual_mov_b32 v3, s13
	s_and_saveexec_b32 s13, s12
	s_cbranch_execz .LBB56_82
	s_branch .LBB56_92
.LBB56_88:                              ;   in Loop: Header=BB56_83 Depth=1
	s_mov_b32 s13, -1
	s_mov_b32 s12, 0
                                        ; implicit-def: $vgpr1
	s_cbranch_execz .LBB56_87
.LBB56_89:                              ;   in Loop: Header=BB56_83 Depth=1
                                        ; implicit-def: $vgpr1
	s_and_saveexec_b32 s13, s1
; %bb.90:                               ;   in Loop: Header=BB56_83 Depth=1
	v_add_nc_u32_e32 v1, v4, v6
	s_or_b32 s12, s12, exec_lo
; %bb.91:                               ;   in Loop: Header=BB56_83 Depth=1
	s_or_b32 exec_lo, exec_lo, s13
	s_mov_b32 s13, 0
	s_delay_alu instid0(SALU_CYCLE_1)
	v_dual_mov_b32 v2, s13 :: v_dual_mov_b32 v3, s13
	s_and_saveexec_b32 s13, s12
	s_cbranch_execz .LBB56_82
.LBB56_92:                              ;   in Loop: Header=BB56_83 Depth=1
	v_ashrrev_i32_e32 v2, 31, v1
	s_delay_alu instid0(VALU_DEP_1) | instskip(NEXT) | instid1(VALU_DEP_1)
	v_lshlrev_b64 v[1:2], 3, v[1:2]
	v_add_co_u32 v1, vcc_lo, s18, v1
	s_delay_alu instid0(VALU_DEP_2)
	v_add_co_ci_u32_e32 v2, vcc_lo, s19, v2, vcc_lo
	global_load_b64 v[2:3], v[1:2], off
	s_branch .LBB56_82
.LBB56_93:
	s_or_b32 exec_lo, exec_lo, s2
; %bb.94:
	s_cmp_lt_i32 s29, 1
	s_waitcnt lgkmcnt(0)
	buffer_gl0_inv
	s_cbranch_scc1 .LBB56_113
; %bb.95:
	v_or_b32_e32 v1, v10, v0
	v_mad_u32_u24 v2, 0x108, v0, v13
	s_movk_i32 s2, 0x2100
	v_add3_u32 v8, v11, v12, 0x4200
	v_mad_u32_u24 v7, 0x108, v10, s2
	v_cmp_ne_u32_e64 s1, 0, v1
	v_add_nc_u32_e32 v5, 0x2100, v2
	v_add_nc_u32_e32 v6, 0x4200, v2
	v_mov_b32_e32 v2, 0
	s_mov_b32 s3, 0
	s_add_i32 s4, s16, s17
	s_branch .LBB56_97
.LBB56_96:                              ;   in Loop: Header=BB56_97 Depth=1
	s_or_b32 exec_lo, exec_lo, s2
	v_add_nc_u32_e32 v7, 8, v7
	s_add_i32 s3, s3, 1
	s_waitcnt lgkmcnt(0)
	s_waitcnt_vscnt null, 0x0
	buffer_gl0_inv
	s_cmp_eq_u32 s3, s29
	s_cbranch_scc1 .LBB56_113
.LBB56_97:                              ; =>This Loop Header: Depth=1
                                        ;     Child Loop BB56_112 Depth 2
	s_mov_b32 s5, exec_lo
	v_cmpx_eq_u32_e64 s3, v0
	s_cbranch_execz .LBB56_105
; %bb.98:                               ;   in Loop: Header=BB56_97 Depth=1
	ds_load_b64 v[3:4], v5
	ds_load_b64 v[13:14], v6
	s_mov_b32 s2, exec_lo
	s_waitcnt lgkmcnt(0)
	v_sub_f32_e32 v1, v3, v13
	v_sub_f32_e32 v9, v4, v14
                                        ; implicit-def: $vgpr4
	s_delay_alu instid0(VALU_DEP_2) | instskip(SKIP_1) | instid1(VALU_DEP_3)
	v_cmp_gt_f32_e32 vcc_lo, 0, v1
	v_cndmask_b32_e64 v1, v1, -v1, vcc_lo
	v_cmp_gt_f32_e32 vcc_lo, 0, v9
	v_cndmask_b32_e64 v3, v9, -v9, vcc_lo
	s_delay_alu instid0(VALU_DEP_1)
	v_cmpx_ngt_f32_e32 v1, v3
	s_xor_b32 s12, exec_lo, s2
	s_cbranch_execz .LBB56_102
; %bb.99:                               ;   in Loop: Header=BB56_97 Depth=1
	v_mov_b32_e32 v4, 0
	s_mov_b32 s13, exec_lo
	v_cmpx_neq_f32_e32 0, v9
	s_cbranch_execz .LBB56_101
; %bb.100:                              ;   in Loop: Header=BB56_97 Depth=1
	v_div_scale_f32 v4, null, v3, v3, v1
	v_div_scale_f32 v14, vcc_lo, v1, v3, v1
	s_delay_alu instid0(VALU_DEP_2) | instskip(SKIP_2) | instid1(VALU_DEP_1)
	v_rcp_f32_e32 v9, v4
	s_waitcnt_depctr 0xfff
	v_fma_f32 v13, -v4, v9, 1.0
	v_fmac_f32_e32 v9, v13, v9
	s_delay_alu instid0(VALU_DEP_1) | instskip(NEXT) | instid1(VALU_DEP_1)
	v_mul_f32_e32 v13, v14, v9
	v_fma_f32 v15, -v4, v13, v14
	s_delay_alu instid0(VALU_DEP_1) | instskip(NEXT) | instid1(VALU_DEP_1)
	v_fmac_f32_e32 v13, v15, v9
	v_fma_f32 v4, -v4, v13, v14
	s_delay_alu instid0(VALU_DEP_1) | instskip(NEXT) | instid1(VALU_DEP_1)
	v_div_fmas_f32 v4, v4, v9, v13
	v_div_fixup_f32 v1, v4, v3, v1
	s_delay_alu instid0(VALU_DEP_1) | instskip(NEXT) | instid1(VALU_DEP_1)
	v_fma_f32 v1, v1, v1, 1.0
	v_mul_f32_e32 v4, 0x4f800000, v1
	v_cmp_gt_f32_e32 vcc_lo, 0xf800000, v1
	s_delay_alu instid0(VALU_DEP_2) | instskip(NEXT) | instid1(VALU_DEP_1)
	v_cndmask_b32_e32 v1, v1, v4, vcc_lo
	v_sqrt_f32_e32 v4, v1
	s_waitcnt_depctr 0xfff
	v_add_nc_u32_e32 v9, -1, v4
	v_add_nc_u32_e32 v13, 1, v4
	s_delay_alu instid0(VALU_DEP_2) | instskip(NEXT) | instid1(VALU_DEP_2)
	v_fma_f32 v14, -v9, v4, v1
	v_fma_f32 v15, -v13, v4, v1
	s_delay_alu instid0(VALU_DEP_2) | instskip(NEXT) | instid1(VALU_DEP_1)
	v_cmp_ge_f32_e64 s2, 0, v14
	v_cndmask_b32_e64 v4, v4, v9, s2
	s_delay_alu instid0(VALU_DEP_3) | instskip(NEXT) | instid1(VALU_DEP_1)
	v_cmp_lt_f32_e64 s2, 0, v15
	v_cndmask_b32_e64 v4, v4, v13, s2
	s_delay_alu instid0(VALU_DEP_1) | instskip(NEXT) | instid1(VALU_DEP_1)
	v_mul_f32_e32 v9, 0x37800000, v4
	v_cndmask_b32_e32 v4, v4, v9, vcc_lo
	v_cmp_class_f32_e64 vcc_lo, v1, 0x260
	s_delay_alu instid0(VALU_DEP_2) | instskip(NEXT) | instid1(VALU_DEP_1)
	v_cndmask_b32_e32 v1, v4, v1, vcc_lo
	v_mul_f32_e32 v4, v3, v1
.LBB56_101:                             ;   in Loop: Header=BB56_97 Depth=1
	s_or_b32 exec_lo, exec_lo, s13
                                        ; implicit-def: $vgpr1
                                        ; implicit-def: $vgpr3
.LBB56_102:                             ;   in Loop: Header=BB56_97 Depth=1
	s_and_not1_saveexec_b32 s12, s12
	s_cbranch_execz .LBB56_104
; %bb.103:                              ;   in Loop: Header=BB56_97 Depth=1
	v_div_scale_f32 v4, null, v1, v1, v3
	v_div_scale_f32 v14, vcc_lo, v3, v1, v3
	s_delay_alu instid0(VALU_DEP_2) | instskip(SKIP_2) | instid1(VALU_DEP_1)
	v_rcp_f32_e32 v9, v4
	s_waitcnt_depctr 0xfff
	v_fma_f32 v13, -v4, v9, 1.0
	v_fmac_f32_e32 v9, v13, v9
	s_delay_alu instid0(VALU_DEP_1) | instskip(NEXT) | instid1(VALU_DEP_1)
	v_mul_f32_e32 v13, v14, v9
	v_fma_f32 v15, -v4, v13, v14
	s_delay_alu instid0(VALU_DEP_1) | instskip(NEXT) | instid1(VALU_DEP_1)
	v_fmac_f32_e32 v13, v15, v9
	v_fma_f32 v4, -v4, v13, v14
	s_delay_alu instid0(VALU_DEP_1) | instskip(NEXT) | instid1(VALU_DEP_1)
	v_div_fmas_f32 v4, v4, v9, v13
	v_div_fixup_f32 v3, v4, v1, v3
	s_delay_alu instid0(VALU_DEP_1) | instskip(NEXT) | instid1(VALU_DEP_1)
	v_fma_f32 v3, v3, v3, 1.0
	v_mul_f32_e32 v4, 0x4f800000, v3
	v_cmp_gt_f32_e32 vcc_lo, 0xf800000, v3
	s_delay_alu instid0(VALU_DEP_2) | instskip(NEXT) | instid1(VALU_DEP_1)
	v_cndmask_b32_e32 v3, v3, v4, vcc_lo
	v_sqrt_f32_e32 v4, v3
	s_waitcnt_depctr 0xfff
	v_add_nc_u32_e32 v9, -1, v4
	v_add_nc_u32_e32 v13, 1, v4
	s_delay_alu instid0(VALU_DEP_2) | instskip(NEXT) | instid1(VALU_DEP_2)
	v_fma_f32 v14, -v9, v4, v3
	v_fma_f32 v15, -v13, v4, v3
	s_delay_alu instid0(VALU_DEP_2) | instskip(NEXT) | instid1(VALU_DEP_1)
	v_cmp_ge_f32_e64 s2, 0, v14
	v_cndmask_b32_e64 v4, v4, v9, s2
	s_delay_alu instid0(VALU_DEP_3) | instskip(NEXT) | instid1(VALU_DEP_1)
	v_cmp_lt_f32_e64 s2, 0, v15
	v_cndmask_b32_e64 v4, v4, v13, s2
	s_delay_alu instid0(VALU_DEP_1) | instskip(NEXT) | instid1(VALU_DEP_1)
	v_mul_f32_e32 v9, 0x37800000, v4
	v_cndmask_b32_e32 v4, v4, v9, vcc_lo
	v_cmp_class_f32_e64 vcc_lo, v3, 0x260
	s_delay_alu instid0(VALU_DEP_2) | instskip(NEXT) | instid1(VALU_DEP_1)
	v_cndmask_b32_e32 v3, v4, v3, vcc_lo
	v_mul_f32_e32 v4, v1, v3
.LBB56_104:                             ;   in Loop: Header=BB56_97 Depth=1
	s_or_b32 exec_lo, exec_lo, s12
	s_delay_alu instid0(VALU_DEP_1) | instskip(SKIP_1) | instid1(VALU_DEP_2)
	v_mul_f32_e32 v1, 0x4f800000, v4
	v_cmp_gt_f32_e32 vcc_lo, 0xf800000, v4
	v_cndmask_b32_e32 v1, v4, v1, vcc_lo
	s_delay_alu instid0(VALU_DEP_1) | instskip(SKIP_3) | instid1(VALU_DEP_2)
	v_sqrt_f32_e32 v3, v1
	s_waitcnt_depctr 0xfff
	v_add_nc_u32_e32 v4, -1, v3
	v_add_nc_u32_e32 v9, 1, v3
	v_fma_f32 v13, -v4, v3, v1
	s_delay_alu instid0(VALU_DEP_2) | instskip(NEXT) | instid1(VALU_DEP_2)
	v_fma_f32 v14, -v9, v3, v1
	v_cmp_ge_f32_e64 s2, 0, v13
	s_delay_alu instid0(VALU_DEP_1) | instskip(NEXT) | instid1(VALU_DEP_3)
	v_cndmask_b32_e64 v3, v3, v4, s2
	v_cmp_lt_f32_e64 s2, 0, v14
	s_delay_alu instid0(VALU_DEP_1) | instskip(NEXT) | instid1(VALU_DEP_1)
	v_cndmask_b32_e64 v3, v3, v9, s2
	v_mul_f32_e32 v4, 0x37800000, v3
	s_delay_alu instid0(VALU_DEP_1) | instskip(SKIP_1) | instid1(VALU_DEP_2)
	v_cndmask_b32_e32 v3, v3, v4, vcc_lo
	v_cmp_class_f32_e64 vcc_lo, v1, 0x260
	v_cndmask_b32_e32 v1, v3, v1, vcc_lo
	ds_store_b64 v5, v[1:2]
.LBB56_105:                             ;   in Loop: Header=BB56_97 Depth=1
	s_or_b32 exec_lo, exec_lo, s5
	s_lshl_b32 s2, s3, 3
	s_mul_i32 s5, s3, 0x108
	s_waitcnt lgkmcnt(0)
	buffer_gl0_inv
	s_add_i32 s5, s5, s2
	s_delay_alu instid0(SALU_CYCLE_1)
	v_mov_b32_e32 v1, s5
	ds_load_b64 v[14:15], v1 offset:8448
	v_mad_u32_u24 v1, 0x108, v0, s2
	ds_load_b64 v[3:4], v1 offset:8448
	s_waitcnt lgkmcnt(1)
	v_cmp_neq_f32_e32 vcc_lo, 0, v14
	v_cmp_neq_f32_e64 s2, 0, v15
	s_delay_alu instid0(VALU_DEP_1) | instskip(SKIP_3) | instid1(SALU_CYCLE_1)
	s_or_b32 vcc_lo, vcc_lo, s2
	v_cndmask_b32_e32 v13, 0, v15, vcc_lo
	v_cndmask_b32_e32 v9, 1.0, v14, vcc_lo
	s_or_b32 s2, vcc_lo, s1
	s_xor_b32 s5, s2, -1
	s_delay_alu instid0(SALU_CYCLE_1)
	s_and_saveexec_b32 s2, s5
	s_cbranch_execz .LBB56_109
; %bb.106:                              ;   in Loop: Header=BB56_97 Depth=1
	v_mbcnt_lo_u32_b32 v9, exec_lo, 0
	s_mov_b32 s5, exec_lo
	s_delay_alu instid0(VALU_DEP_1)
	v_cmpx_eq_u32_e32 0, v9
	s_cbranch_execz .LBB56_108
; %bb.107:                              ;   in Loop: Header=BB56_97 Depth=1
	v_mov_b32_e32 v9, s4
	global_atomic_min_i32 v2, v9, s[10:11]
.LBB56_108:                             ;   in Loop: Header=BB56_97 Depth=1
	s_or_b32 exec_lo, exec_lo, s5
	v_mov_b32_e32 v13, 0
	v_mov_b32_e32 v9, 1.0
.LBB56_109:                             ;   in Loop: Header=BB56_97 Depth=1
	s_or_b32 exec_lo, exec_lo, s2
	s_delay_alu instid0(SALU_CYCLE_1)
	s_mov_b32 s2, exec_lo
	v_cmpx_lt_u32_e64 s3, v0
	s_cbranch_execz .LBB56_96
; %bb.110:                              ;   in Loop: Header=BB56_97 Depth=1
	v_lshl_add_u32 v14, s3, 3, v11
	v_mul_f32_e32 v16, v13, v13
	v_add_nc_u32_e32 v1, 0x2100, v1
	ds_load_b64 v[14:15], v14 offset:16896
	s_waitcnt lgkmcnt(0)
	v_dual_fmac_f32 v16, v9, v9 :: v_dual_sub_f32 v3, v3, v14
	s_delay_alu instid0(VALU_DEP_1) | instskip(SKIP_2) | instid1(VALU_DEP_3)
	v_div_scale_f32 v17, null, v16, v16, 1.0
	v_sub_f32_e32 v4, v4, v15
	v_div_scale_f32 v20, vcc_lo, 1.0, v16, 1.0
	v_rcp_f32_e32 v18, v17
	s_delay_alu instid0(VALU_DEP_2) | instskip(SKIP_1) | instid1(VALU_DEP_2)
	v_mul_f32_e32 v14, v13, v4
	v_mul_f32_e64 v13, v13, -v3
	v_fmac_f32_e32 v14, v3, v9
	s_delay_alu instid0(VALU_DEP_2) | instskip(SKIP_2) | instid1(VALU_DEP_1)
	v_fmac_f32_e32 v13, v4, v9
	s_waitcnt_depctr 0xfff
	v_fma_f32 v19, -v17, v18, 1.0
	v_fmac_f32_e32 v18, v19, v18
	s_delay_alu instid0(VALU_DEP_1) | instskip(NEXT) | instid1(VALU_DEP_1)
	v_mul_f32_e32 v19, v20, v18
	v_fma_f32 v21, -v17, v19, v20
	s_delay_alu instid0(VALU_DEP_1) | instskip(NEXT) | instid1(VALU_DEP_1)
	v_fmac_f32_e32 v19, v21, v18
	v_fma_f32 v15, -v17, v19, v20
	s_delay_alu instid0(VALU_DEP_1) | instskip(NEXT) | instid1(VALU_DEP_1)
	v_div_fmas_f32 v15, v15, v18, v19
	v_div_fixup_f32 v15, v15, v16, 1.0
	s_delay_alu instid0(VALU_DEP_1)
	v_mul_f32_e32 v3, v15, v14
	v_mul_f32_e32 v4, v15, v13
	ds_store_b64 v1, v[3:4]
	s_waitcnt lgkmcnt(0)
	s_waitcnt_vscnt null, 0x0
	buffer_gl0_inv
	s_and_b32 exec_lo, exec_lo, s0
	s_cbranch_execz .LBB56_96
; %bb.111:                              ;   in Loop: Header=BB56_97 Depth=1
	v_mov_b32_e32 v1, v8
	v_mov_b32_e32 v9, v7
	;; [unrolled: 1-line block ×3, first 2 shown]
	s_mov_b32 s5, 0
	.p2align	6
.LBB56_112:                             ;   Parent Loop BB56_97 Depth=1
                                        ; =>  This Inner Loop Header: Depth=2
	ds_load_b64 v[14:15], v9
	ds_load_b64 v[16:17], v1
	v_add_nc_u32_e32 v9, 0x210, v9
	s_waitcnt lgkmcnt(0)
	v_fma_f32 v16, v3, v14, v16
	v_fmac_f32_e32 v17, v4, v14
	s_delay_alu instid0(VALU_DEP_2) | instskip(NEXT) | instid1(VALU_DEP_2)
	v_dual_fmac_f32 v16, v4, v15 :: v_dual_add_nc_u32 v13, 2, v13
	v_fma_f32 v17, v3, -v15, v17
	s_delay_alu instid0(VALU_DEP_2) | instskip(SKIP_3) | instid1(SALU_CYCLE_1)
	v_cmp_le_i32_e32 vcc_lo, s29, v13
	ds_store_b64 v1, v[16:17]
	v_add_nc_u32_e32 v1, 16, v1
	s_or_b32 s5, vcc_lo, s5
	s_and_not1_b32 exec_lo, exec_lo, s5
	s_cbranch_execnz .LBB56_112
	s_branch .LBB56_96
.LBB56_113:
	s_and_saveexec_b32 s1, s0
	s_cbranch_execz .LBB56_122
; %bb.114:
	s_mul_i32 s28, s28, s29
	v_cmp_gt_i32_e64 s0, s29, v0
	v_add_nc_u32_e32 v1, s28, v0
	v_add3_u32 v4, v11, v12, 0x2100
	v_mov_b32_e32 v5, v10
	s_cmp_lg_u32 s30, 0
	s_mov_b32 s2, 0
	v_mul_lo_u32 v3, v1, s29
	s_cselect_b32 s3, -1, 0
	s_set_inst_prefetch_distance 0x1
	s_branch .LBB56_117
	.p2align	6
.LBB56_115:                             ;   in Loop: Header=BB56_117 Depth=1
	ds_load_b64 v[6:7], v4
	v_ashrrev_i32_e32 v2, 31, v1
	s_delay_alu instid0(VALU_DEP_1) | instskip(NEXT) | instid1(VALU_DEP_1)
	v_lshlrev_b64 v[1:2], 3, v[1:2]
	v_add_co_u32 v1, vcc_lo, s18, v1
	s_delay_alu instid0(VALU_DEP_2)
	v_add_co_ci_u32_e32 v2, vcc_lo, s19, v2, vcc_lo
	s_waitcnt lgkmcnt(0)
	global_store_b64 v[1:2], v[6:7], off
.LBB56_116:                             ;   in Loop: Header=BB56_117 Depth=1
	s_or_b32 exec_lo, exec_lo, s4
	v_add_nc_u32_e32 v5, 2, v5
	v_add_nc_u32_e32 v4, 16, v4
	s_delay_alu instid0(VALU_DEP_2) | instskip(SKIP_1) | instid1(SALU_CYCLE_1)
	v_cmp_le_i32_e32 vcc_lo, s29, v5
	s_or_b32 s2, vcc_lo, s2
	s_and_not1_b32 exec_lo, exec_lo, s2
	s_cbranch_execz .LBB56_122
.LBB56_117:                             ; =>This Inner Loop Header: Depth=1
	s_and_saveexec_b32 s4, s0
	s_cbranch_execz .LBB56_116
; %bb.118:                              ;   in Loop: Header=BB56_117 Depth=1
	s_and_b32 vcc_lo, exec_lo, s3
	s_cbranch_vccz .LBB56_120
; %bb.119:                              ;   in Loop: Header=BB56_117 Depth=1
	v_add_nc_u32_e32 v6, s28, v5
	s_delay_alu instid0(VALU_DEP_1)
	v_mad_u64_u32 v[1:2], null, v6, s29, v[0:1]
	s_cbranch_execnz .LBB56_115
	s_branch .LBB56_121
.LBB56_120:                             ;   in Loop: Header=BB56_117 Depth=1
                                        ; implicit-def: $vgpr1
.LBB56_121:                             ;   in Loop: Header=BB56_117 Depth=1
	v_add_nc_u32_e32 v1, v3, v5
	s_branch .LBB56_115
.LBB56_122:
	s_set_inst_prefetch_distance 0x2
	s_or_b32 exec_lo, exec_lo, s1
	v_or_b32_e32 v1, v10, v0
	s_delay_alu instid0(VALU_DEP_1)
	v_cmp_eq_u32_e64 s3, 0, v1
.LBB56_123:
	s_delay_alu instid0(VALU_DEP_1)
	s_and_saveexec_b32 s0, s3
	s_cbranch_execnz .LBB56_131
.LBB56_124:
	s_nop 0
	s_sendmsg sendmsg(MSG_DEALLOC_VGPRS)
	s_endpgm
.LBB56_125:
	s_cbranch_execz .LBB56_123
; %bb.126:
	v_or_b32_e32 v0, v10, v0
	s_mov_b32 s0, exec_lo
	s_delay_alu instid0(VALU_DEP_1)
	v_cmpx_eq_u32_e32 0, v0
	s_cbranch_execz .LBB56_130
; %bb.127:
	v_mbcnt_lo_u32_b32 v0, exec_lo, 0
	s_mov_b32 s1, exec_lo
	s_delay_alu instid0(VALU_DEP_1)
	v_cmpx_eq_u32_e32 0, v0
	s_cbranch_execz .LBB56_129
; %bb.128:
	s_add_i32 s2, s16, s17
	s_delay_alu instid0(SALU_CYCLE_1)
	v_dual_mov_b32 v0, 0 :: v_dual_mov_b32 v1, s2
	global_atomic_min_i32 v0, v1, s[10:11]
.LBB56_129:
	s_or_b32 exec_lo, exec_lo, s1
	s_delay_alu instid0(SALU_CYCLE_1)
	s_or_b32 s3, s3, exec_lo
.LBB56_130:
	s_or_b32 exec_lo, exec_lo, s0
	s_and_saveexec_b32 s0, s3
	s_cbranch_execz .LBB56_124
.LBB56_131:
	v_dual_mov_b32 v0, 0 :: v_dual_mov_b32 v1, 1
	s_add_u32 s0, s6, s8
	s_addc_u32 s1, s7, s9
	s_waitcnt_vscnt null, 0x0
	global_store_b32 v0, v1, s[0:1]
	s_nop 0
	s_sendmsg sendmsg(MSG_DEALLOC_VGPRS)
	s_endpgm
	.section	.rodata,"a",@progbits
	.p2align	6, 0x0
	.amdhsa_kernel _ZN9rocsparseL19bsric0_17_32_kernelILi64ELi128ELi32E21rocsparse_complex_numIfEEEv20rocsparse_direction_iiPKiS5_PT2_S5_PiS5_S8_21rocsparse_index_base_
		.amdhsa_group_segment_fixed_size 26880
		.amdhsa_private_segment_fixed_size 0
		.amdhsa_kernarg_size 76
		.amdhsa_user_sgpr_count 15
		.amdhsa_user_sgpr_dispatch_ptr 0
		.amdhsa_user_sgpr_queue_ptr 0
		.amdhsa_user_sgpr_kernarg_segment_ptr 1
		.amdhsa_user_sgpr_dispatch_id 0
		.amdhsa_user_sgpr_private_segment_size 0
		.amdhsa_wavefront_size32 1
		.amdhsa_uses_dynamic_stack 0
		.amdhsa_enable_private_segment 0
		.amdhsa_system_sgpr_workgroup_id_x 1
		.amdhsa_system_sgpr_workgroup_id_y 0
		.amdhsa_system_sgpr_workgroup_id_z 0
		.amdhsa_system_sgpr_workgroup_info 0
		.amdhsa_system_vgpr_workitem_id 1
		.amdhsa_next_free_vgpr 29
		.amdhsa_next_free_sgpr 45
		.amdhsa_reserve_vcc 1
		.amdhsa_float_round_mode_32 0
		.amdhsa_float_round_mode_16_64 0
		.amdhsa_float_denorm_mode_32 3
		.amdhsa_float_denorm_mode_16_64 3
		.amdhsa_dx10_clamp 1
		.amdhsa_ieee_mode 1
		.amdhsa_fp16_overflow 0
		.amdhsa_workgroup_processor_mode 1
		.amdhsa_memory_ordered 1
		.amdhsa_forward_progress 0
		.amdhsa_shared_vgpr_count 0
		.amdhsa_exception_fp_ieee_invalid_op 0
		.amdhsa_exception_fp_denorm_src 0
		.amdhsa_exception_fp_ieee_div_zero 0
		.amdhsa_exception_fp_ieee_overflow 0
		.amdhsa_exception_fp_ieee_underflow 0
		.amdhsa_exception_fp_ieee_inexact 0
		.amdhsa_exception_int_div_zero 0
	.end_amdhsa_kernel
	.section	.text._ZN9rocsparseL19bsric0_17_32_kernelILi64ELi128ELi32E21rocsparse_complex_numIfEEEv20rocsparse_direction_iiPKiS5_PT2_S5_PiS5_S8_21rocsparse_index_base_,"axG",@progbits,_ZN9rocsparseL19bsric0_17_32_kernelILi64ELi128ELi32E21rocsparse_complex_numIfEEEv20rocsparse_direction_iiPKiS5_PT2_S5_PiS5_S8_21rocsparse_index_base_,comdat
.Lfunc_end56:
	.size	_ZN9rocsparseL19bsric0_17_32_kernelILi64ELi128ELi32E21rocsparse_complex_numIfEEEv20rocsparse_direction_iiPKiS5_PT2_S5_PiS5_S8_21rocsparse_index_base_, .Lfunc_end56-_ZN9rocsparseL19bsric0_17_32_kernelILi64ELi128ELi32E21rocsparse_complex_numIfEEEv20rocsparse_direction_iiPKiS5_PT2_S5_PiS5_S8_21rocsparse_index_base_
                                        ; -- End function
	.section	.AMDGPU.csdata,"",@progbits
; Kernel info:
; codeLenInByte = 4844
; NumSgprs: 47
; NumVgprs: 29
; ScratchSize: 0
; MemoryBound: 0
; FloatMode: 240
; IeeeMode: 1
; LDSByteSize: 26880 bytes/workgroup (compile time only)
; SGPRBlocks: 5
; VGPRBlocks: 3
; NumSGPRsForWavesPerEU: 47
; NumVGPRsForWavesPerEU: 29
; Occupancy: 2
; WaveLimiterHint : 1
; COMPUTE_PGM_RSRC2:SCRATCH_EN: 0
; COMPUTE_PGM_RSRC2:USER_SGPR: 15
; COMPUTE_PGM_RSRC2:TRAP_HANDLER: 0
; COMPUTE_PGM_RSRC2:TGID_X_EN: 1
; COMPUTE_PGM_RSRC2:TGID_Y_EN: 0
; COMPUTE_PGM_RSRC2:TGID_Z_EN: 0
; COMPUTE_PGM_RSRC2:TIDIG_COMP_CNT: 1
	.section	.text._ZN9rocsparseL23bsric0_binsearch_kernelILj32ELj32ELb0E21rocsparse_complex_numIdEEEv20rocsparse_direction_iiPKiS5_PT2_S5_PiS5_S8_21rocsparse_index_base_,"axG",@progbits,_ZN9rocsparseL23bsric0_binsearch_kernelILj32ELj32ELb0E21rocsparse_complex_numIdEEEv20rocsparse_direction_iiPKiS5_PT2_S5_PiS5_S8_21rocsparse_index_base_,comdat
	.globl	_ZN9rocsparseL23bsric0_binsearch_kernelILj32ELj32ELb0E21rocsparse_complex_numIdEEEv20rocsparse_direction_iiPKiS5_PT2_S5_PiS5_S8_21rocsparse_index_base_ ; -- Begin function _ZN9rocsparseL23bsric0_binsearch_kernelILj32ELj32ELb0E21rocsparse_complex_numIdEEEv20rocsparse_direction_iiPKiS5_PT2_S5_PiS5_S8_21rocsparse_index_base_
	.p2align	8
	.type	_ZN9rocsparseL23bsric0_binsearch_kernelILj32ELj32ELb0E21rocsparse_complex_numIdEEEv20rocsparse_direction_iiPKiS5_PT2_S5_PiS5_S8_21rocsparse_index_base_,@function
_ZN9rocsparseL23bsric0_binsearch_kernelILj32ELj32ELb0E21rocsparse_complex_numIdEEEv20rocsparse_direction_iiPKiS5_PT2_S5_PiS5_S8_21rocsparse_index_base_: ; @_ZN9rocsparseL23bsric0_binsearch_kernelILj32ELj32ELb0E21rocsparse_complex_numIdEEEv20rocsparse_direction_iiPKiS5_PT2_S5_PiS5_S8_21rocsparse_index_base_
; %bb.0:
	s_mov_b32 s2, s15
	s_load_b256 s[8:15], s[0:1], 0x28
	s_ashr_i32 s3, s2, 31
	s_delay_alu instid0(SALU_CYCLE_1)
	s_lshl_b64 s[2:3], s[2:3], 2
	s_waitcnt lgkmcnt(0)
	s_add_u32 s2, s12, s2
	s_addc_u32 s3, s13, s3
	s_load_b32 s12, s[2:3], 0x0
	s_waitcnt lgkmcnt(0)
	s_ashr_i32 s13, s12, 31
	s_delay_alu instid0(SALU_CYCLE_1) | instskip(SKIP_1) | instid1(SALU_CYCLE_1)
	v_dual_mov_b32 v1, s12 :: v_dual_mov_b32 v2, s13
	s_lshl_b64 s[2:3], s[12:13], 2
	s_add_u32 s2, s8, s2
	s_addc_u32 s3, s9, s3
	s_load_b32 s25, s[2:3], 0x0
	s_load_b32 s23, s[0:1], 0x48
	s_mov_b32 s2, 0
	s_waitcnt lgkmcnt(0)
	s_cmp_lg_u32 s25, -1
	s_cselect_b32 s3, -1, 0
	s_delay_alu instid0(SALU_CYCLE_1) | instskip(NEXT) | instid1(SALU_CYCLE_1)
	s_and_saveexec_b32 s4, s3
	s_xor_b32 s24, exec_lo, s4
	s_cbranch_execnz .LBB57_4
; %bb.1:
	s_and_not1_saveexec_b32 s0, s24
	s_cbranch_execnz .LBB57_77
.LBB57_2:
	s_or_b32 exec_lo, exec_lo, s0
	s_and_saveexec_b32 s0, s2
	s_cbranch_execnz .LBB57_84
.LBB57_3:
	s_nop 0
	s_sendmsg sendmsg(MSG_DEALLOC_VGPRS)
	s_endpgm
.LBB57_4:
	s_load_b32 s26, s[0:1], 0x8
	s_mov_b32 s27, exec_lo
	s_waitcnt lgkmcnt(0)
	v_cmpx_gt_i32_e64 s26, v0
	s_cbranch_execz .LBB57_76
; %bb.5:
	s_clause 0x1
	s_load_b128 s[16:19], s[0:1], 0x10
	s_load_b32 s5, s[0:1], 0x0
	v_lshlrev_b64 v[2:3], 2, s[12:13]
	s_load_b64 s[20:21], s[0:1], 0x20
	s_mul_i32 s28, s26, s26
	v_add_nc_u32_e32 v33, s23, v1
	v_mul_lo_u32 v35, s25, s28
	v_cmp_ne_u32_e64 s0, 0, v0
	s_mov_b32 s29, 0
	v_mov_b32_e32 v37, v0
	s_waitcnt lgkmcnt(0)
	v_add_co_u32 v2, vcc_lo, s16, v2
	v_add_co_ci_u32_e32 v3, vcc_lo, s17, v3, vcc_lo
	s_cmp_eq_u32 s5, 0
	s_cselect_b32 s1, -1, 0
	global_load_b64 v[2:3], v[2:3], off
	s_cmp_lg_u32 s5, 0
	s_cselect_b32 s30, -1, 0
	s_waitcnt vmcnt(0)
	v_subrev_nc_u32_e32 v31, s23, v2
	v_xad_u32 v32, s23, -1, v3
	v_mov_b32_e32 v3, 0
	s_delay_alu instid0(VALU_DEP_3) | instskip(NEXT) | instid1(VALU_DEP_3)
	v_mul_lo_u32 v34, s28, v31
	v_add_nc_u32_e32 v2, v32, v31
	v_cmp_gt_i32_e64 s2, s25, v31
	v_cmp_le_i32_e64 s3, s25, v31
	v_cmp_lt_i32_e64 s4, v31, v32
	s_delay_alu instid0(VALU_DEP_4) | instskip(SKIP_1) | instid1(VALU_DEP_2)
	v_ashrrev_i32_e32 v8, 1, v2
	v_add_nc_u32_e32 v36, v34, v0
	v_ashrrev_i32_e32 v9, 31, v8
	s_delay_alu instid0(VALU_DEP_1) | instskip(NEXT) | instid1(VALU_DEP_1)
	v_lshlrev_b64 v[1:2], 2, v[8:9]
	v_add_co_u32 v9, vcc_lo, s18, v1
	s_delay_alu instid0(VALU_DEP_2)
	v_add_co_ci_u32_e32 v10, vcc_lo, s19, v2, vcc_lo
	s_branch .LBB57_7
.LBB57_6:                               ;   in Loop: Header=BB57_7 Depth=1
	v_add_nc_u32_e32 v37, 32, v37
	v_add_nc_u32_e32 v36, 32, v36
	s_delay_alu instid0(VALU_DEP_2) | instskip(SKIP_1) | instid1(SALU_CYCLE_1)
	v_cmp_le_i32_e32 vcc_lo, s26, v37
	s_or_b32 s29, vcc_lo, s29
	s_and_not1_b32 exec_lo, exec_lo, s29
	s_cbranch_execz .LBB57_76
.LBB57_7:                               ; =>This Loop Header: Depth=1
                                        ;     Child Loop BB57_13 Depth 2
                                        ;       Child Loop BB57_16 Depth 3
                                        ;       Child Loop BB57_20 Depth 3
                                        ;         Child Loop BB57_22 Depth 4
                                        ;         Child Loop BB57_29 Depth 4
                                        ;           Child Loop BB57_31 Depth 5
                                        ;           Child Loop BB57_37 Depth 5
                                        ;     Child Loop BB57_44 Depth 2
                                        ;       Child Loop BB57_54 Depth 3
                                        ;       Child Loop BB57_62 Depth 3
                                        ;         Child Loop BB57_64 Depth 4
                                        ;       Child Loop BB57_72 Depth 3
	v_mul_lo_u32 v38, v37, s26
                                        ; implicit-def: $sgpr6_sgpr7
	s_and_saveexec_b32 s5, s3
	s_delay_alu instid0(SALU_CYCLE_1)
	s_xor_b32 s5, exec_lo, s5
; %bb.8:                                ;   in Loop: Header=BB57_7 Depth=1
	v_mul_lo_u32 v38, v37, s26
	s_mov_b64 s[6:7], 0
; %bb.9:                                ;   in Loop: Header=BB57_7 Depth=1
	s_or_saveexec_b32 s31, s5
	v_dual_mov_b32 v12, s7 :: v_dual_mov_b32 v11, s6
	v_dual_mov_b32 v14, s7 :: v_dual_mov_b32 v13, s6
	s_xor_b32 exec_lo, exec_lo, s31
	s_cbranch_execz .LBB57_41
; %bb.10:                               ;   in Loop: Header=BB57_7 Depth=1
	v_mov_b32_e32 v11, 0
	v_dual_mov_b32 v12, 0 :: v_dual_mov_b32 v1, v31
	s_mov_b32 s7, 0
                                        ; implicit-def: $sgpr33
	s_delay_alu instid0(VALU_DEP_1)
	v_dual_mov_b32 v14, v12 :: v_dual_mov_b32 v13, v11
	s_branch .LBB57_13
.LBB57_11:                              ;   in Loop: Header=BB57_13 Depth=2
	v_add_nc_u32_e32 v1, 1, v1
	s_and_not1_b32 s5, s33, exec_lo
	s_delay_alu instid0(VALU_DEP_1) | instskip(SKIP_1) | instid1(SALU_CYCLE_1)
	v_cmp_le_i32_e32 vcc_lo, s25, v1
	s_and_b32 s6, vcc_lo, exec_lo
	s_or_b32 s33, s5, s6
.LBB57_12:                              ;   in Loop: Header=BB57_13 Depth=2
	s_or_b32 exec_lo, exec_lo, s34
	s_delay_alu instid0(SALU_CYCLE_1) | instskip(NEXT) | instid1(SALU_CYCLE_1)
	s_and_b32 s5, exec_lo, s33
	s_or_b32 s7, s5, s7
	s_delay_alu instid0(SALU_CYCLE_1)
	s_and_not1_b32 exec_lo, exec_lo, s7
	s_cbranch_execz .LBB57_40
.LBB57_13:                              ;   Parent Loop BB57_7 Depth=1
                                        ; =>  This Loop Header: Depth=2
                                        ;       Child Loop BB57_16 Depth 3
                                        ;       Child Loop BB57_20 Depth 3
                                        ;         Child Loop BB57_22 Depth 4
                                        ;         Child Loop BB57_29 Depth 4
                                        ;           Child Loop BB57_31 Depth 5
                                        ;           Child Loop BB57_37 Depth 5
	s_delay_alu instid0(VALU_DEP_2) | instskip(SKIP_2) | instid1(VALU_DEP_1)
	v_ashrrev_i32_e32 v2, 31, v1
	s_or_b32 s33, s33, exec_lo
	s_mov_b32 s34, exec_lo
	v_lshlrev_b64 v[4:5], 2, v[1:2]
	s_delay_alu instid0(VALU_DEP_1) | instskip(NEXT) | instid1(VALU_DEP_2)
	v_add_co_u32 v4, vcc_lo, s18, v4
	v_add_co_ci_u32_e32 v5, vcc_lo, s19, v5, vcc_lo
	global_load_b32 v2, v[4:5], off
	s_waitcnt vmcnt(0)
	v_subrev_nc_u32_e32 v4, s23, v2
	s_delay_alu instid0(VALU_DEP_1) | instskip(NEXT) | instid1(VALU_DEP_1)
	v_ashrrev_i32_e32 v5, 31, v4
	v_lshlrev_b64 v[5:6], 2, v[4:5]
	s_delay_alu instid0(VALU_DEP_1) | instskip(NEXT) | instid1(VALU_DEP_2)
	v_add_co_u32 v15, vcc_lo, s8, v5
	v_add_co_ci_u32_e32 v16, vcc_lo, s9, v6, vcc_lo
	global_load_b32 v39, v[15:16], off
	s_waitcnt vmcnt(0)
	v_cmpx_ne_u32_e32 -1, v39
	s_cbranch_execz .LBB57_12
; %bb.14:                               ;   in Loop: Header=BB57_13 Depth=2
	v_add_co_u32 v15, vcc_lo, s16, v5
	v_add_co_ci_u32_e32 v16, vcc_lo, s17, v6, vcc_lo
	v_add_co_u32 v5, vcc_lo, s10, v5
	v_add_co_ci_u32_e32 v6, vcc_lo, s11, v6, vcc_lo
	s_mov_b32 s5, exec_lo
	global_load_b32 v7, v[15:16], off
	global_load_b32 v15, v[5:6], off glc
	s_waitcnt vmcnt(0)
	v_cmpx_eq_u32_e32 0, v15
	s_cbranch_execz .LBB57_17
; %bb.15:                               ;   in Loop: Header=BB57_13 Depth=2
	s_mov_b32 s6, 0
.LBB57_16:                              ;   Parent Loop BB57_7 Depth=1
                                        ;     Parent Loop BB57_13 Depth=2
                                        ; =>    This Inner Loop Header: Depth=3
	global_load_b32 v15, v[5:6], off glc
	s_waitcnt vmcnt(0)
	v_cmp_ne_u32_e32 vcc_lo, 0, v15
	s_or_b32 s6, vcc_lo, s6
	s_delay_alu instid0(SALU_CYCLE_1)
	s_and_not1_b32 exec_lo, exec_lo, s6
	s_cbranch_execnz .LBB57_16
.LBB57_17:                              ;   in Loop: Header=BB57_13 Depth=2
	s_or_b32 exec_lo, exec_lo, s5
	v_mul_lo_u32 v5, v1, s28
	v_subrev_nc_u32_e32 v40, s23, v7
	v_mul_lo_u32 v41, v4, s26
	v_mul_lo_u32 v42, v39, s28
	s_mov_b32 s35, 0
	buffer_gl1_inv
	buffer_gl0_inv
	v_mul_lo_u32 v43, s28, v40
	v_cmp_le_i32_e64 s5, v40, v39
	v_add_nc_u32_e32 v44, v5, v37
	v_add_nc_u32_e32 v45, v5, v38
	s_branch .LBB57_20
.LBB57_18:                              ;   in Loop: Header=BB57_20 Depth=3
	s_or_b32 exec_lo, exec_lo, s36
.LBB57_19:                              ;   in Loop: Header=BB57_20 Depth=3
	s_delay_alu instid0(SALU_CYCLE_1)
	s_or_b32 exec_lo, exec_lo, s6
	v_mul_f64 v[25:26], v[17:18], v[17:18]
	s_waitcnt vmcnt(0)
	v_add_f64 v[6:7], v[6:7], -v[21:22]
	v_add_f64 v[4:5], v[4:5], -v[23:24]
	v_add_nc_u32_e32 v43, 1, v43
	s_add_i32 s35, s35, 1
	s_delay_alu instid0(SALU_CYCLE_1) | instskip(NEXT) | instid1(VALU_DEP_4)
	s_cmp_eq_u32 s35, s26
	v_fma_f64 v[25:26], v[15:16], v[15:16], v[25:26]
	s_delay_alu instid0(VALU_DEP_4) | instskip(NEXT) | instid1(VALU_DEP_4)
	v_mul_f64 v[23:24], v[17:18], v[6:7]
	v_mul_f64 v[17:18], v[17:18], -v[4:5]
	s_delay_alu instid0(VALU_DEP_3) | instskip(SKIP_1) | instid1(VALU_DEP_4)
	v_div_scale_f64 v[27:28], null, v[25:26], v[25:26], 1.0
	v_div_scale_f64 v[48:49], vcc_lo, 1.0, v[25:26], 1.0
	v_fma_f64 v[4:5], v[4:5], v[15:16], v[23:24]
	s_delay_alu instid0(VALU_DEP_4) | instskip(NEXT) | instid1(VALU_DEP_4)
	v_fma_f64 v[6:7], v[6:7], v[15:16], v[17:18]
	v_rcp_f64_e32 v[29:30], v[27:28]
	s_waitcnt_depctr 0xfff
	v_fma_f64 v[46:47], -v[27:28], v[29:30], 1.0
	s_delay_alu instid0(VALU_DEP_1) | instskip(NEXT) | instid1(VALU_DEP_1)
	v_fma_f64 v[29:30], v[29:30], v[46:47], v[29:30]
	v_fma_f64 v[46:47], -v[27:28], v[29:30], 1.0
	s_delay_alu instid0(VALU_DEP_1) | instskip(NEXT) | instid1(VALU_DEP_1)
	v_fma_f64 v[29:30], v[29:30], v[46:47], v[29:30]
	v_mul_f64 v[46:47], v[48:49], v[29:30]
	s_delay_alu instid0(VALU_DEP_1) | instskip(NEXT) | instid1(VALU_DEP_1)
	v_fma_f64 v[21:22], -v[27:28], v[46:47], v[48:49]
	v_div_fmas_f64 v[21:22], v[21:22], v[29:30], v[46:47]
	s_delay_alu instid0(VALU_DEP_1) | instskip(NEXT) | instid1(VALU_DEP_1)
	v_div_fixup_f64 v[21:22], v[21:22], v[25:26], 1.0
	v_mul_f64 v[4:5], v[21:22], v[4:5]
	v_mul_f64 v[6:7], v[21:22], v[6:7]
	s_delay_alu instid0(VALU_DEP_2) | instskip(NEXT) | instid1(VALU_DEP_2)
	v_fma_f64 v[13:14], v[4:5], v[4:5], v[13:14]
	v_fma_f64 v[11:12], v[6:7], v[4:5], v[11:12]
	global_store_b128 v[19:20], v[4:7], off
	v_fma_f64 v[13:14], v[6:7], v[6:7], v[13:14]
	v_fma_f64 v[11:12], v[4:5], -v[6:7], v[11:12]
	s_cbranch_scc1 .LBB57_11
.LBB57_20:                              ;   Parent Loop BB57_7 Depth=1
                                        ;     Parent Loop BB57_13 Depth=2
                                        ; =>    This Loop Header: Depth=3
                                        ;         Child Loop BB57_22 Depth 4
                                        ;         Child Loop BB57_29 Depth 4
                                        ;           Child Loop BB57_31 Depth 5
                                        ;           Child Loop BB57_37 Depth 5
	s_mul_i32 s22, s35, s26
	s_delay_alu instid0(SALU_CYCLE_1) | instskip(NEXT) | instid1(VALU_DEP_1)
	v_add3_u32 v4, s22, s35, v42
	v_ashrrev_i32_e32 v5, 31, v4
	s_delay_alu instid0(VALU_DEP_1) | instskip(NEXT) | instid1(VALU_DEP_1)
	v_lshlrev_b64 v[4:5], 4, v[4:5]
	v_add_co_u32 v4, vcc_lo, s20, v4
	s_delay_alu instid0(VALU_DEP_2) | instskip(SKIP_4) | instid1(VALU_DEP_1)
	v_add_co_ci_u32_e32 v5, vcc_lo, s21, v5, vcc_lo
	global_load_b128 v[4:7], v[4:5], off
	s_waitcnt vmcnt(0)
	v_cmp_neq_f64_e32 vcc_lo, 0, v[4:5]
	v_cmp_neq_f64_e64 s6, 0, v[6:7]
	s_or_b32 vcc_lo, vcc_lo, s6
	v_cndmask_b32_e32 v16, 0x3ff00000, v5, vcc_lo
	v_dual_cndmask_b32 v15, 0, v4 :: v_dual_cndmask_b32 v18, 0, v7
	v_cndmask_b32_e32 v17, 0, v6, vcc_lo
	s_or_b32 s6, vcc_lo, s0
	s_delay_alu instid0(SALU_CYCLE_1) | instskip(NEXT) | instid1(SALU_CYCLE_1)
	s_xor_b32 s36, s6, -1
	s_and_saveexec_b32 s6, s36
	s_cbranch_execz .LBB57_26
; %bb.21:                               ;   in Loop: Header=BB57_20 Depth=3
	s_mov_b32 s37, exec_lo
	s_brev_b32 s36, -2
.LBB57_22:                              ;   Parent Loop BB57_7 Depth=1
                                        ;     Parent Loop BB57_13 Depth=2
                                        ;       Parent Loop BB57_20 Depth=3
                                        ; =>      This Inner Loop Header: Depth=4
	s_ctz_i32_b32 s38, s37
	s_delay_alu instid0(SALU_CYCLE_1) | instskip(SKIP_1) | instid1(SALU_CYCLE_1)
	v_readlane_b32 s39, v2, s38
	s_lshl_b32 s38, 1, s38
	s_and_not1_b32 s37, s37, s38
	s_delay_alu instid0(VALU_DEP_1)
	s_min_i32 s36, s36, s39
	s_cmp_lg_u32 s37, 0
	s_cbranch_scc1 .LBB57_22
; %bb.23:                               ;   in Loop: Header=BB57_20 Depth=3
	v_mbcnt_lo_u32_b32 v4, exec_lo, 0
	s_mov_b32 s37, exec_lo
	s_delay_alu instid0(VALU_DEP_1)
	v_cmpx_eq_u32_e32 0, v4
	s_xor_b32 s37, exec_lo, s37
	s_cbranch_execz .LBB57_25
; %bb.24:                               ;   in Loop: Header=BB57_20 Depth=3
	v_mov_b32_e32 v4, s36
	global_atomic_min_i32 v3, v4, s[14:15]
.LBB57_25:                              ;   in Loop: Header=BB57_20 Depth=3
	s_or_b32 exec_lo, exec_lo, s37
	v_mov_b32_e32 v17, 0
	v_dual_mov_b32 v18, 0 :: v_dual_mov_b32 v15, 0
	v_mov_b32_e32 v16, 0x3ff00000
.LBB57_26:                              ;   in Loop: Header=BB57_20 Depth=3
	s_or_b32 exec_lo, exec_lo, s6
	v_dual_mov_b32 v21, 0 :: v_dual_add_nc_u32 v4, s35, v45
	v_dual_mov_b32 v22, 0 :: v_dual_add_nc_u32 v5, s22, v44
	s_delay_alu instid0(VALU_DEP_1) | instskip(NEXT) | instid1(VALU_DEP_2)
	v_cndmask_b32_e64 v4, v5, v4, s1
	v_dual_mov_b32 v24, v22 :: v_dual_mov_b32 v23, v21
	s_delay_alu instid0(VALU_DEP_2) | instskip(NEXT) | instid1(VALU_DEP_1)
	v_ashrrev_i32_e32 v5, 31, v4
	v_lshlrev_b64 v[4:5], 4, v[4:5]
	s_delay_alu instid0(VALU_DEP_1) | instskip(NEXT) | instid1(VALU_DEP_2)
	v_add_co_u32 v19, vcc_lo, s20, v4
	v_add_co_ci_u32_e32 v20, vcc_lo, s21, v5, vcc_lo
	global_load_b128 v[4:7], v[19:20], off
	s_and_saveexec_b32 s6, s5
	s_cbranch_execz .LBB57_19
; %bb.27:                               ;   in Loop: Header=BB57_20 Depth=3
	global_load_b32 v46, v[9:10], off
	v_dual_mov_b32 v21, 0 :: v_dual_mov_b32 v48, v43
	v_dual_mov_b32 v22, 0 :: v_dual_add_nc_u32 v47, s35, v41
	v_mov_b32_e32 v25, v40
	s_mov_b32 s36, 0
	s_delay_alu instid0(VALU_DEP_2)
	v_dual_mov_b32 v24, v22 :: v_dual_mov_b32 v23, v21
	s_branch .LBB57_29
.LBB57_28:                              ;   in Loop: Header=BB57_29 Depth=4
	s_set_inst_prefetch_distance 0x2
	s_or_b32 exec_lo, exec_lo, s37
	v_add_nc_u32_e32 v26, 1, v25
	v_cmp_ge_i32_e32 vcc_lo, v25, v39
	s_delay_alu instid0(VALU_DEP_2) | instskip(SKIP_1) | instid1(SALU_CYCLE_1)
	v_dual_mov_b32 v25, v26 :: v_dual_add_nc_u32 v48, s28, v48
	s_or_b32 s36, vcc_lo, s36
	s_and_not1_b32 exec_lo, exec_lo, s36
	s_cbranch_execz .LBB57_18
.LBB57_29:                              ;   Parent Loop BB57_7 Depth=1
                                        ;     Parent Loop BB57_13 Depth=2
                                        ;       Parent Loop BB57_20 Depth=3
                                        ; =>      This Loop Header: Depth=4
                                        ;           Child Loop BB57_31 Depth 5
                                        ;           Child Loop BB57_37 Depth 5
	s_delay_alu instid0(VALU_DEP_1) | instskip(NEXT) | instid1(VALU_DEP_1)
	v_ashrrev_i32_e32 v26, 31, v25
	v_lshlrev_b64 v[26:27], 2, v[25:26]
	s_delay_alu instid0(VALU_DEP_1) | instskip(NEXT) | instid1(VALU_DEP_2)
	v_add_co_u32 v26, vcc_lo, s18, v26
	v_add_co_ci_u32_e32 v27, vcc_lo, s19, v27, vcc_lo
	global_load_b32 v28, v[26:27], off
	s_waitcnt vmcnt(1)
	v_dual_mov_b32 v27, v46 :: v_dual_mov_b32 v26, v8
	s_and_saveexec_b32 s37, s4
	s_cbranch_execz .LBB57_33
; %bb.30:                               ;   in Loop: Header=BB57_29 Depth=4
	v_dual_mov_b32 v27, v46 :: v_dual_mov_b32 v26, v8
	v_dual_mov_b32 v29, v31 :: v_dual_mov_b32 v30, v32
	s_mov_b32 s38, 0
	.p2align	6
.LBB57_31:                              ;   Parent Loop BB57_7 Depth=1
                                        ;     Parent Loop BB57_13 Depth=2
                                        ;       Parent Loop BB57_20 Depth=3
                                        ;         Parent Loop BB57_29 Depth=4
                                        ; =>        This Inner Loop Header: Depth=5
	s_delay_alu instid0(VALU_DEP_2) | instskip(SKIP_2) | instid1(VALU_DEP_2)
	v_add_nc_u32_e32 v49, 1, v26
	s_waitcnt vmcnt(0)
	v_cmp_lt_i32_e32 vcc_lo, v27, v28
	v_dual_cndmask_b32 v30, v26, v30 :: v_dual_cndmask_b32 v29, v29, v49
	s_delay_alu instid0(VALU_DEP_1) | instskip(NEXT) | instid1(VALU_DEP_1)
	v_add_nc_u32_e32 v26, v30, v29
	v_ashrrev_i32_e32 v26, 1, v26
	s_delay_alu instid0(VALU_DEP_1) | instskip(NEXT) | instid1(VALU_DEP_1)
	v_ashrrev_i32_e32 v27, 31, v26
	v_lshlrev_b64 v[49:50], 2, v[26:27]
	s_delay_alu instid0(VALU_DEP_1) | instskip(NEXT) | instid1(VALU_DEP_2)
	v_add_co_u32 v49, vcc_lo, s18, v49
	v_add_co_ci_u32_e32 v50, vcc_lo, s19, v50, vcc_lo
	v_cmp_ge_i32_e32 vcc_lo, v29, v30
	global_load_b32 v27, v[49:50], off
	s_or_b32 s38, vcc_lo, s38
	s_delay_alu instid0(SALU_CYCLE_1)
	s_and_not1_b32 exec_lo, exec_lo, s38
	s_cbranch_execnz .LBB57_31
; %bb.32:                               ;   in Loop: Header=BB57_29 Depth=4
	s_or_b32 exec_lo, exec_lo, s38
.LBB57_33:                              ;   in Loop: Header=BB57_29 Depth=4
	s_delay_alu instid0(SALU_CYCLE_1) | instskip(NEXT) | instid1(SALU_CYCLE_1)
	s_or_b32 exec_lo, exec_lo, s37
	s_mov_b32 s37, exec_lo
	s_waitcnt vmcnt(0)
	v_cmpx_eq_u32_e64 v27, v28
	s_cbranch_execz .LBB57_28
; %bb.34:                               ;   in Loop: Header=BB57_29 Depth=4
	v_mul_lo_u32 v29, v26, s28
	v_subrev_nc_u32_e32 v28, s23, v28
	v_mad_u64_u32 v[26:27], null, v25, s28, s[22:23]
	s_mov_b32 s38, 0
	v_mov_b32_e32 v52, v48
	s_delay_alu instid0(VALU_DEP_3)
	v_mul_lo_u32 v49, v28, s26
	v_add_nc_u32_e32 v50, v29, v38
	v_add_nc_u32_e32 v51, v37, v29
	s_set_inst_prefetch_distance 0x1
	s_branch .LBB57_37
	.p2align	6
.LBB57_35:                              ;   in Loop: Header=BB57_37 Depth=5
	s_delay_alu instid0(VALU_DEP_1) | instskip(NEXT) | instid1(VALU_DEP_2)
	v_ashrrev_i32_e32 v30, 31, v29
	v_ashrrev_i32_e32 v28, 31, v27
	s_delay_alu instid0(VALU_DEP_2) | instskip(NEXT) | instid1(VALU_DEP_2)
	v_lshlrev_b64 v[29:30], 4, v[29:30]
	v_lshlrev_b64 v[27:28], 4, v[27:28]
	s_delay_alu instid0(VALU_DEP_2) | instskip(NEXT) | instid1(VALU_DEP_3)
	v_add_co_u32 v29, vcc_lo, s20, v29
	v_add_co_ci_u32_e32 v30, vcc_lo, s21, v30, vcc_lo
	s_delay_alu instid0(VALU_DEP_3) | instskip(NEXT) | instid1(VALU_DEP_4)
	v_add_co_u32 v53, vcc_lo, s20, v27
	v_add_co_ci_u32_e32 v54, vcc_lo, s21, v28, vcc_lo
	s_clause 0x1
	global_load_b128 v[27:30], v[29:30], off
	global_load_b128 v[53:56], v[53:54], off
	s_waitcnt vmcnt(0)
	v_fma_f64 v[23:24], v[27:28], v[53:54], v[23:24]
	v_fma_f64 v[21:22], v[29:30], v[53:54], v[21:22]
	s_delay_alu instid0(VALU_DEP_2) | instskip(NEXT) | instid1(VALU_DEP_2)
	v_fma_f64 v[23:24], v[29:30], v[55:56], v[23:24]
	v_fma_f64 v[21:22], v[27:28], -v[55:56], v[21:22]
.LBB57_36:                              ;   in Loop: Header=BB57_37 Depth=5
	s_or_b32 exec_lo, exec_lo, s39
	v_add_nc_u32_e32 v51, s26, v51
	v_add_nc_u32_e32 v52, s26, v52
	s_add_i32 s38, s38, 1
	s_delay_alu instid0(SALU_CYCLE_1)
	s_cmp_lg_u32 s26, s38
	s_cbranch_scc0 .LBB57_28
.LBB57_37:                              ;   Parent Loop BB57_7 Depth=1
                                        ;     Parent Loop BB57_13 Depth=2
                                        ;       Parent Loop BB57_20 Depth=3
                                        ;         Parent Loop BB57_29 Depth=4
                                        ; =>        This Inner Loop Header: Depth=5
	s_delay_alu instid0(VALU_DEP_3) | instskip(SKIP_1) | instid1(VALU_DEP_1)
	v_add_nc_u32_e32 v27, s38, v49
	s_mov_b32 s39, exec_lo
	v_cmpx_lt_i32_e64 v27, v47
	s_cbranch_execz .LBB57_36
; %bb.38:                               ;   in Loop: Header=BB57_37 Depth=5
	v_mov_b32_e32 v27, v51
	v_mov_b32_e32 v29, v52
	s_and_not1_b32 vcc_lo, exec_lo, s1
	s_cbranch_vccnz .LBB57_35
; %bb.39:                               ;   in Loop: Header=BB57_37 Depth=5
	v_add_nc_u32_e32 v29, s38, v26
	v_add_nc_u32_e32 v27, s38, v50
	s_branch .LBB57_35
.LBB57_40:                              ;   in Loop: Header=BB57_7 Depth=1
	s_or_b32 exec_lo, exec_lo, s7
.LBB57_41:                              ;   in Loop: Header=BB57_7 Depth=1
	s_delay_alu instid0(SALU_CYCLE_1)
	s_or_b32 exec_lo, exec_lo, s31
	v_add_nc_u32_e32 v27, v38, v35
	v_mov_b32_e32 v28, v34
	s_mov_b32 s6, 0
	s_branch .LBB57_44
.LBB57_42:                              ;   in Loop: Header=BB57_44 Depth=2
	s_set_inst_prefetch_distance 0x2
	v_mul_f64 v[23:24], v[15:16], v[15:16]
	s_waitcnt vmcnt(0)
	s_delay_alu instid0(VALU_DEP_2) | instskip(NEXT) | instid1(VALU_DEP_4)
	v_add_f64 v[6:7], v[6:7], -v[21:22]
	v_add_f64 v[4:5], v[4:5], -v[19:20]
	s_delay_alu instid0(VALU_DEP_3) | instskip(NEXT) | instid1(VALU_DEP_3)
	v_fma_f64 v[23:24], v[1:2], v[1:2], v[23:24]
	v_mul_f64 v[19:20], v[15:16], v[6:7]
	s_delay_alu instid0(VALU_DEP_3) | instskip(NEXT) | instid1(VALU_DEP_3)
	v_mul_f64 v[15:16], v[15:16], -v[4:5]
	v_div_scale_f64 v[25:26], null, v[23:24], v[23:24], 1.0
	v_div_scale_f64 v[41:42], vcc_lo, 1.0, v[23:24], 1.0
	s_delay_alu instid0(VALU_DEP_4) | instskip(NEXT) | instid1(VALU_DEP_4)
	v_fma_f64 v[4:5], v[4:5], v[1:2], v[19:20]
	v_fma_f64 v[1:2], v[6:7], v[1:2], v[15:16]
	s_delay_alu instid0(VALU_DEP_4) | instskip(SKIP_2) | instid1(VALU_DEP_1)
	v_rcp_f64_e32 v[29:30], v[25:26]
	s_waitcnt_depctr 0xfff
	v_fma_f64 v[39:40], -v[25:26], v[29:30], 1.0
	v_fma_f64 v[29:30], v[29:30], v[39:40], v[29:30]
	s_delay_alu instid0(VALU_DEP_1) | instskip(NEXT) | instid1(VALU_DEP_1)
	v_fma_f64 v[39:40], -v[25:26], v[29:30], 1.0
	v_fma_f64 v[29:30], v[29:30], v[39:40], v[29:30]
	s_delay_alu instid0(VALU_DEP_1) | instskip(NEXT) | instid1(VALU_DEP_1)
	v_mul_f64 v[39:40], v[41:42], v[29:30]
	v_fma_f64 v[21:22], -v[25:26], v[39:40], v[41:42]
	s_delay_alu instid0(VALU_DEP_1) | instskip(NEXT) | instid1(VALU_DEP_1)
	v_div_fmas_f64 v[21:22], v[21:22], v[29:30], v[39:40]
	v_div_fixup_f64 v[19:20], v[21:22], v[23:24], 1.0
	s_delay_alu instid0(VALU_DEP_1) | instskip(SKIP_1) | instid1(VALU_DEP_2)
	v_mul_f64 v[4:5], v[19:20], v[4:5]
	v_mul_f64 v[6:7], v[19:20], v[1:2]
	v_fma_f64 v[1:2], v[4:5], v[4:5], v[13:14]
	s_delay_alu instid0(VALU_DEP_2)
	v_fma_f64 v[11:12], v[6:7], v[4:5], v[11:12]
	global_store_b128 v[17:18], v[4:7], off
	v_fma_f64 v[13:14], v[6:7], v[6:7], v[1:2]
	v_fma_f64 v[11:12], v[4:5], -v[6:7], v[11:12]
.LBB57_43:                              ;   in Loop: Header=BB57_44 Depth=2
	s_or_b32 exec_lo, exec_lo, s5
	v_add_nc_u32_e32 v28, 1, v28
	s_add_i32 s6, s6, 1
	s_waitcnt_vscnt null, 0x0
	buffer_gl1_inv
	buffer_gl0_inv
	s_cmp_eq_u32 s6, s26
	s_cbranch_scc1 .LBB57_6
.LBB57_44:                              ;   Parent Loop BB57_7 Depth=1
                                        ; =>  This Loop Header: Depth=2
                                        ;       Child Loop BB57_54 Depth 3
                                        ;       Child Loop BB57_62 Depth 3
                                        ;         Child Loop BB57_64 Depth 4
                                        ;       Child Loop BB57_72 Depth 3
	s_mul_i32 s7, s6, s26
	s_mov_b32 s22, exec_lo
	v_add_nc_u32_e32 v29, s7, v35
	s_delay_alu instid0(VALU_DEP_1) | instskip(NEXT) | instid1(VALU_DEP_1)
	v_add_nc_u32_e32 v1, s6, v29
	v_ashrrev_i32_e32 v2, 31, v1
	s_delay_alu instid0(VALU_DEP_1)
	v_lshlrev_b64 v[5:6], 4, v[1:2]
	v_cmpx_eq_u32_e64 s6, v37
	s_cbranch_execz .LBB57_52
; %bb.45:                               ;   in Loop: Header=BB57_44 Depth=2
	s_delay_alu instid0(VALU_DEP_2) | instskip(NEXT) | instid1(VALU_DEP_3)
	v_add_co_u32 v15, vcc_lo, s20, v5
	v_add_co_ci_u32_e32 v16, vcc_lo, s21, v6, vcc_lo
	global_load_b128 v[17:20], v[15:16], off
	s_waitcnt vmcnt(0)
	v_add_f64 v[1:2], v[17:18], -v[13:14]
	v_add_f64 v[21:22], v[19:20], -v[11:12]
                                        ; implicit-def: $vgpr19_vgpr20
	s_delay_alu instid0(VALU_DEP_2) | instskip(NEXT) | instid1(VALU_DEP_2)
	v_cmp_gt_f64_e32 vcc_lo, 0, v[1:2]
	v_cmp_gt_f64_e64 s5, 0, v[21:22]
	v_xor_b32_e32 v4, 0x80000000, v2
	v_xor_b32_e32 v7, 0x80000000, v22
	s_delay_alu instid0(VALU_DEP_2) | instskip(NEXT) | instid1(VALU_DEP_2)
	v_dual_cndmask_b32 v2, v2, v4 :: v_dual_cndmask_b32 v1, v1, v1
	v_cndmask_b32_e64 v18, v22, v7, s5
	v_cndmask_b32_e64 v17, v21, v21, s5
	s_mov_b32 s5, exec_lo
	s_delay_alu instid0(VALU_DEP_1)
	v_cmpx_ngt_f64_e32 v[1:2], v[17:18]
	s_xor_b32 s5, exec_lo, s5
	s_cbranch_execz .LBB57_49
; %bb.46:                               ;   in Loop: Header=BB57_44 Depth=2
	v_mov_b32_e32 v19, 0
	v_mov_b32_e32 v20, 0
	s_mov_b32 s31, exec_lo
	v_cmpx_neq_f64_e32 0, v[21:22]
	s_cbranch_execz .LBB57_48
; %bb.47:                               ;   in Loop: Header=BB57_44 Depth=2
	v_div_scale_f64 v[19:20], null, v[17:18], v[17:18], v[1:2]
	v_div_scale_f64 v[25:26], vcc_lo, v[1:2], v[17:18], v[1:2]
	s_delay_alu instid0(VALU_DEP_2) | instskip(SKIP_2) | instid1(VALU_DEP_1)
	v_rcp_f64_e32 v[21:22], v[19:20]
	s_waitcnt_depctr 0xfff
	v_fma_f64 v[23:24], -v[19:20], v[21:22], 1.0
	v_fma_f64 v[21:22], v[21:22], v[23:24], v[21:22]
	s_delay_alu instid0(VALU_DEP_1) | instskip(NEXT) | instid1(VALU_DEP_1)
	v_fma_f64 v[23:24], -v[19:20], v[21:22], 1.0
	v_fma_f64 v[21:22], v[21:22], v[23:24], v[21:22]
	s_delay_alu instid0(VALU_DEP_1) | instskip(NEXT) | instid1(VALU_DEP_1)
	v_mul_f64 v[23:24], v[25:26], v[21:22]
	v_fma_f64 v[19:20], -v[19:20], v[23:24], v[25:26]
	s_delay_alu instid0(VALU_DEP_1) | instskip(NEXT) | instid1(VALU_DEP_1)
	v_div_fmas_f64 v[19:20], v[19:20], v[21:22], v[23:24]
	v_div_fixup_f64 v[1:2], v[19:20], v[17:18], v[1:2]
	s_delay_alu instid0(VALU_DEP_1) | instskip(NEXT) | instid1(VALU_DEP_1)
	v_fma_f64 v[1:2], v[1:2], v[1:2], 1.0
	v_cmp_gt_f64_e32 vcc_lo, 0x10000000, v[1:2]
	v_cndmask_b32_e64 v4, 0, 1, vcc_lo
	s_delay_alu instid0(VALU_DEP_1) | instskip(NEXT) | instid1(VALU_DEP_1)
	v_lshlrev_b32_e32 v4, 8, v4
	v_ldexp_f64 v[1:2], v[1:2], v4
	v_cndmask_b32_e64 v4, 0, 0xffffff80, vcc_lo
	s_delay_alu instid0(VALU_DEP_2) | instskip(SKIP_4) | instid1(VALU_DEP_1)
	v_rsq_f64_e32 v[19:20], v[1:2]
	v_cmp_class_f64_e64 vcc_lo, v[1:2], 0x260
	s_waitcnt_depctr 0xfff
	v_mul_f64 v[21:22], v[1:2], v[19:20]
	v_mul_f64 v[19:20], v[19:20], 0.5
	v_fma_f64 v[23:24], -v[19:20], v[21:22], 0.5
	s_delay_alu instid0(VALU_DEP_1) | instskip(SKIP_1) | instid1(VALU_DEP_2)
	v_fma_f64 v[21:22], v[21:22], v[23:24], v[21:22]
	v_fma_f64 v[19:20], v[19:20], v[23:24], v[19:20]
	v_fma_f64 v[23:24], -v[21:22], v[21:22], v[1:2]
	s_delay_alu instid0(VALU_DEP_1) | instskip(NEXT) | instid1(VALU_DEP_1)
	v_fma_f64 v[21:22], v[23:24], v[19:20], v[21:22]
	v_fma_f64 v[23:24], -v[21:22], v[21:22], v[1:2]
	s_delay_alu instid0(VALU_DEP_1) | instskip(NEXT) | instid1(VALU_DEP_1)
	v_fma_f64 v[19:20], v[23:24], v[19:20], v[21:22]
	v_ldexp_f64 v[19:20], v[19:20], v4
	s_delay_alu instid0(VALU_DEP_1) | instskip(NEXT) | instid1(VALU_DEP_1)
	v_dual_cndmask_b32 v1, v19, v1 :: v_dual_cndmask_b32 v2, v20, v2
	v_mul_f64 v[19:20], v[17:18], v[1:2]
.LBB57_48:                              ;   in Loop: Header=BB57_44 Depth=2
	s_or_b32 exec_lo, exec_lo, s31
                                        ; implicit-def: $vgpr1_vgpr2
                                        ; implicit-def: $vgpr17_vgpr18
.LBB57_49:                              ;   in Loop: Header=BB57_44 Depth=2
	s_and_not1_saveexec_b32 s5, s5
	s_cbranch_execz .LBB57_51
; %bb.50:                               ;   in Loop: Header=BB57_44 Depth=2
	v_div_scale_f64 v[19:20], null, v[1:2], v[1:2], v[17:18]
	v_div_scale_f64 v[25:26], vcc_lo, v[17:18], v[1:2], v[17:18]
	s_delay_alu instid0(VALU_DEP_2) | instskip(SKIP_2) | instid1(VALU_DEP_1)
	v_rcp_f64_e32 v[21:22], v[19:20]
	s_waitcnt_depctr 0xfff
	v_fma_f64 v[23:24], -v[19:20], v[21:22], 1.0
	v_fma_f64 v[21:22], v[21:22], v[23:24], v[21:22]
	s_delay_alu instid0(VALU_DEP_1) | instskip(NEXT) | instid1(VALU_DEP_1)
	v_fma_f64 v[23:24], -v[19:20], v[21:22], 1.0
	v_fma_f64 v[21:22], v[21:22], v[23:24], v[21:22]
	s_delay_alu instid0(VALU_DEP_1) | instskip(NEXT) | instid1(VALU_DEP_1)
	v_mul_f64 v[23:24], v[25:26], v[21:22]
	v_fma_f64 v[19:20], -v[19:20], v[23:24], v[25:26]
	s_delay_alu instid0(VALU_DEP_1) | instskip(NEXT) | instid1(VALU_DEP_1)
	v_div_fmas_f64 v[19:20], v[19:20], v[21:22], v[23:24]
	v_div_fixup_f64 v[17:18], v[19:20], v[1:2], v[17:18]
	s_delay_alu instid0(VALU_DEP_1) | instskip(NEXT) | instid1(VALU_DEP_1)
	v_fma_f64 v[17:18], v[17:18], v[17:18], 1.0
	v_cmp_gt_f64_e32 vcc_lo, 0x10000000, v[17:18]
	v_cndmask_b32_e64 v4, 0, 1, vcc_lo
	s_delay_alu instid0(VALU_DEP_1) | instskip(NEXT) | instid1(VALU_DEP_1)
	v_lshlrev_b32_e32 v4, 8, v4
	v_ldexp_f64 v[17:18], v[17:18], v4
	v_cndmask_b32_e64 v4, 0, 0xffffff80, vcc_lo
	s_delay_alu instid0(VALU_DEP_2) | instskip(SKIP_4) | instid1(VALU_DEP_1)
	v_rsq_f64_e32 v[19:20], v[17:18]
	v_cmp_class_f64_e64 vcc_lo, v[17:18], 0x260
	s_waitcnt_depctr 0xfff
	v_mul_f64 v[21:22], v[17:18], v[19:20]
	v_mul_f64 v[19:20], v[19:20], 0.5
	v_fma_f64 v[23:24], -v[19:20], v[21:22], 0.5
	s_delay_alu instid0(VALU_DEP_1) | instskip(SKIP_1) | instid1(VALU_DEP_2)
	v_fma_f64 v[21:22], v[21:22], v[23:24], v[21:22]
	v_fma_f64 v[19:20], v[19:20], v[23:24], v[19:20]
	v_fma_f64 v[23:24], -v[21:22], v[21:22], v[17:18]
	s_delay_alu instid0(VALU_DEP_1) | instskip(NEXT) | instid1(VALU_DEP_1)
	v_fma_f64 v[21:22], v[23:24], v[19:20], v[21:22]
	v_fma_f64 v[23:24], -v[21:22], v[21:22], v[17:18]
	s_delay_alu instid0(VALU_DEP_1) | instskip(NEXT) | instid1(VALU_DEP_1)
	v_fma_f64 v[19:20], v[23:24], v[19:20], v[21:22]
	v_ldexp_f64 v[19:20], v[19:20], v4
	s_delay_alu instid0(VALU_DEP_1) | instskip(NEXT) | instid1(VALU_DEP_1)
	v_dual_cndmask_b32 v17, v19, v17 :: v_dual_cndmask_b32 v18, v20, v18
	v_mul_f64 v[19:20], v[1:2], v[17:18]
.LBB57_51:                              ;   in Loop: Header=BB57_44 Depth=2
	s_or_b32 exec_lo, exec_lo, s5
	s_delay_alu instid0(VALU_DEP_1) | instskip(SKIP_2) | instid1(VALU_DEP_2)
	v_cmp_gt_f64_e32 vcc_lo, 0x10000000, v[19:20]
	v_cndmask_b32_e64 v1, 0, 1, vcc_lo
	v_cndmask_b32_e64 v4, 0, 0xffffff80, vcc_lo
	v_lshlrev_b32_e32 v1, 8, v1
	s_delay_alu instid0(VALU_DEP_1) | instskip(NEXT) | instid1(VALU_DEP_1)
	v_ldexp_f64 v[1:2], v[19:20], v1
	v_rsq_f64_e32 v[17:18], v[1:2]
	v_cmp_class_f64_e64 vcc_lo, v[1:2], 0x260
	s_waitcnt_depctr 0xfff
	v_mul_f64 v[19:20], v[1:2], v[17:18]
	v_mul_f64 v[17:18], v[17:18], 0.5
	s_delay_alu instid0(VALU_DEP_1) | instskip(NEXT) | instid1(VALU_DEP_1)
	v_fma_f64 v[21:22], -v[17:18], v[19:20], 0.5
	v_fma_f64 v[19:20], v[19:20], v[21:22], v[19:20]
	v_fma_f64 v[17:18], v[17:18], v[21:22], v[17:18]
	s_delay_alu instid0(VALU_DEP_2) | instskip(NEXT) | instid1(VALU_DEP_1)
	v_fma_f64 v[21:22], -v[19:20], v[19:20], v[1:2]
	v_fma_f64 v[19:20], v[21:22], v[17:18], v[19:20]
	s_delay_alu instid0(VALU_DEP_1) | instskip(NEXT) | instid1(VALU_DEP_1)
	v_fma_f64 v[21:22], -v[19:20], v[19:20], v[1:2]
	v_fma_f64 v[17:18], v[21:22], v[17:18], v[19:20]
	s_delay_alu instid0(VALU_DEP_1) | instskip(SKIP_1) | instid1(VALU_DEP_2)
	v_ldexp_f64 v[17:18], v[17:18], v4
	v_mov_b32_e32 v4, v3
	v_dual_cndmask_b32 v2, v18, v2 :: v_dual_cndmask_b32 v1, v17, v1
	global_store_b128 v[15:16], v[1:4], off
.LBB57_52:                              ;   in Loop: Header=BB57_44 Depth=2
	s_or_b32 exec_lo, exec_lo, s22
	s_delay_alu instid0(VALU_DEP_2) | instskip(NEXT) | instid1(VALU_DEP_3)
	v_add_co_u32 v1, vcc_lo, s20, v5
	v_add_co_ci_u32_e32 v2, vcc_lo, s21, v6, vcc_lo
	s_waitcnt_vscnt null, 0x0
	buffer_gl1_inv
	buffer_gl0_inv
	global_load_b128 v[4:7], v[1:2], off
	s_waitcnt vmcnt(0)
	v_cmp_neq_f64_e32 vcc_lo, 0, v[4:5]
	v_cmp_neq_f64_e64 s5, 0, v[6:7]
	s_delay_alu instid0(VALU_DEP_1) | instskip(SKIP_4) | instid1(SALU_CYCLE_1)
	s_or_b32 vcc_lo, vcc_lo, s5
	v_dual_cndmask_b32 v16, 0, v7 :: v_dual_cndmask_b32 v15, 0, v6
	v_cndmask_b32_e32 v2, 0x3ff00000, v5, vcc_lo
	v_cndmask_b32_e32 v1, 0, v4, vcc_lo
	s_or_b32 s5, vcc_lo, s0
	s_xor_b32 s22, s5, -1
	s_delay_alu instid0(SALU_CYCLE_1)
	s_and_saveexec_b32 s5, s22
	s_cbranch_execz .LBB57_58
; %bb.53:                               ;   in Loop: Header=BB57_44 Depth=2
	s_mov_b32 s31, exec_lo
	s_brev_b32 s22, -2
.LBB57_54:                              ;   Parent Loop BB57_7 Depth=1
                                        ;     Parent Loop BB57_44 Depth=2
                                        ; =>    This Inner Loop Header: Depth=3
	s_ctz_i32_b32 s33, s31
	s_delay_alu instid0(SALU_CYCLE_1) | instskip(SKIP_1) | instid1(SALU_CYCLE_1)
	v_readlane_b32 s34, v33, s33
	s_lshl_b32 s33, 1, s33
	s_and_not1_b32 s31, s31, s33
	s_delay_alu instid0(VALU_DEP_1)
	s_min_i32 s22, s22, s34
	s_cmp_lg_u32 s31, 0
	s_cbranch_scc1 .LBB57_54
; %bb.55:                               ;   in Loop: Header=BB57_44 Depth=2
	v_mbcnt_lo_u32_b32 v1, exec_lo, 0
	s_mov_b32 s31, exec_lo
	s_delay_alu instid0(VALU_DEP_1)
	v_cmpx_eq_u32_e32 0, v1
	s_xor_b32 s31, exec_lo, s31
	s_cbranch_execz .LBB57_57
; %bb.56:                               ;   in Loop: Header=BB57_44 Depth=2
	v_mov_b32_e32 v1, s22
	global_atomic_min_i32 v3, v1, s[14:15]
.LBB57_57:                              ;   in Loop: Header=BB57_44 Depth=2
	s_or_b32 exec_lo, exec_lo, s31
	v_mov_b32_e32 v1, 0
	v_dual_mov_b32 v2, 0x3ff00000 :: v_dual_mov_b32 v15, 0
	v_mov_b32_e32 v16, 0
.LBB57_58:                              ;   in Loop: Header=BB57_44 Depth=2
	s_or_b32 exec_lo, exec_lo, s5
	s_delay_alu instid0(SALU_CYCLE_1)
	s_mov_b32 s5, exec_lo
	v_cmpx_lt_i32_e64 s6, v37
	s_cbranch_execz .LBB57_43
; %bb.59:                               ;   in Loop: Header=BB57_44 Depth=2
	v_dual_mov_b32 v19, 0 :: v_dual_add_nc_u32 v4, s6, v27
	v_dual_mov_b32 v20, 0 :: v_dual_add_nc_u32 v5, v29, v37
	s_delay_alu instid0(VALU_DEP_1) | instskip(NEXT) | instid1(VALU_DEP_2)
	v_cndmask_b32_e64 v4, v5, v4, s1
	v_dual_mov_b32 v22, v20 :: v_dual_mov_b32 v21, v19
	s_delay_alu instid0(VALU_DEP_2) | instskip(NEXT) | instid1(VALU_DEP_1)
	v_ashrrev_i32_e32 v5, 31, v4
	v_lshlrev_b64 v[4:5], 4, v[4:5]
	s_delay_alu instid0(VALU_DEP_1) | instskip(NEXT) | instid1(VALU_DEP_2)
	v_add_co_u32 v17, vcc_lo, s20, v4
	v_add_co_ci_u32_e32 v18, vcc_lo, s21, v5, vcc_lo
	global_load_b128 v[4:7], v[17:18], off
	s_and_saveexec_b32 s22, s2
	s_cbranch_execz .LBB57_69
; %bb.60:                               ;   in Loop: Header=BB57_44 Depth=2
	v_dual_mov_b32 v19, 0 :: v_dual_mov_b32 v30, v28
	v_dual_mov_b32 v20, 0 :: v_dual_mov_b32 v39, v36
	v_mov_b32_e32 v40, v31
	s_mov_b32 s31, 0
	s_delay_alu instid0(VALU_DEP_2)
	v_dual_mov_b32 v22, v20 :: v_dual_mov_b32 v21, v19
	s_branch .LBB57_62
.LBB57_61:                              ;   in Loop: Header=BB57_62 Depth=3
	s_set_inst_prefetch_distance 0x2
	v_add_nc_u32_e32 v40, 1, v40
	v_add_nc_u32_e32 v39, s28, v39
	;; [unrolled: 1-line block ×3, first 2 shown]
	s_delay_alu instid0(VALU_DEP_3) | instskip(SKIP_1) | instid1(SALU_CYCLE_1)
	v_cmp_le_i32_e32 vcc_lo, s25, v40
	s_or_b32 s31, vcc_lo, s31
	s_and_not1_b32 exec_lo, exec_lo, s31
	s_cbranch_execz .LBB57_68
.LBB57_62:                              ;   Parent Loop BB57_7 Depth=1
                                        ;     Parent Loop BB57_44 Depth=2
                                        ; =>    This Loop Header: Depth=3
                                        ;         Child Loop BB57_64 Depth 4
	s_delay_alu instid0(VALU_DEP_2) | instskip(SKIP_3) | instid1(VALU_DEP_1)
	v_mul_lo_u32 v23, v40, s28
	s_mov_b32 s33, s26
	s_mov_b32 s34, 0
	;; [unrolled: 1-line block ×3, first 2 shown]
	v_add_nc_u32_e32 v41, s7, v23
	v_add_nc_u32_e32 v42, v23, v38
	s_set_inst_prefetch_distance 0x1
	s_branch .LBB57_64
	.p2align	6
.LBB57_63:                              ;   in Loop: Header=BB57_64 Depth=4
	s_delay_alu instid0(VALU_DEP_1) | instskip(NEXT) | instid1(VALU_DEP_3)
	v_ashrrev_i32_e32 v26, 31, v25
	v_ashrrev_i32_e32 v24, 31, v23
	s_add_i32 s33, s33, -1
	s_add_i32 s35, s35, 1
	s_add_i32 s34, s34, s26
	v_lshlrev_b64 v[25:26], 4, v[25:26]
	v_lshlrev_b64 v[23:24], 4, v[23:24]
	s_cmp_eq_u32 s33, 0
	s_delay_alu instid0(VALU_DEP_2) | instskip(NEXT) | instid1(VALU_DEP_3)
	v_add_co_u32 v25, vcc_lo, s20, v25
	v_add_co_ci_u32_e32 v26, vcc_lo, s21, v26, vcc_lo
	s_delay_alu instid0(VALU_DEP_3) | instskip(NEXT) | instid1(VALU_DEP_4)
	v_add_co_u32 v43, vcc_lo, s20, v23
	v_add_co_ci_u32_e32 v44, vcc_lo, s21, v24, vcc_lo
	s_clause 0x1
	global_load_b128 v[23:26], v[25:26], off
	global_load_b128 v[43:46], v[43:44], off
	s_waitcnt vmcnt(0)
	v_fma_f64 v[19:20], v[43:44], v[23:24], v[19:20]
	v_fma_f64 v[21:22], v[45:46], v[23:24], v[21:22]
	s_delay_alu instid0(VALU_DEP_2) | instskip(NEXT) | instid1(VALU_DEP_2)
	v_fma_f64 v[19:20], v[45:46], v[25:26], v[19:20]
	v_fma_f64 v[21:22], v[43:44], -v[25:26], v[21:22]
	s_cbranch_scc1 .LBB57_61
.LBB57_64:                              ;   Parent Loop BB57_7 Depth=1
                                        ;     Parent Loop BB57_44 Depth=2
                                        ;       Parent Loop BB57_62 Depth=3
                                        ; =>      This Inner Loop Header: Depth=4
	s_and_b32 vcc_lo, exec_lo, s30
	s_cbranch_vccz .LBB57_66
; %bb.65:                               ;   in Loop: Header=BB57_64 Depth=4
	v_add_nc_u32_e32 v23, s34, v30
	v_add_nc_u32_e32 v25, s34, v39
	s_cbranch_execnz .LBB57_63
	s_branch .LBB57_67
.LBB57_66:                              ;   in Loop: Header=BB57_64 Depth=4
                                        ; implicit-def: $vgpr25
                                        ; implicit-def: $vgpr23
.LBB57_67:                              ;   in Loop: Header=BB57_64 Depth=4
	v_add_nc_u32_e32 v23, s35, v41
	v_add_nc_u32_e32 v25, s35, v42
	s_branch .LBB57_63
.LBB57_68:                              ;   in Loop: Header=BB57_44 Depth=2
	s_or_b32 exec_lo, exec_lo, s31
.LBB57_69:                              ;   in Loop: Header=BB57_44 Depth=2
	s_delay_alu instid0(SALU_CYCLE_1)
	s_or_b32 exec_lo, exec_lo, s22
	s_cmp_eq_u32 s6, 0
	s_cbranch_scc1 .LBB57_42
; %bb.70:                               ;   in Loop: Header=BB57_44 Depth=2
	v_mov_b32_e32 v30, v35
	s_mov_b32 s7, 0
	s_set_inst_prefetch_distance 0x1
	s_branch .LBB57_72
	.p2align	6
.LBB57_71:                              ;   in Loop: Header=BB57_72 Depth=3
	s_delay_alu instid0(VALU_DEP_1) | instskip(NEXT) | instid1(VALU_DEP_3)
	v_ashrrev_i32_e32 v26, 31, v25
	v_ashrrev_i32_e32 v24, 31, v23
	v_add_nc_u32_e32 v30, s26, v30
	s_add_i32 s7, s7, 1
	s_delay_alu instid0(SALU_CYCLE_1) | instskip(SKIP_2) | instid1(VALU_DEP_2)
	s_cmp_ge_u32 s7, s6
	v_lshlrev_b64 v[25:26], 4, v[25:26]
	v_lshlrev_b64 v[23:24], 4, v[23:24]
	v_add_co_u32 v25, vcc_lo, s20, v25
	s_delay_alu instid0(VALU_DEP_3) | instskip(NEXT) | instid1(VALU_DEP_3)
	v_add_co_ci_u32_e32 v26, vcc_lo, s21, v26, vcc_lo
	v_add_co_u32 v39, vcc_lo, s20, v23
	s_delay_alu instid0(VALU_DEP_4)
	v_add_co_ci_u32_e32 v40, vcc_lo, s21, v24, vcc_lo
	s_clause 0x1
	global_load_b128 v[23:26], v[25:26], off
	global_load_b128 v[39:42], v[39:40], off
	s_waitcnt vmcnt(0)
	v_fma_f64 v[19:20], v[39:40], v[23:24], v[19:20]
	v_fma_f64 v[21:22], v[41:42], v[23:24], v[21:22]
	s_delay_alu instid0(VALU_DEP_2) | instskip(NEXT) | instid1(VALU_DEP_2)
	v_fma_f64 v[19:20], v[41:42], v[25:26], v[19:20]
	v_fma_f64 v[21:22], v[39:40], -v[25:26], v[21:22]
	s_cbranch_scc1 .LBB57_42
.LBB57_72:                              ;   Parent Loop BB57_7 Depth=1
                                        ;     Parent Loop BB57_44 Depth=2
                                        ; =>    This Inner Loop Header: Depth=3
	s_and_b32 vcc_lo, exec_lo, s30
	s_cbranch_vccz .LBB57_74
; %bb.73:                               ;   in Loop: Header=BB57_72 Depth=3
	v_add_nc_u32_e32 v23, s6, v30
	v_add_nc_u32_e32 v25, v37, v30
	s_cbranch_execnz .LBB57_71
	s_branch .LBB57_75
.LBB57_74:                              ;   in Loop: Header=BB57_72 Depth=3
                                        ; implicit-def: $vgpr25
                                        ; implicit-def: $vgpr23
.LBB57_75:                              ;   in Loop: Header=BB57_72 Depth=3
	v_add_nc_u32_e32 v23, s7, v29
	v_add_nc_u32_e32 v25, s7, v27
	s_branch .LBB57_71
.LBB57_76:
	s_or_b32 exec_lo, exec_lo, s27
	v_cmp_eq_u32_e32 vcc_lo, 31, v0
                                        ; implicit-def: $vgpr0
                                        ; implicit-def: $vgpr1_vgpr2
	s_and_b32 s2, vcc_lo, exec_lo
	s_and_not1_saveexec_b32 s0, s24
	s_cbranch_execz .LBB57_2
.LBB57_77:
	s_mov_b32 s3, s2
	s_mov_b32 s1, exec_lo
	v_cmpx_eq_u32_e32 31, v0
	s_cbranch_execz .LBB57_83
; %bb.78:
	v_add_nc_u32_e32 v0, s23, v1
	s_mov_b32 s4, exec_lo
	s_brev_b32 s3, -2
.LBB57_79:                              ; =>This Inner Loop Header: Depth=1
	s_ctz_i32_b32 s5, s4
	s_delay_alu instid0(VALU_DEP_1) | instid1(SALU_CYCLE_1)
	v_readlane_b32 s6, v0, s5
	s_lshl_b32 s5, 1, s5
	s_delay_alu instid0(SALU_CYCLE_1) | instskip(NEXT) | instid1(VALU_DEP_1)
	s_and_not1_b32 s4, s4, s5
	s_min_i32 s3, s3, s6
	s_cmp_lg_u32 s4, 0
	s_cbranch_scc1 .LBB57_79
; %bb.80:
	v_mbcnt_lo_u32_b32 v0, exec_lo, 0
	s_mov_b32 s4, exec_lo
	s_delay_alu instid0(VALU_DEP_1)
	v_cmpx_eq_u32_e32 0, v0
	s_xor_b32 s4, exec_lo, s4
	s_cbranch_execz .LBB57_82
; %bb.81:
	v_dual_mov_b32 v0, 0 :: v_dual_mov_b32 v1, s3
	global_atomic_min_i32 v0, v1, s[14:15]
.LBB57_82:
	s_or_b32 exec_lo, exec_lo, s4
	s_delay_alu instid0(SALU_CYCLE_1)
	s_or_b32 s3, s2, exec_lo
.LBB57_83:
	s_or_b32 exec_lo, exec_lo, s1
	s_delay_alu instid0(SALU_CYCLE_1) | instskip(SKIP_1) | instid1(SALU_CYCLE_1)
	s_and_not1_b32 s1, s2, exec_lo
	s_and_b32 s2, s3, exec_lo
	s_or_b32 s2, s1, s2
	s_or_b32 exec_lo, exec_lo, s0
	s_and_saveexec_b32 s0, s2
	s_cbranch_execz .LBB57_3
.LBB57_84:
	v_lshlrev_b64 v[0:1], 2, s[12:13]
	v_mov_b32_e32 v2, 1
	s_delay_alu instid0(VALU_DEP_2) | instskip(NEXT) | instid1(VALU_DEP_3)
	v_add_co_u32 v0, vcc_lo, s10, v0
	v_add_co_ci_u32_e32 v1, vcc_lo, s11, v1, vcc_lo
	s_waitcnt_vscnt null, 0x0
	global_store_b32 v[0:1], v2, off
	s_nop 0
	s_sendmsg sendmsg(MSG_DEALLOC_VGPRS)
	s_endpgm
	.section	.rodata,"a",@progbits
	.p2align	6, 0x0
	.amdhsa_kernel _ZN9rocsparseL23bsric0_binsearch_kernelILj32ELj32ELb0E21rocsparse_complex_numIdEEEv20rocsparse_direction_iiPKiS5_PT2_S5_PiS5_S8_21rocsparse_index_base_
		.amdhsa_group_segment_fixed_size 0
		.amdhsa_private_segment_fixed_size 0
		.amdhsa_kernarg_size 76
		.amdhsa_user_sgpr_count 15
		.amdhsa_user_sgpr_dispatch_ptr 0
		.amdhsa_user_sgpr_queue_ptr 0
		.amdhsa_user_sgpr_kernarg_segment_ptr 1
		.amdhsa_user_sgpr_dispatch_id 0
		.amdhsa_user_sgpr_private_segment_size 0
		.amdhsa_wavefront_size32 1
		.amdhsa_uses_dynamic_stack 0
		.amdhsa_enable_private_segment 0
		.amdhsa_system_sgpr_workgroup_id_x 1
		.amdhsa_system_sgpr_workgroup_id_y 0
		.amdhsa_system_sgpr_workgroup_id_z 0
		.amdhsa_system_sgpr_workgroup_info 0
		.amdhsa_system_vgpr_workitem_id 0
		.amdhsa_next_free_vgpr 57
		.amdhsa_next_free_sgpr 40
		.amdhsa_reserve_vcc 1
		.amdhsa_float_round_mode_32 0
		.amdhsa_float_round_mode_16_64 0
		.amdhsa_float_denorm_mode_32 3
		.amdhsa_float_denorm_mode_16_64 3
		.amdhsa_dx10_clamp 1
		.amdhsa_ieee_mode 1
		.amdhsa_fp16_overflow 0
		.amdhsa_workgroup_processor_mode 1
		.amdhsa_memory_ordered 1
		.amdhsa_forward_progress 0
		.amdhsa_shared_vgpr_count 0
		.amdhsa_exception_fp_ieee_invalid_op 0
		.amdhsa_exception_fp_denorm_src 0
		.amdhsa_exception_fp_ieee_div_zero 0
		.amdhsa_exception_fp_ieee_overflow 0
		.amdhsa_exception_fp_ieee_underflow 0
		.amdhsa_exception_fp_ieee_inexact 0
		.amdhsa_exception_int_div_zero 0
	.end_amdhsa_kernel
	.section	.text._ZN9rocsparseL23bsric0_binsearch_kernelILj32ELj32ELb0E21rocsparse_complex_numIdEEEv20rocsparse_direction_iiPKiS5_PT2_S5_PiS5_S8_21rocsparse_index_base_,"axG",@progbits,_ZN9rocsparseL23bsric0_binsearch_kernelILj32ELj32ELb0E21rocsparse_complex_numIdEEEv20rocsparse_direction_iiPKiS5_PT2_S5_PiS5_S8_21rocsparse_index_base_,comdat
.Lfunc_end57:
	.size	_ZN9rocsparseL23bsric0_binsearch_kernelILj32ELj32ELb0E21rocsparse_complex_numIdEEEv20rocsparse_direction_iiPKiS5_PT2_S5_PiS5_S8_21rocsparse_index_base_, .Lfunc_end57-_ZN9rocsparseL23bsric0_binsearch_kernelILj32ELj32ELb0E21rocsparse_complex_numIdEEEv20rocsparse_direction_iiPKiS5_PT2_S5_PiS5_S8_21rocsparse_index_base_
                                        ; -- End function
	.section	.AMDGPU.csdata,"",@progbits
; Kernel info:
; codeLenInByte = 4372
; NumSgprs: 42
; NumVgprs: 57
; ScratchSize: 0
; MemoryBound: 0
; FloatMode: 240
; IeeeMode: 1
; LDSByteSize: 0 bytes/workgroup (compile time only)
; SGPRBlocks: 5
; VGPRBlocks: 7
; NumSGPRsForWavesPerEU: 42
; NumVGPRsForWavesPerEU: 57
; Occupancy: 16
; WaveLimiterHint : 1
; COMPUTE_PGM_RSRC2:SCRATCH_EN: 0
; COMPUTE_PGM_RSRC2:USER_SGPR: 15
; COMPUTE_PGM_RSRC2:TRAP_HANDLER: 0
; COMPUTE_PGM_RSRC2:TGID_X_EN: 1
; COMPUTE_PGM_RSRC2:TGID_Y_EN: 0
; COMPUTE_PGM_RSRC2:TGID_Z_EN: 0
; COMPUTE_PGM_RSRC2:TIDIG_COMP_CNT: 0
	.section	.text._ZN9rocsparseL23bsric0_binsearch_kernelILj64ELj64ELb1E21rocsparse_complex_numIdEEEv20rocsparse_direction_iiPKiS5_PT2_S5_PiS5_S8_21rocsparse_index_base_,"axG",@progbits,_ZN9rocsparseL23bsric0_binsearch_kernelILj64ELj64ELb1E21rocsparse_complex_numIdEEEv20rocsparse_direction_iiPKiS5_PT2_S5_PiS5_S8_21rocsparse_index_base_,comdat
	.globl	_ZN9rocsparseL23bsric0_binsearch_kernelILj64ELj64ELb1E21rocsparse_complex_numIdEEEv20rocsparse_direction_iiPKiS5_PT2_S5_PiS5_S8_21rocsparse_index_base_ ; -- Begin function _ZN9rocsparseL23bsric0_binsearch_kernelILj64ELj64ELb1E21rocsparse_complex_numIdEEEv20rocsparse_direction_iiPKiS5_PT2_S5_PiS5_S8_21rocsparse_index_base_
	.p2align	8
	.type	_ZN9rocsparseL23bsric0_binsearch_kernelILj64ELj64ELb1E21rocsparse_complex_numIdEEEv20rocsparse_direction_iiPKiS5_PT2_S5_PiS5_S8_21rocsparse_index_base_,@function
_ZN9rocsparseL23bsric0_binsearch_kernelILj64ELj64ELb1E21rocsparse_complex_numIdEEEv20rocsparse_direction_iiPKiS5_PT2_S5_PiS5_S8_21rocsparse_index_base_: ; @_ZN9rocsparseL23bsric0_binsearch_kernelILj64ELj64ELb1E21rocsparse_complex_numIdEEEv20rocsparse_direction_iiPKiS5_PT2_S5_PiS5_S8_21rocsparse_index_base_
; %bb.0:
	s_mov_b32 s2, s15
	s_load_b256 s[8:15], s[0:1], 0x28
	s_ashr_i32 s3, s2, 31
	s_delay_alu instid0(SALU_CYCLE_1)
	s_lshl_b64 s[2:3], s[2:3], 2
	s_waitcnt lgkmcnt(0)
	s_add_u32 s2, s12, s2
	s_addc_u32 s3, s13, s3
	s_load_b32 s12, s[2:3], 0x0
	s_waitcnt lgkmcnt(0)
	s_ashr_i32 s13, s12, 31
	s_delay_alu instid0(SALU_CYCLE_1) | instskip(SKIP_1) | instid1(SALU_CYCLE_1)
	v_dual_mov_b32 v1, s12 :: v_dual_mov_b32 v2, s13
	s_lshl_b64 s[2:3], s[12:13], 2
	s_add_u32 s2, s8, s2
	s_addc_u32 s3, s9, s3
	s_load_b32 s25, s[2:3], 0x0
	s_load_b32 s23, s[0:1], 0x48
	s_mov_b32 s2, 0
	s_waitcnt lgkmcnt(0)
	s_cmp_lg_u32 s25, -1
	s_cselect_b32 s3, -1, 0
	s_delay_alu instid0(SALU_CYCLE_1) | instskip(NEXT) | instid1(SALU_CYCLE_1)
	s_and_saveexec_b32 s4, s3
	s_xor_b32 s24, exec_lo, s4
	s_cbranch_execnz .LBB58_4
; %bb.1:
	s_and_not1_saveexec_b32 s0, s24
	s_cbranch_execnz .LBB58_79
.LBB58_2:
	s_or_b32 exec_lo, exec_lo, s0
	s_and_saveexec_b32 s0, s2
	s_cbranch_execnz .LBB58_86
.LBB58_3:
	s_nop 0
	s_sendmsg sendmsg(MSG_DEALLOC_VGPRS)
	s_endpgm
.LBB58_4:
	s_load_b32 s26, s[0:1], 0x8
	s_mov_b32 s27, exec_lo
	s_waitcnt lgkmcnt(0)
	v_cmpx_gt_i32_e64 s26, v0
	s_cbranch_execz .LBB58_78
; %bb.5:
	s_clause 0x1
	s_load_b128 s[16:19], s[0:1], 0x10
	s_load_b32 s5, s[0:1], 0x0
	v_lshlrev_b64 v[2:3], 2, s[12:13]
	s_load_b64 s[20:21], s[0:1], 0x20
	s_mul_i32 s28, s26, s26
	v_add_nc_u32_e32 v33, s23, v1
	v_mul_lo_u32 v35, s25, s28
	v_cmp_ne_u32_e64 s0, 0, v0
	s_mov_b32 s29, 0
	v_mov_b32_e32 v37, v0
	s_waitcnt lgkmcnt(0)
	v_add_co_u32 v2, vcc_lo, s16, v2
	v_add_co_ci_u32_e32 v3, vcc_lo, s17, v3, vcc_lo
	s_cmp_eq_u32 s5, 0
	s_cselect_b32 s1, -1, 0
	global_load_b64 v[2:3], v[2:3], off
	s_cmp_lg_u32 s5, 0
	s_cselect_b32 s30, -1, 0
	s_waitcnt vmcnt(0)
	v_subrev_nc_u32_e32 v31, s23, v2
	v_xad_u32 v32, s23, -1, v3
	v_mov_b32_e32 v3, 0
	s_delay_alu instid0(VALU_DEP_3) | instskip(NEXT) | instid1(VALU_DEP_3)
	v_mul_lo_u32 v34, s28, v31
	v_add_nc_u32_e32 v2, v32, v31
	v_cmp_gt_i32_e64 s2, s25, v31
	v_cmp_le_i32_e64 s3, s25, v31
	v_cmp_lt_i32_e64 s4, v31, v32
	s_delay_alu instid0(VALU_DEP_4) | instskip(SKIP_1) | instid1(VALU_DEP_2)
	v_ashrrev_i32_e32 v8, 1, v2
	v_add_nc_u32_e32 v36, v34, v0
	v_ashrrev_i32_e32 v9, 31, v8
	s_delay_alu instid0(VALU_DEP_1) | instskip(NEXT) | instid1(VALU_DEP_1)
	v_lshlrev_b64 v[1:2], 2, v[8:9]
	v_add_co_u32 v9, vcc_lo, s18, v1
	s_delay_alu instid0(VALU_DEP_2)
	v_add_co_ci_u32_e32 v10, vcc_lo, s19, v2, vcc_lo
	s_branch .LBB58_7
.LBB58_6:                               ;   in Loop: Header=BB58_7 Depth=1
	v_add_nc_u32_e32 v37, 64, v37
	v_add_nc_u32_e32 v36, 64, v36
	s_delay_alu instid0(VALU_DEP_2) | instskip(SKIP_1) | instid1(SALU_CYCLE_1)
	v_cmp_le_i32_e32 vcc_lo, s26, v37
	s_or_b32 s29, vcc_lo, s29
	s_and_not1_b32 exec_lo, exec_lo, s29
	s_cbranch_execz .LBB58_78
.LBB58_7:                               ; =>This Loop Header: Depth=1
                                        ;     Child Loop BB58_13 Depth 2
                                        ;       Child Loop BB58_17 Depth 3
                                        ;         Child Loop BB58_18 Depth 4
                                        ;       Child Loop BB58_22 Depth 3
                                        ;         Child Loop BB58_24 Depth 4
                                        ;         Child Loop BB58_31 Depth 4
                                        ;           Child Loop BB58_33 Depth 5
                                        ;           Child Loop BB58_39 Depth 5
                                        ;     Child Loop BB58_46 Depth 2
                                        ;       Child Loop BB58_56 Depth 3
                                        ;       Child Loop BB58_64 Depth 3
                                        ;         Child Loop BB58_66 Depth 4
                                        ;       Child Loop BB58_74 Depth 3
	v_mul_lo_u32 v38, v37, s26
                                        ; implicit-def: $sgpr6_sgpr7
	s_and_saveexec_b32 s5, s3
	s_delay_alu instid0(SALU_CYCLE_1)
	s_xor_b32 s5, exec_lo, s5
; %bb.8:                                ;   in Loop: Header=BB58_7 Depth=1
	v_mul_lo_u32 v38, v37, s26
	s_mov_b64 s[6:7], 0
; %bb.9:                                ;   in Loop: Header=BB58_7 Depth=1
	s_or_saveexec_b32 s31, s5
	v_dual_mov_b32 v12, s7 :: v_dual_mov_b32 v11, s6
	v_dual_mov_b32 v14, s7 :: v_dual_mov_b32 v13, s6
	s_xor_b32 exec_lo, exec_lo, s31
	s_cbranch_execz .LBB58_43
; %bb.10:                               ;   in Loop: Header=BB58_7 Depth=1
	v_mov_b32_e32 v11, 0
	v_dual_mov_b32 v12, 0 :: v_dual_mov_b32 v1, v31
	s_mov_b32 s7, 0
                                        ; implicit-def: $sgpr33
	s_delay_alu instid0(VALU_DEP_1)
	v_dual_mov_b32 v14, v12 :: v_dual_mov_b32 v13, v11
	s_branch .LBB58_13
.LBB58_11:                              ;   in Loop: Header=BB58_13 Depth=2
	v_add_nc_u32_e32 v1, 1, v1
	s_and_not1_b32 s5, s33, exec_lo
	s_delay_alu instid0(VALU_DEP_1) | instskip(SKIP_1) | instid1(SALU_CYCLE_1)
	v_cmp_le_i32_e32 vcc_lo, s25, v1
	s_and_b32 s6, vcc_lo, exec_lo
	s_or_b32 s33, s5, s6
.LBB58_12:                              ;   in Loop: Header=BB58_13 Depth=2
	s_or_b32 exec_lo, exec_lo, s34
	s_delay_alu instid0(SALU_CYCLE_1) | instskip(NEXT) | instid1(SALU_CYCLE_1)
	s_and_b32 s5, exec_lo, s33
	s_or_b32 s7, s5, s7
	s_delay_alu instid0(SALU_CYCLE_1)
	s_and_not1_b32 exec_lo, exec_lo, s7
	s_cbranch_execz .LBB58_42
.LBB58_13:                              ;   Parent Loop BB58_7 Depth=1
                                        ; =>  This Loop Header: Depth=2
                                        ;       Child Loop BB58_17 Depth 3
                                        ;         Child Loop BB58_18 Depth 4
                                        ;       Child Loop BB58_22 Depth 3
                                        ;         Child Loop BB58_24 Depth 4
                                        ;         Child Loop BB58_31 Depth 4
                                        ;           Child Loop BB58_33 Depth 5
                                        ;           Child Loop BB58_39 Depth 5
	s_delay_alu instid0(VALU_DEP_2) | instskip(SKIP_2) | instid1(VALU_DEP_1)
	v_ashrrev_i32_e32 v2, 31, v1
	s_or_b32 s33, s33, exec_lo
	s_mov_b32 s34, exec_lo
	v_lshlrev_b64 v[4:5], 2, v[1:2]
	s_delay_alu instid0(VALU_DEP_1) | instskip(NEXT) | instid1(VALU_DEP_2)
	v_add_co_u32 v4, vcc_lo, s18, v4
	v_add_co_ci_u32_e32 v5, vcc_lo, s19, v5, vcc_lo
	global_load_b32 v2, v[4:5], off
	s_waitcnt vmcnt(0)
	v_subrev_nc_u32_e32 v4, s23, v2
	s_delay_alu instid0(VALU_DEP_1) | instskip(NEXT) | instid1(VALU_DEP_1)
	v_ashrrev_i32_e32 v5, 31, v4
	v_lshlrev_b64 v[5:6], 2, v[4:5]
	s_delay_alu instid0(VALU_DEP_1) | instskip(NEXT) | instid1(VALU_DEP_2)
	v_add_co_u32 v15, vcc_lo, s8, v5
	v_add_co_ci_u32_e32 v16, vcc_lo, s9, v6, vcc_lo
	global_load_b32 v39, v[15:16], off
	s_waitcnt vmcnt(0)
	v_cmpx_ne_u32_e32 -1, v39
	s_cbranch_execz .LBB58_12
; %bb.14:                               ;   in Loop: Header=BB58_13 Depth=2
	v_add_co_u32 v15, vcc_lo, s16, v5
	v_add_co_ci_u32_e32 v16, vcc_lo, s17, v6, vcc_lo
	v_add_co_u32 v5, vcc_lo, s10, v5
	v_add_co_ci_u32_e32 v6, vcc_lo, s11, v6, vcc_lo
	s_mov_b32 s5, exec_lo
	global_load_b32 v7, v[15:16], off
	global_load_b32 v15, v[5:6], off glc
	s_waitcnt vmcnt(0)
	v_cmpx_eq_u32_e32 0, v15
	s_cbranch_execz .LBB58_19
; %bb.15:                               ;   in Loop: Header=BB58_13 Depth=2
	s_mov_b32 s6, 0
	s_mov_b32 s22, 0
	s_branch .LBB58_17
	.p2align	6
.LBB58_16:                              ;   in Loop: Header=BB58_17 Depth=3
	global_load_b32 v15, v[5:6], off glc
	s_cmpk_lt_u32 s22, 0xf43
	s_cselect_b32 s35, -1, 0
	s_delay_alu instid0(SALU_CYCLE_1) | instskip(SKIP_4) | instid1(SALU_CYCLE_1)
	s_cmp_lg_u32 s35, 0
	s_addc_u32 s22, s22, 0
	s_waitcnt vmcnt(0)
	v_cmp_ne_u32_e32 vcc_lo, 0, v15
	s_or_b32 s6, vcc_lo, s6
	s_and_not1_b32 exec_lo, exec_lo, s6
	s_cbranch_execz .LBB58_19
.LBB58_17:                              ;   Parent Loop BB58_7 Depth=1
                                        ;     Parent Loop BB58_13 Depth=2
                                        ; =>    This Loop Header: Depth=3
                                        ;         Child Loop BB58_18 Depth 4
	s_cmp_eq_u32 s22, 0
	s_mov_b32 s35, s22
	s_cbranch_scc1 .LBB58_16
.LBB58_18:                              ;   Parent Loop BB58_7 Depth=1
                                        ;     Parent Loop BB58_13 Depth=2
                                        ;       Parent Loop BB58_17 Depth=3
                                        ; =>      This Inner Loop Header: Depth=4
	s_add_i32 s35, s35, -1
	s_sleep 1
	s_cmp_eq_u32 s35, 0
	s_cbranch_scc0 .LBB58_18
	s_branch .LBB58_16
.LBB58_19:                              ;   in Loop: Header=BB58_13 Depth=2
	s_or_b32 exec_lo, exec_lo, s5
	v_mul_lo_u32 v5, v1, s28
	v_subrev_nc_u32_e32 v40, s23, v7
	v_mul_lo_u32 v41, v4, s26
	v_mul_lo_u32 v42, v39, s28
	s_mov_b32 s35, 0
	buffer_gl1_inv
	buffer_gl0_inv
	v_mul_lo_u32 v43, s28, v40
	v_cmp_le_i32_e64 s5, v40, v39
	v_add_nc_u32_e32 v44, v5, v37
	v_add_nc_u32_e32 v45, v5, v38
	s_branch .LBB58_22
.LBB58_20:                              ;   in Loop: Header=BB58_22 Depth=3
	s_or_b32 exec_lo, exec_lo, s36
.LBB58_21:                              ;   in Loop: Header=BB58_22 Depth=3
	s_delay_alu instid0(SALU_CYCLE_1)
	s_or_b32 exec_lo, exec_lo, s6
	v_mul_f64 v[25:26], v[17:18], v[17:18]
	s_waitcnt vmcnt(0)
	v_add_f64 v[6:7], v[6:7], -v[21:22]
	v_add_f64 v[4:5], v[4:5], -v[23:24]
	v_add_nc_u32_e32 v43, 1, v43
	s_add_i32 s35, s35, 1
	s_delay_alu instid0(SALU_CYCLE_1) | instskip(NEXT) | instid1(VALU_DEP_4)
	s_cmp_eq_u32 s35, s26
	v_fma_f64 v[25:26], v[15:16], v[15:16], v[25:26]
	s_delay_alu instid0(VALU_DEP_4) | instskip(NEXT) | instid1(VALU_DEP_4)
	v_mul_f64 v[23:24], v[17:18], v[6:7]
	v_mul_f64 v[17:18], v[17:18], -v[4:5]
	s_delay_alu instid0(VALU_DEP_3) | instskip(SKIP_1) | instid1(VALU_DEP_4)
	v_div_scale_f64 v[27:28], null, v[25:26], v[25:26], 1.0
	v_div_scale_f64 v[48:49], vcc_lo, 1.0, v[25:26], 1.0
	v_fma_f64 v[4:5], v[4:5], v[15:16], v[23:24]
	s_delay_alu instid0(VALU_DEP_4) | instskip(NEXT) | instid1(VALU_DEP_4)
	v_fma_f64 v[6:7], v[6:7], v[15:16], v[17:18]
	v_rcp_f64_e32 v[29:30], v[27:28]
	s_waitcnt_depctr 0xfff
	v_fma_f64 v[46:47], -v[27:28], v[29:30], 1.0
	s_delay_alu instid0(VALU_DEP_1) | instskip(NEXT) | instid1(VALU_DEP_1)
	v_fma_f64 v[29:30], v[29:30], v[46:47], v[29:30]
	v_fma_f64 v[46:47], -v[27:28], v[29:30], 1.0
	s_delay_alu instid0(VALU_DEP_1) | instskip(NEXT) | instid1(VALU_DEP_1)
	v_fma_f64 v[29:30], v[29:30], v[46:47], v[29:30]
	v_mul_f64 v[46:47], v[48:49], v[29:30]
	s_delay_alu instid0(VALU_DEP_1) | instskip(NEXT) | instid1(VALU_DEP_1)
	v_fma_f64 v[21:22], -v[27:28], v[46:47], v[48:49]
	v_div_fmas_f64 v[21:22], v[21:22], v[29:30], v[46:47]
	s_delay_alu instid0(VALU_DEP_1) | instskip(NEXT) | instid1(VALU_DEP_1)
	v_div_fixup_f64 v[21:22], v[21:22], v[25:26], 1.0
	v_mul_f64 v[4:5], v[21:22], v[4:5]
	v_mul_f64 v[6:7], v[21:22], v[6:7]
	s_delay_alu instid0(VALU_DEP_2) | instskip(NEXT) | instid1(VALU_DEP_2)
	v_fma_f64 v[13:14], v[4:5], v[4:5], v[13:14]
	v_fma_f64 v[11:12], v[6:7], v[4:5], v[11:12]
	global_store_b128 v[19:20], v[4:7], off
	v_fma_f64 v[13:14], v[6:7], v[6:7], v[13:14]
	v_fma_f64 v[11:12], v[4:5], -v[6:7], v[11:12]
	s_cbranch_scc1 .LBB58_11
.LBB58_22:                              ;   Parent Loop BB58_7 Depth=1
                                        ;     Parent Loop BB58_13 Depth=2
                                        ; =>    This Loop Header: Depth=3
                                        ;         Child Loop BB58_24 Depth 4
                                        ;         Child Loop BB58_31 Depth 4
                                        ;           Child Loop BB58_33 Depth 5
                                        ;           Child Loop BB58_39 Depth 5
	s_mul_i32 s22, s35, s26
	s_delay_alu instid0(SALU_CYCLE_1) | instskip(NEXT) | instid1(VALU_DEP_1)
	v_add3_u32 v4, s22, s35, v42
	v_ashrrev_i32_e32 v5, 31, v4
	s_delay_alu instid0(VALU_DEP_1) | instskip(NEXT) | instid1(VALU_DEP_1)
	v_lshlrev_b64 v[4:5], 4, v[4:5]
	v_add_co_u32 v4, vcc_lo, s20, v4
	s_delay_alu instid0(VALU_DEP_2) | instskip(SKIP_4) | instid1(VALU_DEP_1)
	v_add_co_ci_u32_e32 v5, vcc_lo, s21, v5, vcc_lo
	global_load_b128 v[4:7], v[4:5], off
	s_waitcnt vmcnt(0)
	v_cmp_neq_f64_e32 vcc_lo, 0, v[4:5]
	v_cmp_neq_f64_e64 s6, 0, v[6:7]
	s_or_b32 vcc_lo, vcc_lo, s6
	v_cndmask_b32_e32 v16, 0x3ff00000, v5, vcc_lo
	v_dual_cndmask_b32 v15, 0, v4 :: v_dual_cndmask_b32 v18, 0, v7
	v_cndmask_b32_e32 v17, 0, v6, vcc_lo
	s_or_b32 s6, vcc_lo, s0
	s_delay_alu instid0(SALU_CYCLE_1) | instskip(NEXT) | instid1(SALU_CYCLE_1)
	s_xor_b32 s36, s6, -1
	s_and_saveexec_b32 s6, s36
	s_cbranch_execz .LBB58_28
; %bb.23:                               ;   in Loop: Header=BB58_22 Depth=3
	s_mov_b32 s37, exec_lo
	s_brev_b32 s36, -2
.LBB58_24:                              ;   Parent Loop BB58_7 Depth=1
                                        ;     Parent Loop BB58_13 Depth=2
                                        ;       Parent Loop BB58_22 Depth=3
                                        ; =>      This Inner Loop Header: Depth=4
	s_ctz_i32_b32 s38, s37
	s_delay_alu instid0(SALU_CYCLE_1) | instskip(SKIP_1) | instid1(SALU_CYCLE_1)
	v_readlane_b32 s39, v2, s38
	s_lshl_b32 s38, 1, s38
	s_and_not1_b32 s37, s37, s38
	s_delay_alu instid0(VALU_DEP_1)
	s_min_i32 s36, s36, s39
	s_cmp_lg_u32 s37, 0
	s_cbranch_scc1 .LBB58_24
; %bb.25:                               ;   in Loop: Header=BB58_22 Depth=3
	v_mbcnt_lo_u32_b32 v4, exec_lo, 0
	s_mov_b32 s37, exec_lo
	s_delay_alu instid0(VALU_DEP_1)
	v_cmpx_eq_u32_e32 0, v4
	s_xor_b32 s37, exec_lo, s37
	s_cbranch_execz .LBB58_27
; %bb.26:                               ;   in Loop: Header=BB58_22 Depth=3
	v_mov_b32_e32 v4, s36
	global_atomic_min_i32 v3, v4, s[14:15]
.LBB58_27:                              ;   in Loop: Header=BB58_22 Depth=3
	s_or_b32 exec_lo, exec_lo, s37
	v_mov_b32_e32 v17, 0
	v_dual_mov_b32 v18, 0 :: v_dual_mov_b32 v15, 0
	v_mov_b32_e32 v16, 0x3ff00000
.LBB58_28:                              ;   in Loop: Header=BB58_22 Depth=3
	s_or_b32 exec_lo, exec_lo, s6
	v_dual_mov_b32 v21, 0 :: v_dual_add_nc_u32 v4, s35, v45
	v_dual_mov_b32 v22, 0 :: v_dual_add_nc_u32 v5, s22, v44
	s_delay_alu instid0(VALU_DEP_1) | instskip(NEXT) | instid1(VALU_DEP_2)
	v_cndmask_b32_e64 v4, v5, v4, s1
	v_dual_mov_b32 v24, v22 :: v_dual_mov_b32 v23, v21
	s_delay_alu instid0(VALU_DEP_2) | instskip(NEXT) | instid1(VALU_DEP_1)
	v_ashrrev_i32_e32 v5, 31, v4
	v_lshlrev_b64 v[4:5], 4, v[4:5]
	s_delay_alu instid0(VALU_DEP_1) | instskip(NEXT) | instid1(VALU_DEP_2)
	v_add_co_u32 v19, vcc_lo, s20, v4
	v_add_co_ci_u32_e32 v20, vcc_lo, s21, v5, vcc_lo
	global_load_b128 v[4:7], v[19:20], off
	s_and_saveexec_b32 s6, s5
	s_cbranch_execz .LBB58_21
; %bb.29:                               ;   in Loop: Header=BB58_22 Depth=3
	global_load_b32 v46, v[9:10], off
	v_dual_mov_b32 v21, 0 :: v_dual_mov_b32 v48, v43
	v_dual_mov_b32 v22, 0 :: v_dual_add_nc_u32 v47, s35, v41
	v_mov_b32_e32 v25, v40
	s_mov_b32 s36, 0
	s_delay_alu instid0(VALU_DEP_2)
	v_dual_mov_b32 v24, v22 :: v_dual_mov_b32 v23, v21
	s_branch .LBB58_31
.LBB58_30:                              ;   in Loop: Header=BB58_31 Depth=4
	s_set_inst_prefetch_distance 0x2
	s_or_b32 exec_lo, exec_lo, s37
	v_add_nc_u32_e32 v26, 1, v25
	v_cmp_ge_i32_e32 vcc_lo, v25, v39
	s_delay_alu instid0(VALU_DEP_2) | instskip(SKIP_1) | instid1(SALU_CYCLE_1)
	v_dual_mov_b32 v25, v26 :: v_dual_add_nc_u32 v48, s28, v48
	s_or_b32 s36, vcc_lo, s36
	s_and_not1_b32 exec_lo, exec_lo, s36
	s_cbranch_execz .LBB58_20
.LBB58_31:                              ;   Parent Loop BB58_7 Depth=1
                                        ;     Parent Loop BB58_13 Depth=2
                                        ;       Parent Loop BB58_22 Depth=3
                                        ; =>      This Loop Header: Depth=4
                                        ;           Child Loop BB58_33 Depth 5
                                        ;           Child Loop BB58_39 Depth 5
	s_delay_alu instid0(VALU_DEP_1) | instskip(NEXT) | instid1(VALU_DEP_1)
	v_ashrrev_i32_e32 v26, 31, v25
	v_lshlrev_b64 v[26:27], 2, v[25:26]
	s_delay_alu instid0(VALU_DEP_1) | instskip(NEXT) | instid1(VALU_DEP_2)
	v_add_co_u32 v26, vcc_lo, s18, v26
	v_add_co_ci_u32_e32 v27, vcc_lo, s19, v27, vcc_lo
	global_load_b32 v28, v[26:27], off
	s_waitcnt vmcnt(1)
	v_dual_mov_b32 v27, v46 :: v_dual_mov_b32 v26, v8
	s_and_saveexec_b32 s37, s4
	s_cbranch_execz .LBB58_35
; %bb.32:                               ;   in Loop: Header=BB58_31 Depth=4
	v_dual_mov_b32 v27, v46 :: v_dual_mov_b32 v26, v8
	v_dual_mov_b32 v29, v31 :: v_dual_mov_b32 v30, v32
	s_mov_b32 s38, 0
	.p2align	6
.LBB58_33:                              ;   Parent Loop BB58_7 Depth=1
                                        ;     Parent Loop BB58_13 Depth=2
                                        ;       Parent Loop BB58_22 Depth=3
                                        ;         Parent Loop BB58_31 Depth=4
                                        ; =>        This Inner Loop Header: Depth=5
	s_delay_alu instid0(VALU_DEP_2) | instskip(SKIP_2) | instid1(VALU_DEP_2)
	v_add_nc_u32_e32 v49, 1, v26
	s_waitcnt vmcnt(0)
	v_cmp_lt_i32_e32 vcc_lo, v27, v28
	v_dual_cndmask_b32 v30, v26, v30 :: v_dual_cndmask_b32 v29, v29, v49
	s_delay_alu instid0(VALU_DEP_1) | instskip(NEXT) | instid1(VALU_DEP_1)
	v_add_nc_u32_e32 v26, v30, v29
	v_ashrrev_i32_e32 v26, 1, v26
	s_delay_alu instid0(VALU_DEP_1) | instskip(NEXT) | instid1(VALU_DEP_1)
	v_ashrrev_i32_e32 v27, 31, v26
	v_lshlrev_b64 v[49:50], 2, v[26:27]
	s_delay_alu instid0(VALU_DEP_1) | instskip(NEXT) | instid1(VALU_DEP_2)
	v_add_co_u32 v49, vcc_lo, s18, v49
	v_add_co_ci_u32_e32 v50, vcc_lo, s19, v50, vcc_lo
	v_cmp_ge_i32_e32 vcc_lo, v29, v30
	global_load_b32 v27, v[49:50], off
	s_or_b32 s38, vcc_lo, s38
	s_delay_alu instid0(SALU_CYCLE_1)
	s_and_not1_b32 exec_lo, exec_lo, s38
	s_cbranch_execnz .LBB58_33
; %bb.34:                               ;   in Loop: Header=BB58_31 Depth=4
	s_or_b32 exec_lo, exec_lo, s38
.LBB58_35:                              ;   in Loop: Header=BB58_31 Depth=4
	s_delay_alu instid0(SALU_CYCLE_1) | instskip(NEXT) | instid1(SALU_CYCLE_1)
	s_or_b32 exec_lo, exec_lo, s37
	s_mov_b32 s37, exec_lo
	s_waitcnt vmcnt(0)
	v_cmpx_eq_u32_e64 v27, v28
	s_cbranch_execz .LBB58_30
; %bb.36:                               ;   in Loop: Header=BB58_31 Depth=4
	v_mul_lo_u32 v29, v26, s28
	v_subrev_nc_u32_e32 v28, s23, v28
	v_mad_u64_u32 v[26:27], null, v25, s28, s[22:23]
	s_mov_b32 s38, 0
	v_mov_b32_e32 v52, v48
	s_delay_alu instid0(VALU_DEP_3)
	v_mul_lo_u32 v49, v28, s26
	v_add_nc_u32_e32 v50, v29, v38
	v_add_nc_u32_e32 v51, v37, v29
	s_set_inst_prefetch_distance 0x1
	s_branch .LBB58_39
	.p2align	6
.LBB58_37:                              ;   in Loop: Header=BB58_39 Depth=5
	s_delay_alu instid0(VALU_DEP_1) | instskip(NEXT) | instid1(VALU_DEP_2)
	v_ashrrev_i32_e32 v30, 31, v29
	v_ashrrev_i32_e32 v28, 31, v27
	s_delay_alu instid0(VALU_DEP_2) | instskip(NEXT) | instid1(VALU_DEP_2)
	v_lshlrev_b64 v[29:30], 4, v[29:30]
	v_lshlrev_b64 v[27:28], 4, v[27:28]
	s_delay_alu instid0(VALU_DEP_2) | instskip(NEXT) | instid1(VALU_DEP_3)
	v_add_co_u32 v29, vcc_lo, s20, v29
	v_add_co_ci_u32_e32 v30, vcc_lo, s21, v30, vcc_lo
	s_delay_alu instid0(VALU_DEP_3) | instskip(NEXT) | instid1(VALU_DEP_4)
	v_add_co_u32 v53, vcc_lo, s20, v27
	v_add_co_ci_u32_e32 v54, vcc_lo, s21, v28, vcc_lo
	s_clause 0x1
	global_load_b128 v[27:30], v[29:30], off
	global_load_b128 v[53:56], v[53:54], off
	s_waitcnt vmcnt(0)
	v_fma_f64 v[23:24], v[27:28], v[53:54], v[23:24]
	v_fma_f64 v[21:22], v[29:30], v[53:54], v[21:22]
	s_delay_alu instid0(VALU_DEP_2) | instskip(NEXT) | instid1(VALU_DEP_2)
	v_fma_f64 v[23:24], v[29:30], v[55:56], v[23:24]
	v_fma_f64 v[21:22], v[27:28], -v[55:56], v[21:22]
.LBB58_38:                              ;   in Loop: Header=BB58_39 Depth=5
	s_or_b32 exec_lo, exec_lo, s39
	v_add_nc_u32_e32 v51, s26, v51
	v_add_nc_u32_e32 v52, s26, v52
	s_add_i32 s38, s38, 1
	s_delay_alu instid0(SALU_CYCLE_1)
	s_cmp_lg_u32 s26, s38
	s_cbranch_scc0 .LBB58_30
.LBB58_39:                              ;   Parent Loop BB58_7 Depth=1
                                        ;     Parent Loop BB58_13 Depth=2
                                        ;       Parent Loop BB58_22 Depth=3
                                        ;         Parent Loop BB58_31 Depth=4
                                        ; =>        This Inner Loop Header: Depth=5
	s_delay_alu instid0(VALU_DEP_3) | instskip(SKIP_1) | instid1(VALU_DEP_1)
	v_add_nc_u32_e32 v27, s38, v49
	s_mov_b32 s39, exec_lo
	v_cmpx_lt_i32_e64 v27, v47
	s_cbranch_execz .LBB58_38
; %bb.40:                               ;   in Loop: Header=BB58_39 Depth=5
	v_mov_b32_e32 v27, v51
	v_mov_b32_e32 v29, v52
	s_and_not1_b32 vcc_lo, exec_lo, s1
	s_cbranch_vccnz .LBB58_37
; %bb.41:                               ;   in Loop: Header=BB58_39 Depth=5
	v_add_nc_u32_e32 v29, s38, v26
	v_add_nc_u32_e32 v27, s38, v50
	s_branch .LBB58_37
.LBB58_42:                              ;   in Loop: Header=BB58_7 Depth=1
	s_or_b32 exec_lo, exec_lo, s7
.LBB58_43:                              ;   in Loop: Header=BB58_7 Depth=1
	s_delay_alu instid0(SALU_CYCLE_1)
	s_or_b32 exec_lo, exec_lo, s31
	v_add_nc_u32_e32 v27, v38, v35
	v_mov_b32_e32 v28, v34
	s_mov_b32 s6, 0
	s_branch .LBB58_46
.LBB58_44:                              ;   in Loop: Header=BB58_46 Depth=2
	s_set_inst_prefetch_distance 0x2
	v_mul_f64 v[23:24], v[15:16], v[15:16]
	s_waitcnt vmcnt(0)
	s_delay_alu instid0(VALU_DEP_2) | instskip(NEXT) | instid1(VALU_DEP_4)
	v_add_f64 v[6:7], v[6:7], -v[21:22]
	v_add_f64 v[4:5], v[4:5], -v[19:20]
	s_delay_alu instid0(VALU_DEP_3) | instskip(NEXT) | instid1(VALU_DEP_3)
	v_fma_f64 v[23:24], v[1:2], v[1:2], v[23:24]
	v_mul_f64 v[19:20], v[15:16], v[6:7]
	s_delay_alu instid0(VALU_DEP_3) | instskip(NEXT) | instid1(VALU_DEP_3)
	v_mul_f64 v[15:16], v[15:16], -v[4:5]
	v_div_scale_f64 v[25:26], null, v[23:24], v[23:24], 1.0
	v_div_scale_f64 v[41:42], vcc_lo, 1.0, v[23:24], 1.0
	s_delay_alu instid0(VALU_DEP_4) | instskip(NEXT) | instid1(VALU_DEP_4)
	v_fma_f64 v[4:5], v[4:5], v[1:2], v[19:20]
	v_fma_f64 v[1:2], v[6:7], v[1:2], v[15:16]
	s_delay_alu instid0(VALU_DEP_4) | instskip(SKIP_2) | instid1(VALU_DEP_1)
	v_rcp_f64_e32 v[29:30], v[25:26]
	s_waitcnt_depctr 0xfff
	v_fma_f64 v[39:40], -v[25:26], v[29:30], 1.0
	v_fma_f64 v[29:30], v[29:30], v[39:40], v[29:30]
	s_delay_alu instid0(VALU_DEP_1) | instskip(NEXT) | instid1(VALU_DEP_1)
	v_fma_f64 v[39:40], -v[25:26], v[29:30], 1.0
	v_fma_f64 v[29:30], v[29:30], v[39:40], v[29:30]
	s_delay_alu instid0(VALU_DEP_1) | instskip(NEXT) | instid1(VALU_DEP_1)
	v_mul_f64 v[39:40], v[41:42], v[29:30]
	v_fma_f64 v[21:22], -v[25:26], v[39:40], v[41:42]
	s_delay_alu instid0(VALU_DEP_1) | instskip(NEXT) | instid1(VALU_DEP_1)
	v_div_fmas_f64 v[21:22], v[21:22], v[29:30], v[39:40]
	v_div_fixup_f64 v[19:20], v[21:22], v[23:24], 1.0
	s_delay_alu instid0(VALU_DEP_1) | instskip(SKIP_1) | instid1(VALU_DEP_2)
	v_mul_f64 v[4:5], v[19:20], v[4:5]
	v_mul_f64 v[6:7], v[19:20], v[1:2]
	v_fma_f64 v[1:2], v[4:5], v[4:5], v[13:14]
	s_delay_alu instid0(VALU_DEP_2)
	v_fma_f64 v[11:12], v[6:7], v[4:5], v[11:12]
	global_store_b128 v[17:18], v[4:7], off
	v_fma_f64 v[13:14], v[6:7], v[6:7], v[1:2]
	v_fma_f64 v[11:12], v[4:5], -v[6:7], v[11:12]
.LBB58_45:                              ;   in Loop: Header=BB58_46 Depth=2
	s_or_b32 exec_lo, exec_lo, s5
	v_add_nc_u32_e32 v28, 1, v28
	s_add_i32 s6, s6, 1
	s_waitcnt_vscnt null, 0x0
	buffer_gl1_inv
	buffer_gl0_inv
	s_cmp_eq_u32 s6, s26
	s_cbranch_scc1 .LBB58_6
.LBB58_46:                              ;   Parent Loop BB58_7 Depth=1
                                        ; =>  This Loop Header: Depth=2
                                        ;       Child Loop BB58_56 Depth 3
                                        ;       Child Loop BB58_64 Depth 3
                                        ;         Child Loop BB58_66 Depth 4
                                        ;       Child Loop BB58_74 Depth 3
	s_mul_i32 s7, s6, s26
	s_mov_b32 s22, exec_lo
	v_add_nc_u32_e32 v29, s7, v35
	s_delay_alu instid0(VALU_DEP_1) | instskip(NEXT) | instid1(VALU_DEP_1)
	v_add_nc_u32_e32 v1, s6, v29
	v_ashrrev_i32_e32 v2, 31, v1
	s_delay_alu instid0(VALU_DEP_1)
	v_lshlrev_b64 v[5:6], 4, v[1:2]
	v_cmpx_eq_u32_e64 s6, v37
	s_cbranch_execz .LBB58_54
; %bb.47:                               ;   in Loop: Header=BB58_46 Depth=2
	s_delay_alu instid0(VALU_DEP_2) | instskip(NEXT) | instid1(VALU_DEP_3)
	v_add_co_u32 v15, vcc_lo, s20, v5
	v_add_co_ci_u32_e32 v16, vcc_lo, s21, v6, vcc_lo
	global_load_b128 v[17:20], v[15:16], off
	s_waitcnt vmcnt(0)
	v_add_f64 v[1:2], v[17:18], -v[13:14]
	v_add_f64 v[21:22], v[19:20], -v[11:12]
                                        ; implicit-def: $vgpr19_vgpr20
	s_delay_alu instid0(VALU_DEP_2) | instskip(NEXT) | instid1(VALU_DEP_2)
	v_cmp_gt_f64_e32 vcc_lo, 0, v[1:2]
	v_cmp_gt_f64_e64 s5, 0, v[21:22]
	v_xor_b32_e32 v4, 0x80000000, v2
	v_xor_b32_e32 v7, 0x80000000, v22
	s_delay_alu instid0(VALU_DEP_2) | instskip(NEXT) | instid1(VALU_DEP_2)
	v_dual_cndmask_b32 v2, v2, v4 :: v_dual_cndmask_b32 v1, v1, v1
	v_cndmask_b32_e64 v18, v22, v7, s5
	v_cndmask_b32_e64 v17, v21, v21, s5
	s_mov_b32 s5, exec_lo
	s_delay_alu instid0(VALU_DEP_1)
	v_cmpx_ngt_f64_e32 v[1:2], v[17:18]
	s_xor_b32 s5, exec_lo, s5
	s_cbranch_execz .LBB58_51
; %bb.48:                               ;   in Loop: Header=BB58_46 Depth=2
	v_mov_b32_e32 v19, 0
	v_mov_b32_e32 v20, 0
	s_mov_b32 s31, exec_lo
	v_cmpx_neq_f64_e32 0, v[21:22]
	s_cbranch_execz .LBB58_50
; %bb.49:                               ;   in Loop: Header=BB58_46 Depth=2
	v_div_scale_f64 v[19:20], null, v[17:18], v[17:18], v[1:2]
	v_div_scale_f64 v[25:26], vcc_lo, v[1:2], v[17:18], v[1:2]
	s_delay_alu instid0(VALU_DEP_2) | instskip(SKIP_2) | instid1(VALU_DEP_1)
	v_rcp_f64_e32 v[21:22], v[19:20]
	s_waitcnt_depctr 0xfff
	v_fma_f64 v[23:24], -v[19:20], v[21:22], 1.0
	v_fma_f64 v[21:22], v[21:22], v[23:24], v[21:22]
	s_delay_alu instid0(VALU_DEP_1) | instskip(NEXT) | instid1(VALU_DEP_1)
	v_fma_f64 v[23:24], -v[19:20], v[21:22], 1.0
	v_fma_f64 v[21:22], v[21:22], v[23:24], v[21:22]
	s_delay_alu instid0(VALU_DEP_1) | instskip(NEXT) | instid1(VALU_DEP_1)
	v_mul_f64 v[23:24], v[25:26], v[21:22]
	v_fma_f64 v[19:20], -v[19:20], v[23:24], v[25:26]
	s_delay_alu instid0(VALU_DEP_1) | instskip(NEXT) | instid1(VALU_DEP_1)
	v_div_fmas_f64 v[19:20], v[19:20], v[21:22], v[23:24]
	v_div_fixup_f64 v[1:2], v[19:20], v[17:18], v[1:2]
	s_delay_alu instid0(VALU_DEP_1) | instskip(NEXT) | instid1(VALU_DEP_1)
	v_fma_f64 v[1:2], v[1:2], v[1:2], 1.0
	v_cmp_gt_f64_e32 vcc_lo, 0x10000000, v[1:2]
	v_cndmask_b32_e64 v4, 0, 1, vcc_lo
	s_delay_alu instid0(VALU_DEP_1) | instskip(NEXT) | instid1(VALU_DEP_1)
	v_lshlrev_b32_e32 v4, 8, v4
	v_ldexp_f64 v[1:2], v[1:2], v4
	v_cndmask_b32_e64 v4, 0, 0xffffff80, vcc_lo
	s_delay_alu instid0(VALU_DEP_2) | instskip(SKIP_4) | instid1(VALU_DEP_1)
	v_rsq_f64_e32 v[19:20], v[1:2]
	v_cmp_class_f64_e64 vcc_lo, v[1:2], 0x260
	s_waitcnt_depctr 0xfff
	v_mul_f64 v[21:22], v[1:2], v[19:20]
	v_mul_f64 v[19:20], v[19:20], 0.5
	v_fma_f64 v[23:24], -v[19:20], v[21:22], 0.5
	s_delay_alu instid0(VALU_DEP_1) | instskip(SKIP_1) | instid1(VALU_DEP_2)
	v_fma_f64 v[21:22], v[21:22], v[23:24], v[21:22]
	v_fma_f64 v[19:20], v[19:20], v[23:24], v[19:20]
	v_fma_f64 v[23:24], -v[21:22], v[21:22], v[1:2]
	s_delay_alu instid0(VALU_DEP_1) | instskip(NEXT) | instid1(VALU_DEP_1)
	v_fma_f64 v[21:22], v[23:24], v[19:20], v[21:22]
	v_fma_f64 v[23:24], -v[21:22], v[21:22], v[1:2]
	s_delay_alu instid0(VALU_DEP_1) | instskip(NEXT) | instid1(VALU_DEP_1)
	v_fma_f64 v[19:20], v[23:24], v[19:20], v[21:22]
	v_ldexp_f64 v[19:20], v[19:20], v4
	s_delay_alu instid0(VALU_DEP_1) | instskip(NEXT) | instid1(VALU_DEP_1)
	v_dual_cndmask_b32 v1, v19, v1 :: v_dual_cndmask_b32 v2, v20, v2
	v_mul_f64 v[19:20], v[17:18], v[1:2]
.LBB58_50:                              ;   in Loop: Header=BB58_46 Depth=2
	s_or_b32 exec_lo, exec_lo, s31
                                        ; implicit-def: $vgpr1_vgpr2
                                        ; implicit-def: $vgpr17_vgpr18
.LBB58_51:                              ;   in Loop: Header=BB58_46 Depth=2
	s_and_not1_saveexec_b32 s5, s5
	s_cbranch_execz .LBB58_53
; %bb.52:                               ;   in Loop: Header=BB58_46 Depth=2
	v_div_scale_f64 v[19:20], null, v[1:2], v[1:2], v[17:18]
	v_div_scale_f64 v[25:26], vcc_lo, v[17:18], v[1:2], v[17:18]
	s_delay_alu instid0(VALU_DEP_2) | instskip(SKIP_2) | instid1(VALU_DEP_1)
	v_rcp_f64_e32 v[21:22], v[19:20]
	s_waitcnt_depctr 0xfff
	v_fma_f64 v[23:24], -v[19:20], v[21:22], 1.0
	v_fma_f64 v[21:22], v[21:22], v[23:24], v[21:22]
	s_delay_alu instid0(VALU_DEP_1) | instskip(NEXT) | instid1(VALU_DEP_1)
	v_fma_f64 v[23:24], -v[19:20], v[21:22], 1.0
	v_fma_f64 v[21:22], v[21:22], v[23:24], v[21:22]
	s_delay_alu instid0(VALU_DEP_1) | instskip(NEXT) | instid1(VALU_DEP_1)
	v_mul_f64 v[23:24], v[25:26], v[21:22]
	v_fma_f64 v[19:20], -v[19:20], v[23:24], v[25:26]
	s_delay_alu instid0(VALU_DEP_1) | instskip(NEXT) | instid1(VALU_DEP_1)
	v_div_fmas_f64 v[19:20], v[19:20], v[21:22], v[23:24]
	v_div_fixup_f64 v[17:18], v[19:20], v[1:2], v[17:18]
	s_delay_alu instid0(VALU_DEP_1) | instskip(NEXT) | instid1(VALU_DEP_1)
	v_fma_f64 v[17:18], v[17:18], v[17:18], 1.0
	v_cmp_gt_f64_e32 vcc_lo, 0x10000000, v[17:18]
	v_cndmask_b32_e64 v4, 0, 1, vcc_lo
	s_delay_alu instid0(VALU_DEP_1) | instskip(NEXT) | instid1(VALU_DEP_1)
	v_lshlrev_b32_e32 v4, 8, v4
	v_ldexp_f64 v[17:18], v[17:18], v4
	v_cndmask_b32_e64 v4, 0, 0xffffff80, vcc_lo
	s_delay_alu instid0(VALU_DEP_2) | instskip(SKIP_4) | instid1(VALU_DEP_1)
	v_rsq_f64_e32 v[19:20], v[17:18]
	v_cmp_class_f64_e64 vcc_lo, v[17:18], 0x260
	s_waitcnt_depctr 0xfff
	v_mul_f64 v[21:22], v[17:18], v[19:20]
	v_mul_f64 v[19:20], v[19:20], 0.5
	v_fma_f64 v[23:24], -v[19:20], v[21:22], 0.5
	s_delay_alu instid0(VALU_DEP_1) | instskip(SKIP_1) | instid1(VALU_DEP_2)
	v_fma_f64 v[21:22], v[21:22], v[23:24], v[21:22]
	v_fma_f64 v[19:20], v[19:20], v[23:24], v[19:20]
	v_fma_f64 v[23:24], -v[21:22], v[21:22], v[17:18]
	s_delay_alu instid0(VALU_DEP_1) | instskip(NEXT) | instid1(VALU_DEP_1)
	v_fma_f64 v[21:22], v[23:24], v[19:20], v[21:22]
	v_fma_f64 v[23:24], -v[21:22], v[21:22], v[17:18]
	s_delay_alu instid0(VALU_DEP_1) | instskip(NEXT) | instid1(VALU_DEP_1)
	v_fma_f64 v[19:20], v[23:24], v[19:20], v[21:22]
	v_ldexp_f64 v[19:20], v[19:20], v4
	s_delay_alu instid0(VALU_DEP_1) | instskip(NEXT) | instid1(VALU_DEP_1)
	v_dual_cndmask_b32 v17, v19, v17 :: v_dual_cndmask_b32 v18, v20, v18
	v_mul_f64 v[19:20], v[1:2], v[17:18]
.LBB58_53:                              ;   in Loop: Header=BB58_46 Depth=2
	s_or_b32 exec_lo, exec_lo, s5
	s_delay_alu instid0(VALU_DEP_1) | instskip(SKIP_2) | instid1(VALU_DEP_2)
	v_cmp_gt_f64_e32 vcc_lo, 0x10000000, v[19:20]
	v_cndmask_b32_e64 v1, 0, 1, vcc_lo
	v_cndmask_b32_e64 v4, 0, 0xffffff80, vcc_lo
	v_lshlrev_b32_e32 v1, 8, v1
	s_delay_alu instid0(VALU_DEP_1) | instskip(NEXT) | instid1(VALU_DEP_1)
	v_ldexp_f64 v[1:2], v[19:20], v1
	v_rsq_f64_e32 v[17:18], v[1:2]
	v_cmp_class_f64_e64 vcc_lo, v[1:2], 0x260
	s_waitcnt_depctr 0xfff
	v_mul_f64 v[19:20], v[1:2], v[17:18]
	v_mul_f64 v[17:18], v[17:18], 0.5
	s_delay_alu instid0(VALU_DEP_1) | instskip(NEXT) | instid1(VALU_DEP_1)
	v_fma_f64 v[21:22], -v[17:18], v[19:20], 0.5
	v_fma_f64 v[19:20], v[19:20], v[21:22], v[19:20]
	v_fma_f64 v[17:18], v[17:18], v[21:22], v[17:18]
	s_delay_alu instid0(VALU_DEP_2) | instskip(NEXT) | instid1(VALU_DEP_1)
	v_fma_f64 v[21:22], -v[19:20], v[19:20], v[1:2]
	v_fma_f64 v[19:20], v[21:22], v[17:18], v[19:20]
	s_delay_alu instid0(VALU_DEP_1) | instskip(NEXT) | instid1(VALU_DEP_1)
	v_fma_f64 v[21:22], -v[19:20], v[19:20], v[1:2]
	v_fma_f64 v[17:18], v[21:22], v[17:18], v[19:20]
	s_delay_alu instid0(VALU_DEP_1) | instskip(SKIP_1) | instid1(VALU_DEP_2)
	v_ldexp_f64 v[17:18], v[17:18], v4
	v_mov_b32_e32 v4, v3
	v_dual_cndmask_b32 v2, v18, v2 :: v_dual_cndmask_b32 v1, v17, v1
	global_store_b128 v[15:16], v[1:4], off
.LBB58_54:                              ;   in Loop: Header=BB58_46 Depth=2
	s_or_b32 exec_lo, exec_lo, s22
	s_delay_alu instid0(VALU_DEP_2) | instskip(NEXT) | instid1(VALU_DEP_3)
	v_add_co_u32 v1, vcc_lo, s20, v5
	v_add_co_ci_u32_e32 v2, vcc_lo, s21, v6, vcc_lo
	s_waitcnt_vscnt null, 0x0
	buffer_gl1_inv
	buffer_gl0_inv
	global_load_b128 v[4:7], v[1:2], off
	s_waitcnt vmcnt(0)
	v_cmp_neq_f64_e32 vcc_lo, 0, v[4:5]
	v_cmp_neq_f64_e64 s5, 0, v[6:7]
	s_delay_alu instid0(VALU_DEP_1) | instskip(SKIP_4) | instid1(SALU_CYCLE_1)
	s_or_b32 vcc_lo, vcc_lo, s5
	v_dual_cndmask_b32 v16, 0, v7 :: v_dual_cndmask_b32 v15, 0, v6
	v_cndmask_b32_e32 v2, 0x3ff00000, v5, vcc_lo
	v_cndmask_b32_e32 v1, 0, v4, vcc_lo
	s_or_b32 s5, vcc_lo, s0
	s_xor_b32 s22, s5, -1
	s_delay_alu instid0(SALU_CYCLE_1)
	s_and_saveexec_b32 s5, s22
	s_cbranch_execz .LBB58_60
; %bb.55:                               ;   in Loop: Header=BB58_46 Depth=2
	s_mov_b32 s31, exec_lo
	s_brev_b32 s22, -2
.LBB58_56:                              ;   Parent Loop BB58_7 Depth=1
                                        ;     Parent Loop BB58_46 Depth=2
                                        ; =>    This Inner Loop Header: Depth=3
	s_ctz_i32_b32 s33, s31
	s_delay_alu instid0(SALU_CYCLE_1) | instskip(SKIP_1) | instid1(SALU_CYCLE_1)
	v_readlane_b32 s34, v33, s33
	s_lshl_b32 s33, 1, s33
	s_and_not1_b32 s31, s31, s33
	s_delay_alu instid0(VALU_DEP_1)
	s_min_i32 s22, s22, s34
	s_cmp_lg_u32 s31, 0
	s_cbranch_scc1 .LBB58_56
; %bb.57:                               ;   in Loop: Header=BB58_46 Depth=2
	v_mbcnt_lo_u32_b32 v1, exec_lo, 0
	s_mov_b32 s31, exec_lo
	s_delay_alu instid0(VALU_DEP_1)
	v_cmpx_eq_u32_e32 0, v1
	s_xor_b32 s31, exec_lo, s31
	s_cbranch_execz .LBB58_59
; %bb.58:                               ;   in Loop: Header=BB58_46 Depth=2
	v_mov_b32_e32 v1, s22
	global_atomic_min_i32 v3, v1, s[14:15]
.LBB58_59:                              ;   in Loop: Header=BB58_46 Depth=2
	s_or_b32 exec_lo, exec_lo, s31
	v_mov_b32_e32 v1, 0
	v_dual_mov_b32 v2, 0x3ff00000 :: v_dual_mov_b32 v15, 0
	v_mov_b32_e32 v16, 0
.LBB58_60:                              ;   in Loop: Header=BB58_46 Depth=2
	s_or_b32 exec_lo, exec_lo, s5
	s_delay_alu instid0(SALU_CYCLE_1)
	s_mov_b32 s5, exec_lo
	v_cmpx_lt_i32_e64 s6, v37
	s_cbranch_execz .LBB58_45
; %bb.61:                               ;   in Loop: Header=BB58_46 Depth=2
	v_dual_mov_b32 v19, 0 :: v_dual_add_nc_u32 v4, s6, v27
	v_dual_mov_b32 v20, 0 :: v_dual_add_nc_u32 v5, v29, v37
	s_delay_alu instid0(VALU_DEP_1) | instskip(NEXT) | instid1(VALU_DEP_2)
	v_cndmask_b32_e64 v4, v5, v4, s1
	v_dual_mov_b32 v22, v20 :: v_dual_mov_b32 v21, v19
	s_delay_alu instid0(VALU_DEP_2) | instskip(NEXT) | instid1(VALU_DEP_1)
	v_ashrrev_i32_e32 v5, 31, v4
	v_lshlrev_b64 v[4:5], 4, v[4:5]
	s_delay_alu instid0(VALU_DEP_1) | instskip(NEXT) | instid1(VALU_DEP_2)
	v_add_co_u32 v17, vcc_lo, s20, v4
	v_add_co_ci_u32_e32 v18, vcc_lo, s21, v5, vcc_lo
	global_load_b128 v[4:7], v[17:18], off
	s_and_saveexec_b32 s22, s2
	s_cbranch_execz .LBB58_71
; %bb.62:                               ;   in Loop: Header=BB58_46 Depth=2
	v_dual_mov_b32 v19, 0 :: v_dual_mov_b32 v30, v28
	v_dual_mov_b32 v20, 0 :: v_dual_mov_b32 v39, v36
	v_mov_b32_e32 v40, v31
	s_mov_b32 s31, 0
	s_delay_alu instid0(VALU_DEP_2)
	v_dual_mov_b32 v22, v20 :: v_dual_mov_b32 v21, v19
	s_branch .LBB58_64
.LBB58_63:                              ;   in Loop: Header=BB58_64 Depth=3
	s_set_inst_prefetch_distance 0x2
	v_add_nc_u32_e32 v40, 1, v40
	v_add_nc_u32_e32 v39, s28, v39
	;; [unrolled: 1-line block ×3, first 2 shown]
	s_delay_alu instid0(VALU_DEP_3) | instskip(SKIP_1) | instid1(SALU_CYCLE_1)
	v_cmp_le_i32_e32 vcc_lo, s25, v40
	s_or_b32 s31, vcc_lo, s31
	s_and_not1_b32 exec_lo, exec_lo, s31
	s_cbranch_execz .LBB58_70
.LBB58_64:                              ;   Parent Loop BB58_7 Depth=1
                                        ;     Parent Loop BB58_46 Depth=2
                                        ; =>    This Loop Header: Depth=3
                                        ;         Child Loop BB58_66 Depth 4
	s_delay_alu instid0(VALU_DEP_2) | instskip(SKIP_3) | instid1(VALU_DEP_1)
	v_mul_lo_u32 v23, v40, s28
	s_mov_b32 s33, s26
	s_mov_b32 s34, 0
	;; [unrolled: 1-line block ×3, first 2 shown]
	v_add_nc_u32_e32 v41, s7, v23
	v_add_nc_u32_e32 v42, v23, v38
	s_set_inst_prefetch_distance 0x1
	s_branch .LBB58_66
	.p2align	6
.LBB58_65:                              ;   in Loop: Header=BB58_66 Depth=4
	s_delay_alu instid0(VALU_DEP_1) | instskip(NEXT) | instid1(VALU_DEP_3)
	v_ashrrev_i32_e32 v26, 31, v25
	v_ashrrev_i32_e32 v24, 31, v23
	s_add_i32 s33, s33, -1
	s_add_i32 s35, s35, 1
	s_add_i32 s34, s34, s26
	v_lshlrev_b64 v[25:26], 4, v[25:26]
	v_lshlrev_b64 v[23:24], 4, v[23:24]
	s_cmp_eq_u32 s33, 0
	s_delay_alu instid0(VALU_DEP_2) | instskip(NEXT) | instid1(VALU_DEP_3)
	v_add_co_u32 v25, vcc_lo, s20, v25
	v_add_co_ci_u32_e32 v26, vcc_lo, s21, v26, vcc_lo
	s_delay_alu instid0(VALU_DEP_3) | instskip(NEXT) | instid1(VALU_DEP_4)
	v_add_co_u32 v43, vcc_lo, s20, v23
	v_add_co_ci_u32_e32 v44, vcc_lo, s21, v24, vcc_lo
	s_clause 0x1
	global_load_b128 v[23:26], v[25:26], off
	global_load_b128 v[43:46], v[43:44], off
	s_waitcnt vmcnt(0)
	v_fma_f64 v[19:20], v[43:44], v[23:24], v[19:20]
	v_fma_f64 v[21:22], v[45:46], v[23:24], v[21:22]
	s_delay_alu instid0(VALU_DEP_2) | instskip(NEXT) | instid1(VALU_DEP_2)
	v_fma_f64 v[19:20], v[45:46], v[25:26], v[19:20]
	v_fma_f64 v[21:22], v[43:44], -v[25:26], v[21:22]
	s_cbranch_scc1 .LBB58_63
.LBB58_66:                              ;   Parent Loop BB58_7 Depth=1
                                        ;     Parent Loop BB58_46 Depth=2
                                        ;       Parent Loop BB58_64 Depth=3
                                        ; =>      This Inner Loop Header: Depth=4
	s_and_b32 vcc_lo, exec_lo, s30
	s_cbranch_vccz .LBB58_68
; %bb.67:                               ;   in Loop: Header=BB58_66 Depth=4
	v_add_nc_u32_e32 v23, s34, v30
	v_add_nc_u32_e32 v25, s34, v39
	s_cbranch_execnz .LBB58_65
	s_branch .LBB58_69
.LBB58_68:                              ;   in Loop: Header=BB58_66 Depth=4
                                        ; implicit-def: $vgpr25
                                        ; implicit-def: $vgpr23
.LBB58_69:                              ;   in Loop: Header=BB58_66 Depth=4
	v_add_nc_u32_e32 v23, s35, v41
	v_add_nc_u32_e32 v25, s35, v42
	s_branch .LBB58_65
.LBB58_70:                              ;   in Loop: Header=BB58_46 Depth=2
	s_or_b32 exec_lo, exec_lo, s31
.LBB58_71:                              ;   in Loop: Header=BB58_46 Depth=2
	s_delay_alu instid0(SALU_CYCLE_1)
	s_or_b32 exec_lo, exec_lo, s22
	s_cmp_eq_u32 s6, 0
	s_cbranch_scc1 .LBB58_44
; %bb.72:                               ;   in Loop: Header=BB58_46 Depth=2
	v_mov_b32_e32 v30, v35
	s_mov_b32 s7, 0
	s_set_inst_prefetch_distance 0x1
	s_branch .LBB58_74
	.p2align	6
.LBB58_73:                              ;   in Loop: Header=BB58_74 Depth=3
	s_delay_alu instid0(VALU_DEP_1) | instskip(NEXT) | instid1(VALU_DEP_3)
	v_ashrrev_i32_e32 v26, 31, v25
	v_ashrrev_i32_e32 v24, 31, v23
	v_add_nc_u32_e32 v30, s26, v30
	s_add_i32 s7, s7, 1
	s_delay_alu instid0(SALU_CYCLE_1) | instskip(SKIP_2) | instid1(VALU_DEP_2)
	s_cmp_ge_u32 s7, s6
	v_lshlrev_b64 v[25:26], 4, v[25:26]
	v_lshlrev_b64 v[23:24], 4, v[23:24]
	v_add_co_u32 v25, vcc_lo, s20, v25
	s_delay_alu instid0(VALU_DEP_3) | instskip(NEXT) | instid1(VALU_DEP_3)
	v_add_co_ci_u32_e32 v26, vcc_lo, s21, v26, vcc_lo
	v_add_co_u32 v39, vcc_lo, s20, v23
	s_delay_alu instid0(VALU_DEP_4)
	v_add_co_ci_u32_e32 v40, vcc_lo, s21, v24, vcc_lo
	s_clause 0x1
	global_load_b128 v[23:26], v[25:26], off
	global_load_b128 v[39:42], v[39:40], off
	s_waitcnt vmcnt(0)
	v_fma_f64 v[19:20], v[39:40], v[23:24], v[19:20]
	v_fma_f64 v[21:22], v[41:42], v[23:24], v[21:22]
	s_delay_alu instid0(VALU_DEP_2) | instskip(NEXT) | instid1(VALU_DEP_2)
	v_fma_f64 v[19:20], v[41:42], v[25:26], v[19:20]
	v_fma_f64 v[21:22], v[39:40], -v[25:26], v[21:22]
	s_cbranch_scc1 .LBB58_44
.LBB58_74:                              ;   Parent Loop BB58_7 Depth=1
                                        ;     Parent Loop BB58_46 Depth=2
                                        ; =>    This Inner Loop Header: Depth=3
	s_and_b32 vcc_lo, exec_lo, s30
	s_cbranch_vccz .LBB58_76
; %bb.75:                               ;   in Loop: Header=BB58_74 Depth=3
	v_add_nc_u32_e32 v23, s6, v30
	v_add_nc_u32_e32 v25, v37, v30
	s_cbranch_execnz .LBB58_73
	s_branch .LBB58_77
.LBB58_76:                              ;   in Loop: Header=BB58_74 Depth=3
                                        ; implicit-def: $vgpr25
                                        ; implicit-def: $vgpr23
.LBB58_77:                              ;   in Loop: Header=BB58_74 Depth=3
	v_add_nc_u32_e32 v23, s7, v29
	v_add_nc_u32_e32 v25, s7, v27
	s_branch .LBB58_73
.LBB58_78:
	s_or_b32 exec_lo, exec_lo, s27
	v_cmp_eq_u32_e32 vcc_lo, 63, v0
                                        ; implicit-def: $vgpr0
                                        ; implicit-def: $vgpr1_vgpr2
	s_and_b32 s2, vcc_lo, exec_lo
	s_and_not1_saveexec_b32 s0, s24
	s_cbranch_execz .LBB58_2
.LBB58_79:
	s_mov_b32 s3, s2
	s_mov_b32 s1, exec_lo
	v_cmpx_eq_u32_e32 63, v0
	s_cbranch_execz .LBB58_85
; %bb.80:
	v_add_nc_u32_e32 v0, s23, v1
	s_mov_b32 s4, exec_lo
	s_brev_b32 s3, -2
.LBB58_81:                              ; =>This Inner Loop Header: Depth=1
	s_ctz_i32_b32 s5, s4
	s_delay_alu instid0(VALU_DEP_1) | instid1(SALU_CYCLE_1)
	v_readlane_b32 s6, v0, s5
	s_lshl_b32 s5, 1, s5
	s_delay_alu instid0(SALU_CYCLE_1) | instskip(NEXT) | instid1(VALU_DEP_1)
	s_and_not1_b32 s4, s4, s5
	s_min_i32 s3, s3, s6
	s_cmp_lg_u32 s4, 0
	s_cbranch_scc1 .LBB58_81
; %bb.82:
	v_mbcnt_lo_u32_b32 v0, exec_lo, 0
	s_mov_b32 s4, exec_lo
	s_delay_alu instid0(VALU_DEP_1)
	v_cmpx_eq_u32_e32 0, v0
	s_xor_b32 s4, exec_lo, s4
	s_cbranch_execz .LBB58_84
; %bb.83:
	v_dual_mov_b32 v0, 0 :: v_dual_mov_b32 v1, s3
	global_atomic_min_i32 v0, v1, s[14:15]
.LBB58_84:
	s_or_b32 exec_lo, exec_lo, s4
	s_delay_alu instid0(SALU_CYCLE_1)
	s_or_b32 s3, s2, exec_lo
.LBB58_85:
	s_or_b32 exec_lo, exec_lo, s1
	s_delay_alu instid0(SALU_CYCLE_1) | instskip(SKIP_1) | instid1(SALU_CYCLE_1)
	s_and_not1_b32 s1, s2, exec_lo
	s_and_b32 s2, s3, exec_lo
	s_or_b32 s2, s1, s2
	s_or_b32 exec_lo, exec_lo, s0
	s_and_saveexec_b32 s0, s2
	s_cbranch_execz .LBB58_3
.LBB58_86:
	v_lshlrev_b64 v[0:1], 2, s[12:13]
	v_mov_b32_e32 v2, 1
	s_delay_alu instid0(VALU_DEP_2) | instskip(NEXT) | instid1(VALU_DEP_3)
	v_add_co_u32 v0, vcc_lo, s10, v0
	v_add_co_ci_u32_e32 v1, vcc_lo, s11, v1, vcc_lo
	s_waitcnt_vscnt null, 0x0
	global_store_b32 v[0:1], v2, off
	s_nop 0
	s_sendmsg sendmsg(MSG_DEALLOC_VGPRS)
	s_endpgm
	.section	.rodata,"a",@progbits
	.p2align	6, 0x0
	.amdhsa_kernel _ZN9rocsparseL23bsric0_binsearch_kernelILj64ELj64ELb1E21rocsparse_complex_numIdEEEv20rocsparse_direction_iiPKiS5_PT2_S5_PiS5_S8_21rocsparse_index_base_
		.amdhsa_group_segment_fixed_size 0
		.amdhsa_private_segment_fixed_size 0
		.amdhsa_kernarg_size 76
		.amdhsa_user_sgpr_count 15
		.amdhsa_user_sgpr_dispatch_ptr 0
		.amdhsa_user_sgpr_queue_ptr 0
		.amdhsa_user_sgpr_kernarg_segment_ptr 1
		.amdhsa_user_sgpr_dispatch_id 0
		.amdhsa_user_sgpr_private_segment_size 0
		.amdhsa_wavefront_size32 1
		.amdhsa_uses_dynamic_stack 0
		.amdhsa_enable_private_segment 0
		.amdhsa_system_sgpr_workgroup_id_x 1
		.amdhsa_system_sgpr_workgroup_id_y 0
		.amdhsa_system_sgpr_workgroup_id_z 0
		.amdhsa_system_sgpr_workgroup_info 0
		.amdhsa_system_vgpr_workitem_id 0
		.amdhsa_next_free_vgpr 57
		.amdhsa_next_free_sgpr 40
		.amdhsa_reserve_vcc 1
		.amdhsa_float_round_mode_32 0
		.amdhsa_float_round_mode_16_64 0
		.amdhsa_float_denorm_mode_32 3
		.amdhsa_float_denorm_mode_16_64 3
		.amdhsa_dx10_clamp 1
		.amdhsa_ieee_mode 1
		.amdhsa_fp16_overflow 0
		.amdhsa_workgroup_processor_mode 1
		.amdhsa_memory_ordered 1
		.amdhsa_forward_progress 0
		.amdhsa_shared_vgpr_count 0
		.amdhsa_exception_fp_ieee_invalid_op 0
		.amdhsa_exception_fp_denorm_src 0
		.amdhsa_exception_fp_ieee_div_zero 0
		.amdhsa_exception_fp_ieee_overflow 0
		.amdhsa_exception_fp_ieee_underflow 0
		.amdhsa_exception_fp_ieee_inexact 0
		.amdhsa_exception_int_div_zero 0
	.end_amdhsa_kernel
	.section	.text._ZN9rocsparseL23bsric0_binsearch_kernelILj64ELj64ELb1E21rocsparse_complex_numIdEEEv20rocsparse_direction_iiPKiS5_PT2_S5_PiS5_S8_21rocsparse_index_base_,"axG",@progbits,_ZN9rocsparseL23bsric0_binsearch_kernelILj64ELj64ELb1E21rocsparse_complex_numIdEEEv20rocsparse_direction_iiPKiS5_PT2_S5_PiS5_S8_21rocsparse_index_base_,comdat
.Lfunc_end58:
	.size	_ZN9rocsparseL23bsric0_binsearch_kernelILj64ELj64ELb1E21rocsparse_complex_numIdEEEv20rocsparse_direction_iiPKiS5_PT2_S5_PiS5_S8_21rocsparse_index_base_, .Lfunc_end58-_ZN9rocsparseL23bsric0_binsearch_kernelILj64ELj64ELb1E21rocsparse_complex_numIdEEEv20rocsparse_direction_iiPKiS5_PT2_S5_PiS5_S8_21rocsparse_index_base_
                                        ; -- End function
	.section	.AMDGPU.csdata,"",@progbits
; Kernel info:
; codeLenInByte = 4428
; NumSgprs: 42
; NumVgprs: 57
; ScratchSize: 0
; MemoryBound: 0
; FloatMode: 240
; IeeeMode: 1
; LDSByteSize: 0 bytes/workgroup (compile time only)
; SGPRBlocks: 5
; VGPRBlocks: 7
; NumSGPRsForWavesPerEU: 42
; NumVGPRsForWavesPerEU: 57
; Occupancy: 16
; WaveLimiterHint : 1
; COMPUTE_PGM_RSRC2:SCRATCH_EN: 0
; COMPUTE_PGM_RSRC2:USER_SGPR: 15
; COMPUTE_PGM_RSRC2:TRAP_HANDLER: 0
; COMPUTE_PGM_RSRC2:TGID_X_EN: 1
; COMPUTE_PGM_RSRC2:TGID_Y_EN: 0
; COMPUTE_PGM_RSRC2:TGID_Z_EN: 0
; COMPUTE_PGM_RSRC2:TIDIG_COMP_CNT: 0
	.section	.text._ZN9rocsparseL26bsric0_2_8_unrolled_kernelILi1ELi32ELi1E21rocsparse_complex_numIdEEEv20rocsparse_direction_iiPKiS5_PT2_S5_PiS5_S8_21rocsparse_index_base_,"axG",@progbits,_ZN9rocsparseL26bsric0_2_8_unrolled_kernelILi1ELi32ELi1E21rocsparse_complex_numIdEEEv20rocsparse_direction_iiPKiS5_PT2_S5_PiS5_S8_21rocsparse_index_base_,comdat
	.globl	_ZN9rocsparseL26bsric0_2_8_unrolled_kernelILi1ELi32ELi1E21rocsparse_complex_numIdEEEv20rocsparse_direction_iiPKiS5_PT2_S5_PiS5_S8_21rocsparse_index_base_ ; -- Begin function _ZN9rocsparseL26bsric0_2_8_unrolled_kernelILi1ELi32ELi1E21rocsparse_complex_numIdEEEv20rocsparse_direction_iiPKiS5_PT2_S5_PiS5_S8_21rocsparse_index_base_
	.p2align	8
	.type	_ZN9rocsparseL26bsric0_2_8_unrolled_kernelILi1ELi32ELi1E21rocsparse_complex_numIdEEEv20rocsparse_direction_iiPKiS5_PT2_S5_PiS5_S8_21rocsparse_index_base_,@function
_ZN9rocsparseL26bsric0_2_8_unrolled_kernelILi1ELi32ELi1E21rocsparse_complex_numIdEEEv20rocsparse_direction_iiPKiS5_PT2_S5_PiS5_S8_21rocsparse_index_base_: ; @_ZN9rocsparseL26bsric0_2_8_unrolled_kernelILi1ELi32ELi1E21rocsparse_complex_numIdEEEv20rocsparse_direction_iiPKiS5_PT2_S5_PiS5_S8_21rocsparse_index_base_
; %bb.0:
	s_load_b256 s[4:11], s[0:1], 0x28
	s_mov_b32 s12, s15
	s_mov_b32 s13, 0
	s_delay_alu instid0(SALU_CYCLE_1)
	s_lshl_b64 s[2:3], s[12:13], 2
	s_waitcnt lgkmcnt(0)
	s_add_u32 s2, s8, s2
	s_addc_u32 s3, s9, s3
	s_load_b32 s8, s[2:3], 0x0
	s_waitcnt lgkmcnt(0)
	s_ashr_i32 s9, s8, 31
	s_delay_alu instid0(SALU_CYCLE_1) | instskip(NEXT) | instid1(SALU_CYCLE_1)
	s_lshl_b64 s[2:3], s[8:9], 2
	s_add_u32 s14, s4, s2
	s_addc_u32 s15, s5, s3
	s_load_b32 s16, s[14:15], 0x0
	s_load_b32 s9, s[0:1], 0x48
	s_waitcnt lgkmcnt(0)
	s_cmp_lg_u32 s16, -1
	s_cbranch_scc0 .LBB59_53
; %bb.1:
	s_clause 0x1
	s_load_b128 s[12:15], s[0:1], 0x10
	s_load_b64 s[18:19], s[0:1], 0x20
	s_waitcnt lgkmcnt(0)
	s_add_u32 s20, s12, s2
	s_addc_u32 s21, s13, s3
	s_load_b32 s17, s[20:21], 0x0
	s_waitcnt lgkmcnt(0)
	s_sub_i32 s20, s17, s9
	s_delay_alu instid0(SALU_CYCLE_1)
	s_cmp_gt_i32 s20, s16
	s_cbranch_scc1 .LBB59_4
; %bb.2:
	s_not_b32 s22, s9
	s_ashr_i32 s21, s20, 31
	s_add_i32 s17, s22, s17
	s_lshl_b64 s[22:23], s[20:21], 2
	s_movk_i32 s21, 0x100
	s_add_u32 s22, s14, s22
	s_addc_u32 s23, s15, s23
.LBB59_3:                               ; =>This Inner Loop Header: Depth=1
	s_load_b32 s24, s[22:23], 0x0
	s_add_i32 s17, s17, 1
	s_waitcnt lgkmcnt(0)
	s_sub_i32 s24, s24, s9
	s_delay_alu instid0(SALU_CYCLE_1)
	v_dual_mov_b32 v0, s21 :: v_dual_mov_b32 v1, s24
	s_add_i32 s21, s21, 4
	s_add_u32 s22, s22, 4
	s_addc_u32 s23, s23, 0
	s_cmp_ge_i32 s17, s16
	ds_store_b32 v0, v1
	s_cbranch_scc0 .LBB59_3
.LBB59_4:
	v_mov_b32_e32 v0, 0
	s_cmp_ge_i32 s20, s16
	s_delay_alu instid0(VALU_DEP_1)
	v_mov_b32_e32 v1, v0
	v_mov_b32_e32 v2, v0
	;; [unrolled: 1-line block ×3, first 2 shown]
	ds_store_b128 v0, v[0:3] offset:480
	s_waitcnt lgkmcnt(0)
	buffer_gl0_inv
	s_cbranch_scc1 .LBB59_49
; %bb.5:
	s_load_b32 s0, s[0:1], 0x0
	v_mov_b32_e32 v9, 0x1c0
	v_mov_b32_e32 v10, 0x1a0
	;; [unrolled: 1-line block ×4, first 2 shown]
	s_mov_b32 s22, s20
	s_waitcnt lgkmcnt(0)
	s_cmp_lg_u32 s0, 0
	s_cselect_b32 s0, -1, 0
	s_delay_alu instid0(SALU_CYCLE_1)
	s_and_b32 s0, exec_lo, s0
	s_branch .LBB59_9
.LBB59_6:                               ;   in Loop: Header=BB59_9 Depth=1
	v_cndmask_b32_e64 v5, 0, v5, s1
	v_cndmask_b32_e64 v6, 0x3ff00000, v6, s1
	;; [unrolled: 1-line block ×4, first 2 shown]
.LBB59_7:                               ;   in Loop: Header=BB59_9 Depth=1
	s_delay_alu instid0(VALU_DEP_1) | instskip(SKIP_1) | instid1(SALU_CYCLE_1)
	v_mul_f64 v[13:14], v[7:8], v[7:8]
	s_add_i32 s22, s22, 1
	s_cmp_ge_i32 s22, s16
	s_cselect_b32 s1, -1, 0
	s_delay_alu instid0(VALU_DEP_1) | instskip(NEXT) | instid1(VALU_DEP_1)
	v_fma_f64 v[17:18], v[5:6], v[5:6], v[13:14]
	v_div_scale_f64 v[19:20], null, v[17:18], v[17:18], 1.0
	v_div_scale_f64 v[21:22], vcc_lo, 1.0, v[17:18], 1.0
	s_delay_alu instid0(VALU_DEP_2) | instskip(SKIP_2) | instid1(VALU_DEP_1)
	v_rcp_f64_e32 v[13:14], v[19:20]
	s_waitcnt_depctr 0xfff
	v_fma_f64 v[15:16], -v[19:20], v[13:14], 1.0
	v_fma_f64 v[13:14], v[13:14], v[15:16], v[13:14]
	s_delay_alu instid0(VALU_DEP_1) | instskip(NEXT) | instid1(VALU_DEP_1)
	v_fma_f64 v[15:16], -v[19:20], v[13:14], 1.0
	v_fma_f64 v[23:24], v[13:14], v[15:16], v[13:14]
	ds_load_b128 v[13:16], v10
	s_waitcnt lgkmcnt(0)
	v_add_f64 v[3:4], v[3:4], -v[15:16]
	v_add_f64 v[1:2], v[1:2], -v[13:14]
	v_mul_f64 v[25:26], v[21:22], v[23:24]
	s_delay_alu instid0(VALU_DEP_3) | instskip(NEXT) | instid1(VALU_DEP_3)
	v_mul_f64 v[13:14], v[7:8], v[3:4]
	v_mul_f64 v[7:8], v[7:8], -v[1:2]
	s_delay_alu instid0(VALU_DEP_3) | instskip(NEXT) | instid1(VALU_DEP_3)
	v_fma_f64 v[15:16], -v[19:20], v[25:26], v[21:22]
	v_fma_f64 v[1:2], v[1:2], v[5:6], v[13:14]
	s_delay_alu instid0(VALU_DEP_3) | instskip(NEXT) | instid1(VALU_DEP_3)
	v_fma_f64 v[3:4], v[3:4], v[5:6], v[7:8]
	v_div_fmas_f64 v[15:16], v[15:16], v[23:24], v[25:26]
	s_delay_alu instid0(VALU_DEP_1) | instskip(NEXT) | instid1(VALU_DEP_1)
	v_div_fixup_f64 v[13:14], v[15:16], v[17:18], 1.0
	v_mul_f64 v[1:2], v[13:14], v[1:2]
	s_delay_alu instid0(VALU_DEP_4)
	v_mul_f64 v[3:4], v[13:14], v[3:4]
	ds_store_b128 v9, v[1:4]
	s_waitcnt lgkmcnt(0)
	s_waitcnt_vscnt null, 0x0
	buffer_gl0_inv
	ds_load_b128 v[5:8], v9
	ds_load_b128 v[13:16], v12
	s_waitcnt lgkmcnt(0)
	v_fma_f64 v[13:14], v[1:2], v[5:6], v[13:14]
	v_fma_f64 v[5:6], v[3:4], v[5:6], v[15:16]
	s_delay_alu instid0(VALU_DEP_2) | instskip(NEXT) | instid1(VALU_DEP_2)
	v_fma_f64 v[3:4], v[3:4], v[7:8], v[13:14]
	v_fma_f64 v[5:6], v[1:2], -v[7:8], v[5:6]
	ds_store_b128 v12, v[3:6]
	s_waitcnt lgkmcnt(0)
	buffer_gl0_inv
	ds_load_2addr_b64 v[1:4], v9 offset1:1
	s_waitcnt lgkmcnt(0)
	global_store_b128 v0, v[1:4], s[24:25]
	s_waitcnt_vscnt null, 0x0
	buffer_gl1_inv
	buffer_gl0_inv
.LBB59_8:                               ;   in Loop: Header=BB59_9 Depth=1
	s_and_b32 vcc_lo, exec_lo, s1
	s_cbranch_vccnz .LBB59_49
.LBB59_9:                               ; =>This Loop Header: Depth=1
                                        ;     Child Loop BB59_12 Depth 2
                                        ;     Child Loop BB59_23 Depth 2
	;; [unrolled: 1-line block ×6, first 2 shown]
	s_ashr_i32 s23, s22, 31
	s_mov_b32 s1, -1
	s_lshl_b64 s[24:25], s[22:23], 2
	s_delay_alu instid0(SALU_CYCLE_1) | instskip(SKIP_4) | instid1(SALU_CYCLE_1)
	s_add_u32 s24, s14, s24
	s_addc_u32 s25, s15, s25
	s_load_b32 s17, s[24:25], 0x0
	s_waitcnt lgkmcnt(0)
	s_sub_i32 s30, s17, s9
	s_ashr_i32 s31, s30, 31
	s_delay_alu instid0(SALU_CYCLE_1) | instskip(NEXT) | instid1(SALU_CYCLE_1)
	s_lshl_b64 s[28:29], s[30:31], 2
	s_add_u32 s24, s4, s28
	s_addc_u32 s25, s5, s29
	s_load_b32 s26, s[24:25], 0x0
	s_waitcnt lgkmcnt(0)
	s_cmp_eq_u32 s26, -1
	s_cbranch_scc1 .LBB59_8
; %bb.10:                               ;   in Loop: Header=BB59_9 Depth=1
	s_add_u32 s24, s12, s28
	s_addc_u32 s25, s13, s29
	ds_load_b32 v5, v0 offset:256
	s_load_b32 s1, s[24:25], 0x0
	s_lshl_b64 s[24:25], s[22:23], 4
	s_mov_b32 s23, 0
	s_waitcnt lgkmcnt(0)
	v_cmp_ge_i32_e32 vcc_lo, s30, v5
	s_sub_i32 s34, s1, s9
	s_add_u32 s24, s18, s24
	s_addc_u32 s25, s19, s25
	s_cmp_le_i32 s34, s26
	global_load_b128 v[1:4], v0, s[24:25]
	s_cselect_b32 s1, -1, 0
	s_delay_alu instid0(SALU_CYCLE_1) | instskip(NEXT) | instid1(SALU_CYCLE_1)
	s_and_b32 s1, s1, vcc_lo
	s_and_not1_b32 vcc_lo, exec_lo, s1
	s_waitcnt vmcnt(0)
	ds_store_2addr_b64 v9, v[1:2], v[3:4] offset1:1
	s_cbranch_vccnz .LBB59_22
; %bb.11:                               ;   in Loop: Header=BB59_9 Depth=1
	s_mov_b32 s1, 0
	s_mov_b32 s21, 0
.LBB59_12:                              ;   Parent Loop BB59_9 Depth=1
                                        ; =>  This Inner Loop Header: Depth=2
	s_ashr_i32 s35, s34, 31
                                        ; implicit-def: $sgpr33
                                        ; implicit-def: $sgpr31
	s_delay_alu instid0(SALU_CYCLE_1) | instskip(SKIP_4) | instid1(SALU_CYCLE_1)
	s_lshl_b64 s[36:37], s[34:35], 2
	s_mov_b32 s35, -1
	s_add_u32 s36, s14, s36
	s_addc_u32 s37, s15, s37
	s_lshl_b32 s23, s21, 2
	v_mov_b32_e32 v1, s23
	s_load_b32 s23, s[36:37], 0x0
	ds_load_b32 v1, v1 offset:256
	s_waitcnt lgkmcnt(0)
	s_sub_i32 s36, s23, s9
                                        ; implicit-def: $sgpr23
	s_delay_alu instid0(SALU_CYCLE_1)
	v_cmp_ge_i32_e32 vcc_lo, s36, v1
	v_readfirstlane_b32 s27, v1
	s_cbranch_vccz .LBB59_18
; %bb.13:                               ;   in Loop: Header=BB59_12 Depth=2
	s_delay_alu instid0(VALU_DEP_1)
	s_cmp_le_i32 s36, s27
                                        ; implicit-def: $sgpr23
                                        ; implicit-def: $sgpr33
                                        ; implicit-def: $sgpr31
	s_cbranch_scc0 .LBB59_15
; %bb.14:                               ;   in Loop: Header=BB59_12 Depth=2
	s_lshl_b32 s23, s1, 2
	s_add_i32 s31, s21, s20
	s_delay_alu instid0(SALU_CYCLE_1)
	v_dual_mov_b32 v1, s23 :: v_dual_mov_b32 v2, s31
	v_mov_b32_e32 v3, s34
	s_add_i32 s31, s21, 1
	s_add_i32 s33, s34, 1
	;; [unrolled: 1-line block ×3, first 2 shown]
	s_mov_b32 s35, 0
	ds_store_2addr_b32 v1, v3, v2 offset1:32
.LBB59_15:                              ;   in Loop: Header=BB59_12 Depth=2
	s_and_not1_b32 vcc_lo, exec_lo, s35
	s_cbranch_vccnz .LBB59_17
; %bb.16:                               ;   in Loop: Header=BB59_12 Depth=2
	s_add_i32 s31, s21, 1
	s_mov_b32 s23, s1
	s_mov_b32 s33, s34
.LBB59_17:                              ;   in Loop: Header=BB59_12 Depth=2
	s_mov_b32 s35, 0
.LBB59_18:                              ;   in Loop: Header=BB59_12 Depth=2
	s_delay_alu instid0(SALU_CYCLE_1)
	s_and_not1_b32 vcc_lo, exec_lo, s35
	s_cbranch_vccnz .LBB59_20
; %bb.19:                               ;   in Loop: Header=BB59_12 Depth=2
	s_add_i32 s33, s34, 1
	s_mov_b32 s31, s21
	s_mov_b32 s23, s1
.LBB59_20:                              ;   in Loop: Header=BB59_12 Depth=2
	s_cmp_le_i32 s33, s26
	s_cselect_b32 s1, -1, 0
	s_cmp_le_i32 s27, s30
	s_cselect_b32 s21, -1, 0
	s_delay_alu instid0(SALU_CYCLE_1) | instskip(NEXT) | instid1(SALU_CYCLE_1)
	s_and_b32 s1, s1, s21
	s_and_b32 vcc_lo, exec_lo, s1
	s_cbranch_vccz .LBB59_22
; %bb.21:                               ;   in Loop: Header=BB59_12 Depth=2
	s_mov_b32 s1, s23
	s_mov_b32 s34, s33
	;; [unrolled: 1-line block ×3, first 2 shown]
	s_branch .LBB59_12
.LBB59_22:                              ;   in Loop: Header=BB59_9 Depth=1
	s_add_u32 s28, s6, s28
	s_addc_u32 s29, s7, s29
	s_waitcnt lgkmcnt(0)
	buffer_gl0_inv
.LBB59_23:                              ;   Parent Loop BB59_9 Depth=1
                                        ; =>  This Inner Loop Header: Depth=2
	global_load_b32 v1, v0, s[28:29] glc
	s_waitcnt vmcnt(0)
	v_cmp_eq_u32_e32 vcc_lo, 0, v1
	s_cbranch_vccnz .LBB59_23
; %bb.24:                               ;   in Loop: Header=BB59_9 Depth=1
	s_ashr_i32 s27, s26, 31
	buffer_gl1_inv
	buffer_gl0_inv
	s_lshl_b64 s[26:27], s[26:27], 4
	s_mov_b32 vcc_lo, s0
	s_add_u32 s26, s18, s26
	s_addc_u32 s27, s19, s27
	s_add_i32 s21, s23, -1
	global_load_b128 v[1:4], v0, s[26:27]
	s_cmp_gt_i32 s23, 1
	s_cselect_b32 s1, -1, 0
	s_delay_alu instid0(SALU_CYCLE_1) | instskip(NEXT) | instid1(VALU_DEP_1)
	v_cndmask_b32_e64 v5, 0, 1, s1
	v_cmp_ne_u32_e64 s1, 1, v5
	s_waitcnt vmcnt(0)
	ds_store_2addr_b64 v11, v[1:2], v[3:4] offset1:1
	s_waitcnt lgkmcnt(0)
	buffer_gl0_inv
	s_cbranch_vccz .LBB59_30
; %bb.25:                               ;   in Loop: Header=BB59_9 Depth=1
	s_and_b32 vcc_lo, exec_lo, s1
	s_cbranch_vccnz .LBB59_31
; %bb.26:                               ;   in Loop: Header=BB59_9 Depth=1
	s_add_i32 s26, s23, -2
	s_delay_alu instid0(SALU_CYCLE_1)
	s_cmp_lt_u32 s26, 3
	s_cbranch_scc1 .LBB59_32
; %bb.27:                               ;   in Loop: Header=BB59_9 Depth=1
	v_mov_b32_e32 v3, 0
	v_mov_b32_e32 v4, 0
	s_delay_alu instid0(VALU_DEP_2)
	v_mov_b32_e32 v1, v3
	s_and_b32 s26, s21, -4
	s_mov_b32 s27, 0
	s_mov_b32 s28, 0
	v_mov_b32_e32 v2, v4
.LBB59_28:                              ;   Parent Loop BB59_9 Depth=1
                                        ; =>  This Inner Loop Header: Depth=2
	v_mov_b32_e32 v13, s27
	s_add_i32 s28, s28, 4
	s_add_i32 s27, s27, 16
	s_cmp_eq_u32 s26, s28
	ds_load_b128 v[5:8], v13
	ds_load_b128 v[13:16], v13 offset:128
	s_waitcnt lgkmcnt(1)
	v_ashrrev_i32_e32 v18, 31, v5
	v_mov_b32_e32 v17, v5
	s_waitcnt lgkmcnt(0)
	v_ashrrev_i32_e32 v20, 31, v13
	v_mov_b32_e32 v19, v13
	v_ashrrev_i32_e32 v26, 31, v6
	v_mov_b32_e32 v25, v6
	v_lshlrev_b64 v[17:18], 4, v[17:18]
	v_ashrrev_i32_e32 v6, 31, v14
	v_lshlrev_b64 v[19:20], 4, v[19:20]
	v_mov_b32_e32 v5, v14
	v_lshlrev_b64 v[13:14], 4, v[25:26]
	v_add_co_u32 v17, vcc_lo, s18, v17
	v_add_co_ci_u32_e32 v18, vcc_lo, s19, v18, vcc_lo
	v_add_co_u32 v21, vcc_lo, s18, v19
	v_add_co_ci_u32_e32 v22, vcc_lo, s19, v20, vcc_lo
	s_clause 0x1
	global_load_b128 v[17:20], v[17:18], off
	global_load_b128 v[21:24], v[21:22], off
	v_lshlrev_b64 v[5:6], 4, v[5:6]
	v_add_co_u32 v13, vcc_lo, s18, v13
	v_add_co_ci_u32_e32 v14, vcc_lo, s19, v14, vcc_lo
	s_delay_alu instid0(VALU_DEP_3) | instskip(NEXT) | instid1(VALU_DEP_4)
	v_add_co_u32 v5, vcc_lo, s18, v5
	v_add_co_ci_u32_e32 v6, vcc_lo, s19, v6, vcc_lo
	s_clause 0x1
	global_load_b128 v[25:28], v[13:14], off
	global_load_b128 v[29:32], v[5:6], off
	v_ashrrev_i32_e32 v6, 31, v7
	v_mov_b32_e32 v5, v7
	v_ashrrev_i32_e32 v14, 31, v15
	v_mov_b32_e32 v13, v15
	v_mov_b32_e32 v7, v16
	s_delay_alu instid0(VALU_DEP_4) | instskip(NEXT) | instid1(VALU_DEP_3)
	v_lshlrev_b64 v[5:6], 4, v[5:6]
	v_lshlrev_b64 v[13:14], 4, v[13:14]
	s_delay_alu instid0(VALU_DEP_2) | instskip(NEXT) | instid1(VALU_DEP_3)
	v_add_co_u32 v5, vcc_lo, s18, v5
	v_add_co_ci_u32_e32 v6, vcc_lo, s19, v6, vcc_lo
	s_delay_alu instid0(VALU_DEP_3) | instskip(NEXT) | instid1(VALU_DEP_4)
	v_add_co_u32 v13, vcc_lo, s18, v13
	v_add_co_ci_u32_e32 v14, vcc_lo, s19, v14, vcc_lo
	s_clause 0x1
	global_load_b128 v[33:36], v[5:6], off
	global_load_b128 v[37:40], v[13:14], off
	v_ashrrev_i32_e32 v6, 31, v8
	v_mov_b32_e32 v5, v8
	v_ashrrev_i32_e32 v8, 31, v16
	s_delay_alu instid0(VALU_DEP_2) | instskip(NEXT) | instid1(VALU_DEP_2)
	v_lshlrev_b64 v[5:6], 4, v[5:6]
	v_lshlrev_b64 v[7:8], 4, v[7:8]
	s_delay_alu instid0(VALU_DEP_2) | instskip(NEXT) | instid1(VALU_DEP_3)
	v_add_co_u32 v5, vcc_lo, s18, v5
	v_add_co_ci_u32_e32 v6, vcc_lo, s19, v6, vcc_lo
	s_delay_alu instid0(VALU_DEP_3) | instskip(NEXT) | instid1(VALU_DEP_4)
	v_add_co_u32 v13, vcc_lo, s18, v7
	v_add_co_ci_u32_e32 v14, vcc_lo, s19, v8, vcc_lo
	s_clause 0x1
	global_load_b128 v[5:8], v[5:6], off
	global_load_b128 v[13:16], v[13:14], off
	s_waitcnt vmcnt(6)
	v_fma_f64 v[1:2], v[17:18], v[21:22], v[1:2]
	v_fma_f64 v[3:4], v[19:20], v[21:22], v[3:4]
	s_delay_alu instid0(VALU_DEP_2) | instskip(NEXT) | instid1(VALU_DEP_2)
	v_fma_f64 v[1:2], v[19:20], v[23:24], v[1:2]
	v_fma_f64 v[3:4], v[17:18], -v[23:24], v[3:4]
	s_waitcnt vmcnt(4)
	s_delay_alu instid0(VALU_DEP_2) | instskip(NEXT) | instid1(VALU_DEP_2)
	v_fma_f64 v[1:2], v[25:26], v[29:30], v[1:2]
	v_fma_f64 v[3:4], v[27:28], v[29:30], v[3:4]
	s_delay_alu instid0(VALU_DEP_2) | instskip(NEXT) | instid1(VALU_DEP_2)
	v_fma_f64 v[1:2], v[27:28], v[31:32], v[1:2]
	v_fma_f64 v[3:4], v[25:26], -v[31:32], v[3:4]
	s_waitcnt vmcnt(2)
	s_delay_alu instid0(VALU_DEP_2) | instskip(NEXT) | instid1(VALU_DEP_2)
	;; [unrolled: 7-line block ×3, first 2 shown]
	v_fma_f64 v[1:2], v[5:6], v[13:14], v[1:2]
	v_fma_f64 v[3:4], v[7:8], v[13:14], v[3:4]
	s_delay_alu instid0(VALU_DEP_2) | instskip(NEXT) | instid1(VALU_DEP_2)
	v_fma_f64 v[1:2], v[7:8], v[15:16], v[1:2]
	v_fma_f64 v[3:4], v[5:6], -v[15:16], v[3:4]
	s_cbranch_scc0 .LBB59_28
; %bb.29:                               ;   in Loop: Header=BB59_9 Depth=1
	s_and_b32 s27, s21, 3
	s_delay_alu instid0(SALU_CYCLE_1)
	s_cmp_eq_u32 s27, 0
	s_cbranch_scc0 .LBB59_33
	s_branch .LBB59_35
.LBB59_30:                              ;   in Loop: Header=BB59_9 Depth=1
                                        ; implicit-def: $vgpr3_vgpr4
	s_branch .LBB59_36
.LBB59_31:                              ;   in Loop: Header=BB59_9 Depth=1
	v_mov_b32_e32 v3, 0
	v_mov_b32_e32 v4, 0
	s_delay_alu instid0(VALU_DEP_1)
	v_dual_mov_b32 v1, v3 :: v_dual_mov_b32 v2, v4
	s_branch .LBB59_35
.LBB59_32:                              ;   in Loop: Header=BB59_9 Depth=1
	v_mov_b32_e32 v1, 0
	v_mov_b32_e32 v2, 0
	s_mov_b32 s26, 0
	s_delay_alu instid0(VALU_DEP_1) | instskip(SKIP_1) | instid1(SALU_CYCLE_1)
	v_dual_mov_b32 v4, v2 :: v_dual_mov_b32 v3, v1
	s_and_b32 s27, s21, 3
	s_cmp_eq_u32 s27, 0
	s_cbranch_scc1 .LBB59_35
.LBB59_33:                              ;   in Loop: Header=BB59_9 Depth=1
	s_lshl_b32 s26, s26, 2
	s_set_inst_prefetch_distance 0x1
	.p2align	6
.LBB59_34:                              ;   Parent Loop BB59_9 Depth=1
                                        ; =>  This Inner Loop Header: Depth=2
	v_mov_b32_e32 v5, s26
	s_add_i32 s27, s27, -1
	s_add_i32 s26, s26, 4
	s_cmp_lg_u32 s27, 0
	ds_load_2addr_b32 v[5:6], v5 offset1:32
	s_waitcnt lgkmcnt(0)
	v_ashrrev_i32_e32 v8, 31, v5
	v_mov_b32_e32 v7, v5
	v_ashrrev_i32_e32 v14, 31, v6
	v_mov_b32_e32 v13, v6
	s_delay_alu instid0(VALU_DEP_3) | instskip(NEXT) | instid1(VALU_DEP_2)
	v_lshlrev_b64 v[5:6], 4, v[7:8]
	v_lshlrev_b64 v[7:8], 4, v[13:14]
	s_delay_alu instid0(VALU_DEP_2) | instskip(NEXT) | instid1(VALU_DEP_3)
	v_add_co_u32 v5, vcc_lo, s18, v5
	v_add_co_ci_u32_e32 v6, vcc_lo, s19, v6, vcc_lo
	s_delay_alu instid0(VALU_DEP_3) | instskip(NEXT) | instid1(VALU_DEP_4)
	v_add_co_u32 v13, vcc_lo, s18, v7
	v_add_co_ci_u32_e32 v14, vcc_lo, s19, v8, vcc_lo
	s_clause 0x1
	global_load_b128 v[5:8], v[5:6], off
	global_load_b128 v[13:16], v[13:14], off
	s_waitcnt vmcnt(0)
	v_fma_f64 v[1:2], v[5:6], v[13:14], v[1:2]
	v_fma_f64 v[3:4], v[7:8], v[13:14], v[3:4]
	s_delay_alu instid0(VALU_DEP_2) | instskip(NEXT) | instid1(VALU_DEP_2)
	v_fma_f64 v[1:2], v[7:8], v[15:16], v[1:2]
	v_fma_f64 v[3:4], v[5:6], -v[15:16], v[3:4]
	s_cbranch_scc1 .LBB59_34
.LBB59_35:                              ;   in Loop: Header=BB59_9 Depth=1
	s_set_inst_prefetch_distance 0x2
	s_cbranch_execnz .LBB59_45
.LBB59_36:                              ;   in Loop: Header=BB59_9 Depth=1
	s_and_b32 vcc_lo, exec_lo, s1
	s_cbranch_vccnz .LBB59_41
; %bb.37:                               ;   in Loop: Header=BB59_9 Depth=1
	s_add_i32 s1, s23, -2
	s_delay_alu instid0(SALU_CYCLE_1)
	s_cmp_lt_u32 s1, 3
	s_cbranch_scc1 .LBB59_42
; %bb.38:                               ;   in Loop: Header=BB59_9 Depth=1
	v_mov_b32_e32 v3, 0
	v_mov_b32_e32 v4, 0
	s_delay_alu instid0(VALU_DEP_2)
	v_mov_b32_e32 v1, v3
	s_and_b32 s1, s21, -4
	s_mov_b32 s23, 0
	s_mov_b32 s26, 0
	v_mov_b32_e32 v2, v4
.LBB59_39:                              ;   Parent Loop BB59_9 Depth=1
                                        ; =>  This Inner Loop Header: Depth=2
	v_mov_b32_e32 v13, s23
	s_add_i32 s26, s26, 4
	s_add_i32 s23, s23, 16
	s_cmp_lg_u32 s1, s26
	ds_load_b128 v[5:8], v13
	ds_load_b128 v[13:16], v13 offset:128
	s_waitcnt lgkmcnt(1)
	v_ashrrev_i32_e32 v18, 31, v5
	v_mov_b32_e32 v17, v5
	s_waitcnt lgkmcnt(0)
	v_ashrrev_i32_e32 v20, 31, v13
	v_mov_b32_e32 v19, v13
	v_ashrrev_i32_e32 v26, 31, v6
	v_mov_b32_e32 v25, v6
	v_lshlrev_b64 v[17:18], 4, v[17:18]
	v_ashrrev_i32_e32 v6, 31, v14
	v_lshlrev_b64 v[19:20], 4, v[19:20]
	v_mov_b32_e32 v5, v14
	v_lshlrev_b64 v[13:14], 4, v[25:26]
	v_add_co_u32 v17, vcc_lo, s18, v17
	v_add_co_ci_u32_e32 v18, vcc_lo, s19, v18, vcc_lo
	v_add_co_u32 v21, vcc_lo, s18, v19
	v_add_co_ci_u32_e32 v22, vcc_lo, s19, v20, vcc_lo
	s_clause 0x1
	global_load_b128 v[17:20], v[17:18], off
	global_load_b128 v[21:24], v[21:22], off
	v_lshlrev_b64 v[5:6], 4, v[5:6]
	v_add_co_u32 v13, vcc_lo, s18, v13
	v_add_co_ci_u32_e32 v14, vcc_lo, s19, v14, vcc_lo
	s_delay_alu instid0(VALU_DEP_3) | instskip(NEXT) | instid1(VALU_DEP_4)
	v_add_co_u32 v5, vcc_lo, s18, v5
	v_add_co_ci_u32_e32 v6, vcc_lo, s19, v6, vcc_lo
	s_clause 0x1
	global_load_b128 v[25:28], v[13:14], off
	global_load_b128 v[29:32], v[5:6], off
	v_ashrrev_i32_e32 v6, 31, v7
	v_mov_b32_e32 v5, v7
	v_ashrrev_i32_e32 v14, 31, v15
	v_mov_b32_e32 v13, v15
	v_mov_b32_e32 v7, v16
	s_delay_alu instid0(VALU_DEP_4) | instskip(NEXT) | instid1(VALU_DEP_3)
	v_lshlrev_b64 v[5:6], 4, v[5:6]
	v_lshlrev_b64 v[13:14], 4, v[13:14]
	s_delay_alu instid0(VALU_DEP_2) | instskip(NEXT) | instid1(VALU_DEP_3)
	v_add_co_u32 v5, vcc_lo, s18, v5
	v_add_co_ci_u32_e32 v6, vcc_lo, s19, v6, vcc_lo
	s_delay_alu instid0(VALU_DEP_3) | instskip(NEXT) | instid1(VALU_DEP_4)
	v_add_co_u32 v13, vcc_lo, s18, v13
	v_add_co_ci_u32_e32 v14, vcc_lo, s19, v14, vcc_lo
	s_clause 0x1
	global_load_b128 v[33:36], v[5:6], off
	global_load_b128 v[37:40], v[13:14], off
	v_ashrrev_i32_e32 v6, 31, v8
	v_mov_b32_e32 v5, v8
	v_ashrrev_i32_e32 v8, 31, v16
	s_delay_alu instid0(VALU_DEP_2) | instskip(NEXT) | instid1(VALU_DEP_2)
	v_lshlrev_b64 v[5:6], 4, v[5:6]
	v_lshlrev_b64 v[7:8], 4, v[7:8]
	s_delay_alu instid0(VALU_DEP_2) | instskip(NEXT) | instid1(VALU_DEP_3)
	v_add_co_u32 v5, vcc_lo, s18, v5
	v_add_co_ci_u32_e32 v6, vcc_lo, s19, v6, vcc_lo
	s_delay_alu instid0(VALU_DEP_3) | instskip(NEXT) | instid1(VALU_DEP_4)
	v_add_co_u32 v13, vcc_lo, s18, v7
	v_add_co_ci_u32_e32 v14, vcc_lo, s19, v8, vcc_lo
	s_clause 0x1
	global_load_b128 v[5:8], v[5:6], off
	global_load_b128 v[13:16], v[13:14], off
	s_waitcnt vmcnt(6)
	v_fma_f64 v[1:2], v[17:18], v[21:22], v[1:2]
	v_fma_f64 v[3:4], v[19:20], v[21:22], v[3:4]
	s_delay_alu instid0(VALU_DEP_2) | instskip(NEXT) | instid1(VALU_DEP_2)
	v_fma_f64 v[1:2], v[19:20], v[23:24], v[1:2]
	v_fma_f64 v[3:4], v[17:18], -v[23:24], v[3:4]
	s_waitcnt vmcnt(4)
	s_delay_alu instid0(VALU_DEP_2) | instskip(NEXT) | instid1(VALU_DEP_2)
	v_fma_f64 v[1:2], v[25:26], v[29:30], v[1:2]
	v_fma_f64 v[3:4], v[27:28], v[29:30], v[3:4]
	s_delay_alu instid0(VALU_DEP_2) | instskip(NEXT) | instid1(VALU_DEP_2)
	v_fma_f64 v[1:2], v[27:28], v[31:32], v[1:2]
	v_fma_f64 v[3:4], v[25:26], -v[31:32], v[3:4]
	s_waitcnt vmcnt(2)
	s_delay_alu instid0(VALU_DEP_2) | instskip(NEXT) | instid1(VALU_DEP_2)
	;; [unrolled: 7-line block ×3, first 2 shown]
	v_fma_f64 v[1:2], v[5:6], v[13:14], v[1:2]
	v_fma_f64 v[3:4], v[7:8], v[13:14], v[3:4]
	s_delay_alu instid0(VALU_DEP_2) | instskip(NEXT) | instid1(VALU_DEP_2)
	v_fma_f64 v[1:2], v[7:8], v[15:16], v[1:2]
	v_fma_f64 v[3:4], v[5:6], -v[15:16], v[3:4]
	s_cbranch_scc1 .LBB59_39
; %bb.40:                               ;   in Loop: Header=BB59_9 Depth=1
	s_and_b32 s21, s21, 3
	s_delay_alu instid0(SALU_CYCLE_1)
	s_cmp_eq_u32 s21, 0
	s_cbranch_scc0 .LBB59_43
	s_branch .LBB59_45
.LBB59_41:                              ;   in Loop: Header=BB59_9 Depth=1
	v_mov_b32_e32 v3, 0
	v_mov_b32_e32 v4, 0
	s_delay_alu instid0(VALU_DEP_1)
	v_dual_mov_b32 v1, v3 :: v_dual_mov_b32 v2, v4
	s_branch .LBB59_45
.LBB59_42:                              ;   in Loop: Header=BB59_9 Depth=1
	v_mov_b32_e32 v1, 0
	v_mov_b32_e32 v2, 0
	s_mov_b32 s1, 0
	s_delay_alu instid0(VALU_DEP_1) | instskip(SKIP_1) | instid1(SALU_CYCLE_1)
	v_dual_mov_b32 v4, v2 :: v_dual_mov_b32 v3, v1
	s_and_b32 s21, s21, 3
	s_cmp_eq_u32 s21, 0
	s_cbranch_scc1 .LBB59_45
.LBB59_43:                              ;   in Loop: Header=BB59_9 Depth=1
	s_lshl_b32 s1, s1, 2
	s_set_inst_prefetch_distance 0x1
	.p2align	6
.LBB59_44:                              ;   Parent Loop BB59_9 Depth=1
                                        ; =>  This Inner Loop Header: Depth=2
	v_mov_b32_e32 v5, s1
	s_add_i32 s21, s21, -1
	s_add_i32 s1, s1, 4
	s_cmp_eq_u32 s21, 0
	ds_load_2addr_b32 v[5:6], v5 offset1:32
	s_waitcnt lgkmcnt(0)
	v_ashrrev_i32_e32 v8, 31, v5
	v_mov_b32_e32 v7, v5
	v_ashrrev_i32_e32 v14, 31, v6
	v_mov_b32_e32 v13, v6
	s_delay_alu instid0(VALU_DEP_3) | instskip(NEXT) | instid1(VALU_DEP_2)
	v_lshlrev_b64 v[5:6], 4, v[7:8]
	v_lshlrev_b64 v[7:8], 4, v[13:14]
	s_delay_alu instid0(VALU_DEP_2) | instskip(NEXT) | instid1(VALU_DEP_3)
	v_add_co_u32 v5, vcc_lo, s18, v5
	v_add_co_ci_u32_e32 v6, vcc_lo, s19, v6, vcc_lo
	s_delay_alu instid0(VALU_DEP_3) | instskip(NEXT) | instid1(VALU_DEP_4)
	v_add_co_u32 v13, vcc_lo, s18, v7
	v_add_co_ci_u32_e32 v14, vcc_lo, s19, v8, vcc_lo
	s_clause 0x1
	global_load_b128 v[5:8], v[5:6], off
	global_load_b128 v[13:16], v[13:14], off
	s_waitcnt vmcnt(0)
	v_fma_f64 v[1:2], v[5:6], v[13:14], v[1:2]
	v_fma_f64 v[3:4], v[7:8], v[13:14], v[3:4]
	s_delay_alu instid0(VALU_DEP_2) | instskip(NEXT) | instid1(VALU_DEP_2)
	v_fma_f64 v[1:2], v[7:8], v[15:16], v[1:2]
	v_fma_f64 v[3:4], v[5:6], -v[15:16], v[3:4]
	s_cbranch_scc0 .LBB59_44
.LBB59_45:                              ;   in Loop: Header=BB59_9 Depth=1
	s_set_inst_prefetch_distance 0x2
	ds_store_b128 v10, v[1:4]
	s_waitcnt lgkmcnt(0)
	buffer_gl0_inv
	ds_load_b128 v[5:8], v0 offset:384
	ds_load_b128 v[1:4], v9
	s_waitcnt lgkmcnt(1)
	v_cmp_neq_f64_e32 vcc_lo, 0, v[5:6]
	v_cmp_neq_f64_e64 s1, 0, v[7:8]
	s_delay_alu instid0(VALU_DEP_1) | instskip(NEXT) | instid1(SALU_CYCLE_1)
	s_or_b32 s1, vcc_lo, s1
	s_and_not1_b32 vcc_lo, exec_lo, s1
	s_cbranch_vccz .LBB59_6
; %bb.46:                               ;   in Loop: Header=BB59_9 Depth=1
	v_mbcnt_lo_u32_b32 v5, exec_lo, 0
	s_delay_alu instid0(VALU_DEP_1)
	v_cmp_ne_u32_e32 vcc_lo, 0, v5
	s_and_b32 s1, vcc_lo, exec_lo
	s_cbranch_scc1 .LBB59_48
; %bb.47:                               ;   in Loop: Header=BB59_9 Depth=1
	v_mov_b32_e32 v5, s17
	global_atomic_min_i32 v0, v5, s[10:11]
.LBB59_48:                              ;   in Loop: Header=BB59_9 Depth=1
	v_mov_b32_e32 v5, 0
	v_dual_mov_b32 v6, 0x3ff00000 :: v_dual_mov_b32 v7, 0
	v_mov_b32_e32 v8, 0
	s_branch .LBB59_7
.LBB59_49:
	s_ashr_i32 s17, s16, 31
	s_mov_b32 vcc_lo, 0
	s_lshl_b64 s[0:1], s[16:17], 4
	s_delay_alu instid0(SALU_CYCLE_1)
	s_add_u32 s4, s18, s0
	s_addc_u32 s5, s19, s1
	global_load_b128 v[1:4], v0, s[4:5]
	s_waitcnt vmcnt(0)
	ds_store_b128 v0, v[1:4] offset:448
	s_waitcnt lgkmcnt(0)
	buffer_gl0_inv
	s_cbranch_vccnz .LBB59_57
; %bb.50:
	v_mov_b32_e32 v4, 0
	ds_load_b128 v[0:3], v4 offset:448
	ds_load_b128 v[4:7], v4 offset:480
	s_waitcnt lgkmcnt(0)
	v_add_f64 v[0:1], v[0:1], -v[4:5]
	v_add_f64 v[4:5], v[2:3], -v[6:7]
	s_delay_alu instid0(VALU_DEP_2) | instskip(NEXT) | instid1(VALU_DEP_2)
	v_cmp_gt_f64_e32 vcc_lo, 0, v[0:1]
	v_cmp_gt_f64_e64 s0, 0, v[4:5]
	v_xor_b32_e32 v2, 0x80000000, v1
	v_xor_b32_e32 v3, 0x80000000, v5
	s_delay_alu instid0(VALU_DEP_2) | instskip(NEXT) | instid1(VALU_DEP_2)
	v_cndmask_b32_e32 v1, v1, v2, vcc_lo
	v_cndmask_b32_e64 v3, v5, v3, s0
	v_cndmask_b32_e32 v0, v0, v0, vcc_lo
	v_cndmask_b32_e64 v2, v4, v4, s0
	s_delay_alu instid0(VALU_DEP_1)
	v_cmp_ngt_f64_e32 vcc_lo, v[0:1], v[2:3]
	s_cbranch_vccz .LBB59_54
; %bb.51:
	v_cmp_eq_f64_e32 vcc_lo, 0, v[4:5]
	s_cbranch_vccnz .LBB59_72
; %bb.52:
	v_div_scale_f64 v[4:5], null, v[2:3], v[2:3], v[0:1]
	v_div_scale_f64 v[10:11], vcc_lo, v[0:1], v[2:3], v[0:1]
	s_delay_alu instid0(VALU_DEP_2) | instskip(SKIP_2) | instid1(VALU_DEP_1)
	v_rcp_f64_e32 v[6:7], v[4:5]
	s_waitcnt_depctr 0xfff
	v_fma_f64 v[8:9], -v[4:5], v[6:7], 1.0
	v_fma_f64 v[6:7], v[6:7], v[8:9], v[6:7]
	s_delay_alu instid0(VALU_DEP_1) | instskip(NEXT) | instid1(VALU_DEP_1)
	v_fma_f64 v[8:9], -v[4:5], v[6:7], 1.0
	v_fma_f64 v[6:7], v[6:7], v[8:9], v[6:7]
	s_delay_alu instid0(VALU_DEP_1) | instskip(NEXT) | instid1(VALU_DEP_1)
	v_mul_f64 v[8:9], v[10:11], v[6:7]
	v_fma_f64 v[4:5], -v[4:5], v[8:9], v[10:11]
	s_delay_alu instid0(VALU_DEP_1) | instskip(NEXT) | instid1(VALU_DEP_1)
	v_div_fmas_f64 v[4:5], v[4:5], v[6:7], v[8:9]
	v_div_fixup_f64 v[4:5], v[4:5], v[2:3], v[0:1]
	s_delay_alu instid0(VALU_DEP_1) | instskip(NEXT) | instid1(VALU_DEP_1)
	v_fma_f64 v[4:5], v[4:5], v[4:5], 1.0
	v_cmp_gt_f64_e32 vcc_lo, 0x10000000, v[4:5]
	v_cndmask_b32_e64 v6, 0, 1, vcc_lo
	s_and_b32 s0, vcc_lo, exec_lo
	s_cselect_b32 s0, 0xffffff80, 0
	s_delay_alu instid0(VALU_DEP_1) | instskip(NEXT) | instid1(VALU_DEP_1)
	v_lshlrev_b32_e32 v6, 8, v6
	v_ldexp_f64 v[4:5], v[4:5], v6
	s_delay_alu instid0(VALU_DEP_1) | instskip(SKIP_4) | instid1(VALU_DEP_1)
	v_rsq_f64_e32 v[6:7], v[4:5]
	v_cmp_class_f64_e64 vcc_lo, v[4:5], 0x260
	s_waitcnt_depctr 0xfff
	v_mul_f64 v[8:9], v[4:5], v[6:7]
	v_mul_f64 v[6:7], v[6:7], 0.5
	v_fma_f64 v[10:11], -v[6:7], v[8:9], 0.5
	s_delay_alu instid0(VALU_DEP_1) | instskip(SKIP_1) | instid1(VALU_DEP_2)
	v_fma_f64 v[8:9], v[8:9], v[10:11], v[8:9]
	v_fma_f64 v[6:7], v[6:7], v[10:11], v[6:7]
	v_fma_f64 v[10:11], -v[8:9], v[8:9], v[4:5]
	s_delay_alu instid0(VALU_DEP_1) | instskip(NEXT) | instid1(VALU_DEP_1)
	v_fma_f64 v[8:9], v[10:11], v[6:7], v[8:9]
	v_fma_f64 v[10:11], -v[8:9], v[8:9], v[4:5]
	s_delay_alu instid0(VALU_DEP_1) | instskip(NEXT) | instid1(VALU_DEP_1)
	v_fma_f64 v[6:7], v[10:11], v[6:7], v[8:9]
	v_ldexp_f64 v[6:7], v[6:7], s0
	s_delay_alu instid0(VALU_DEP_1) | instskip(NEXT) | instid1(VALU_DEP_1)
	v_dual_cndmask_b32 v5, v7, v5 :: v_dual_cndmask_b32 v4, v6, v4
	v_mul_f64 v[4:5], v[2:3], v[4:5]
	s_cbranch_execz .LBB59_55
	s_branch .LBB59_56
.LBB59_53:
	s_cbranch_execnz .LBB59_65
	s_branch .LBB59_66
.LBB59_54:
                                        ; implicit-def: $vgpr4_vgpr5
.LBB59_55:
	v_div_scale_f64 v[4:5], null, v[0:1], v[0:1], v[2:3]
	v_div_scale_f64 v[10:11], vcc_lo, v[2:3], v[0:1], v[2:3]
	s_delay_alu instid0(VALU_DEP_2) | instskip(SKIP_2) | instid1(VALU_DEP_1)
	v_rcp_f64_e32 v[6:7], v[4:5]
	s_waitcnt_depctr 0xfff
	v_fma_f64 v[8:9], -v[4:5], v[6:7], 1.0
	v_fma_f64 v[6:7], v[6:7], v[8:9], v[6:7]
	s_delay_alu instid0(VALU_DEP_1) | instskip(NEXT) | instid1(VALU_DEP_1)
	v_fma_f64 v[8:9], -v[4:5], v[6:7], 1.0
	v_fma_f64 v[6:7], v[6:7], v[8:9], v[6:7]
	s_delay_alu instid0(VALU_DEP_1) | instskip(NEXT) | instid1(VALU_DEP_1)
	v_mul_f64 v[8:9], v[10:11], v[6:7]
	v_fma_f64 v[4:5], -v[4:5], v[8:9], v[10:11]
	s_delay_alu instid0(VALU_DEP_1) | instskip(NEXT) | instid1(VALU_DEP_1)
	v_div_fmas_f64 v[4:5], v[4:5], v[6:7], v[8:9]
	v_div_fixup_f64 v[2:3], v[4:5], v[0:1], v[2:3]
	s_delay_alu instid0(VALU_DEP_1) | instskip(NEXT) | instid1(VALU_DEP_1)
	v_fma_f64 v[2:3], v[2:3], v[2:3], 1.0
	v_cmp_gt_f64_e32 vcc_lo, 0x10000000, v[2:3]
	v_cndmask_b32_e64 v4, 0, 1, vcc_lo
	s_and_b32 s0, vcc_lo, exec_lo
	s_cselect_b32 s0, 0xffffff80, 0
	s_delay_alu instid0(VALU_DEP_1) | instskip(NEXT) | instid1(VALU_DEP_1)
	v_lshlrev_b32_e32 v4, 8, v4
	v_ldexp_f64 v[2:3], v[2:3], v4
	s_delay_alu instid0(VALU_DEP_1) | instskip(SKIP_4) | instid1(VALU_DEP_1)
	v_rsq_f64_e32 v[4:5], v[2:3]
	v_cmp_class_f64_e64 vcc_lo, v[2:3], 0x260
	s_waitcnt_depctr 0xfff
	v_mul_f64 v[6:7], v[2:3], v[4:5]
	v_mul_f64 v[4:5], v[4:5], 0.5
	v_fma_f64 v[8:9], -v[4:5], v[6:7], 0.5
	s_delay_alu instid0(VALU_DEP_1) | instskip(SKIP_1) | instid1(VALU_DEP_2)
	v_fma_f64 v[6:7], v[6:7], v[8:9], v[6:7]
	v_fma_f64 v[4:5], v[4:5], v[8:9], v[4:5]
	v_fma_f64 v[8:9], -v[6:7], v[6:7], v[2:3]
	s_delay_alu instid0(VALU_DEP_1) | instskip(NEXT) | instid1(VALU_DEP_1)
	v_fma_f64 v[6:7], v[8:9], v[4:5], v[6:7]
	v_fma_f64 v[8:9], -v[6:7], v[6:7], v[2:3]
	s_delay_alu instid0(VALU_DEP_1) | instskip(NEXT) | instid1(VALU_DEP_1)
	v_fma_f64 v[4:5], v[8:9], v[4:5], v[6:7]
	v_ldexp_f64 v[4:5], v[4:5], s0
	s_delay_alu instid0(VALU_DEP_1) | instskip(NEXT) | instid1(VALU_DEP_1)
	v_dual_cndmask_b32 v3, v5, v3 :: v_dual_cndmask_b32 v2, v4, v2
	v_mul_f64 v[4:5], v[0:1], v[2:3]
.LBB59_56:
	s_delay_alu instid0(VALU_DEP_1) | instskip(SKIP_3) | instid1(VALU_DEP_1)
	v_cmp_gt_f64_e32 vcc_lo, 0x10000000, v[4:5]
	v_cndmask_b32_e64 v0, 0, 1, vcc_lo
	s_and_b32 s0, vcc_lo, exec_lo
	s_cselect_b32 s0, 0xffffff80, 0
	v_lshlrev_b32_e32 v0, 8, v0
	s_delay_alu instid0(VALU_DEP_1) | instskip(NEXT) | instid1(VALU_DEP_1)
	v_ldexp_f64 v[0:1], v[4:5], v0
	v_rsq_f64_e32 v[2:3], v[0:1]
	v_cmp_class_f64_e64 vcc_lo, v[0:1], 0x260
	s_waitcnt_depctr 0xfff
	v_mul_f64 v[4:5], v[0:1], v[2:3]
	v_mul_f64 v[2:3], v[2:3], 0.5
	s_delay_alu instid0(VALU_DEP_1) | instskip(NEXT) | instid1(VALU_DEP_1)
	v_fma_f64 v[6:7], -v[2:3], v[4:5], 0.5
	v_fma_f64 v[4:5], v[4:5], v[6:7], v[4:5]
	v_fma_f64 v[2:3], v[2:3], v[6:7], v[2:3]
	s_delay_alu instid0(VALU_DEP_2) | instskip(NEXT) | instid1(VALU_DEP_1)
	v_fma_f64 v[6:7], -v[4:5], v[4:5], v[0:1]
	v_fma_f64 v[4:5], v[6:7], v[2:3], v[4:5]
	s_delay_alu instid0(VALU_DEP_1) | instskip(NEXT) | instid1(VALU_DEP_1)
	v_fma_f64 v[6:7], -v[4:5], v[4:5], v[0:1]
	v_fma_f64 v[2:3], v[6:7], v[2:3], v[4:5]
	s_delay_alu instid0(VALU_DEP_1) | instskip(NEXT) | instid1(VALU_DEP_1)
	v_ldexp_f64 v[3:4], v[2:3], s0
	v_dual_mov_b32 v2, 0 :: v_dual_cndmask_b32 v1, v4, v1
	s_delay_alu instid0(VALU_DEP_1)
	v_dual_cndmask_b32 v0, v3, v0 :: v_dual_mov_b32 v3, v2
	ds_store_b128 v2, v[0:3] offset:448
.LBB59_57:
	v_mov_b32_e32 v0, 0
	s_waitcnt lgkmcnt(0)
	buffer_gl0_inv
	ds_load_b128 v[0:3], v0 offset:448
	s_waitcnt lgkmcnt(0)
	v_cmp_eq_f64_e32 vcc_lo, 0, v[0:1]
	v_cmp_eq_f64_e64 s0, 0, v[2:3]
	s_delay_alu instid0(VALU_DEP_1) | instskip(NEXT) | instid1(SALU_CYCLE_1)
	s_and_b32 s0, vcc_lo, s0
	s_and_not1_b32 vcc_lo, exec_lo, s0
	s_cbranch_vccnz .LBB59_62
; %bb.58:
	s_mov_b32 vcc_lo, 0
	s_cbranch_vccnz .LBB59_61
; %bb.59:
	v_mbcnt_lo_u32_b32 v0, exec_lo, 0
	s_delay_alu instid0(VALU_DEP_1)
	v_cmp_ne_u32_e32 vcc_lo, 0, v0
	s_and_b32 s0, vcc_lo, exec_lo
	s_cbranch_scc1 .LBB59_61
; %bb.60:
	s_add_i32 s0, s8, s9
	s_delay_alu instid0(SALU_CYCLE_1)
	v_dual_mov_b32 v0, 0 :: v_dual_mov_b32 v1, s0
	global_atomic_min_i32 v0, v1, s[10:11]
.LBB59_61:
	v_mov_b32_e32 v0, 0
	v_dual_mov_b32 v1, 0x3ff00000 :: v_dual_mov_b32 v2, 0
	v_mov_b32_e32 v3, 0
.LBB59_62:
	s_mov_b32 s13, -1
	s_mov_b32 vcc_lo, exec_lo
	s_cbranch_vccnz .LBB59_64
; %bb.63:
	s_delay_alu instid0(VALU_DEP_1) | instskip(SKIP_1) | instid1(VALU_DEP_2)
	v_mul_f64 v[4:5], v[2:3], v[2:3]
	v_mov_b32_e32 v22, 0
	v_fma_f64 v[12:13], v[0:1], v[0:1], v[4:5]
	s_delay_alu instid0(VALU_DEP_1) | instskip(SKIP_1) | instid1(VALU_DEP_2)
	v_div_scale_f64 v[14:15], null, v[12:13], v[12:13], 1.0
	v_div_scale_f64 v[16:17], vcc_lo, 1.0, v[12:13], 1.0
	v_rcp_f64_e32 v[4:5], v[14:15]
	s_waitcnt_depctr 0xfff
	v_fma_f64 v[6:7], -v[14:15], v[4:5], 1.0
	s_delay_alu instid0(VALU_DEP_1) | instskip(NEXT) | instid1(VALU_DEP_1)
	v_fma_f64 v[4:5], v[4:5], v[6:7], v[4:5]
	v_fma_f64 v[6:7], -v[14:15], v[4:5], 1.0
	s_delay_alu instid0(VALU_DEP_1)
	v_fma_f64 v[18:19], v[4:5], v[6:7], v[4:5]
	ds_load_b128 v[4:7], v22 offset:448
	ds_load_b128 v[8:11], v22 offset:480
	s_waitcnt lgkmcnt(0)
	v_add_f64 v[6:7], v[6:7], -v[10:11]
	v_add_f64 v[4:5], v[4:5], -v[8:9]
	v_mul_f64 v[20:21], v[16:17], v[18:19]
	s_delay_alu instid0(VALU_DEP_3) | instskip(NEXT) | instid1(VALU_DEP_3)
	v_mul_f64 v[8:9], v[2:3], v[6:7]
	v_mul_f64 v[2:3], v[2:3], -v[4:5]
	s_delay_alu instid0(VALU_DEP_3) | instskip(NEXT) | instid1(VALU_DEP_3)
	v_fma_f64 v[10:11], -v[14:15], v[20:21], v[16:17]
	v_fma_f64 v[4:5], v[4:5], v[0:1], v[8:9]
	s_delay_alu instid0(VALU_DEP_3) | instskip(NEXT) | instid1(VALU_DEP_3)
	v_fma_f64 v[2:3], v[6:7], v[0:1], v[2:3]
	v_div_fmas_f64 v[10:11], v[10:11], v[18:19], v[20:21]
	s_delay_alu instid0(VALU_DEP_1) | instskip(SKIP_1) | instid1(VALU_DEP_2)
	v_div_fixup_f64 v[8:9], v[10:11], v[12:13], 1.0
	v_mov_b32_e32 v12, 0x1e0
	v_mul_f64 v[0:1], v[8:9], v[4:5]
	v_mul_f64 v[2:3], v[8:9], v[2:3]
	ds_store_b128 v22, v[0:3] offset:448
	s_waitcnt lgkmcnt(0)
	s_waitcnt_vscnt null, 0x0
	buffer_gl0_inv
	ds_load_b128 v[4:7], v22 offset:448
	ds_load_b128 v[8:11], v12
	s_waitcnt lgkmcnt(0)
	v_fma_f64 v[8:9], v[0:1], v[4:5], v[8:9]
	v_fma_f64 v[4:5], v[2:3], v[4:5], v[10:11]
	s_delay_alu instid0(VALU_DEP_2) | instskip(NEXT) | instid1(VALU_DEP_2)
	v_fma_f64 v[2:3], v[2:3], v[6:7], v[8:9]
	v_fma_f64 v[4:5], v[0:1], -v[6:7], v[4:5]
	ds_store_b128 v12, v[2:5]
.LBB59_64:
	v_mov_b32_e32 v0, 0x1c0
	s_waitcnt lgkmcnt(0)
	s_waitcnt_vscnt null, 0x0
	buffer_gl0_inv
	v_mov_b32_e32 v4, 0
	ds_load_2addr_b64 v[0:3], v0 offset1:1
	s_waitcnt lgkmcnt(0)
	global_store_b128 v4, v[0:3], s[4:5]
	s_branch .LBB59_66
.LBB59_65:
	s_mov_b32 vcc_lo, exec_lo
	s_cbranch_vccnz .LBB59_69
.LBB59_66:
	s_and_b32 vcc_lo, exec_lo, s13
	s_cbranch_vccz .LBB59_68
.LBB59_67:
	v_dual_mov_b32 v0, 0 :: v_dual_mov_b32 v1, 1
	s_add_u32 s0, s6, s2
	s_addc_u32 s1, s7, s3
	s_waitcnt_vscnt null, 0x0
	global_store_b32 v0, v1, s[0:1]
.LBB59_68:
	s_nop 0
	s_sendmsg sendmsg(MSG_DEALLOC_VGPRS)
	s_endpgm
.LBB59_69:
	v_mbcnt_lo_u32_b32 v0, exec_lo, 0
	s_delay_alu instid0(VALU_DEP_1)
	v_cmp_ne_u32_e32 vcc_lo, 0, v0
	s_and_b32 s0, vcc_lo, exec_lo
	s_cbranch_scc0 .LBB59_71
; %bb.70:
	s_cbranch_execnz .LBB59_67
	s_branch .LBB59_68
.LBB59_71:
	s_add_i32 s0, s8, s9
	s_delay_alu instid0(SALU_CYCLE_1)
	v_dual_mov_b32 v0, 0 :: v_dual_mov_b32 v1, s0
	global_atomic_min_i32 v0, v1, s[10:11]
	s_cbranch_execnz .LBB59_67
	s_branch .LBB59_68
.LBB59_72:
	v_mov_b32_e32 v4, 0
	v_mov_b32_e32 v5, 0
	s_cbranch_execz .LBB59_55
	s_branch .LBB59_56
	.section	.rodata,"a",@progbits
	.p2align	6, 0x0
	.amdhsa_kernel _ZN9rocsparseL26bsric0_2_8_unrolled_kernelILi1ELi32ELi1E21rocsparse_complex_numIdEEEv20rocsparse_direction_iiPKiS5_PT2_S5_PiS5_S8_21rocsparse_index_base_
		.amdhsa_group_segment_fixed_size 512
		.amdhsa_private_segment_fixed_size 0
		.amdhsa_kernarg_size 76
		.amdhsa_user_sgpr_count 15
		.amdhsa_user_sgpr_dispatch_ptr 0
		.amdhsa_user_sgpr_queue_ptr 0
		.amdhsa_user_sgpr_kernarg_segment_ptr 1
		.amdhsa_user_sgpr_dispatch_id 0
		.amdhsa_user_sgpr_private_segment_size 0
		.amdhsa_wavefront_size32 1
		.amdhsa_uses_dynamic_stack 0
		.amdhsa_enable_private_segment 0
		.amdhsa_system_sgpr_workgroup_id_x 1
		.amdhsa_system_sgpr_workgroup_id_y 0
		.amdhsa_system_sgpr_workgroup_id_z 0
		.amdhsa_system_sgpr_workgroup_info 0
		.amdhsa_system_vgpr_workitem_id 0
		.amdhsa_next_free_vgpr 41
		.amdhsa_next_free_sgpr 38
		.amdhsa_reserve_vcc 1
		.amdhsa_float_round_mode_32 0
		.amdhsa_float_round_mode_16_64 0
		.amdhsa_float_denorm_mode_32 3
		.amdhsa_float_denorm_mode_16_64 3
		.amdhsa_dx10_clamp 1
		.amdhsa_ieee_mode 1
		.amdhsa_fp16_overflow 0
		.amdhsa_workgroup_processor_mode 1
		.amdhsa_memory_ordered 1
		.amdhsa_forward_progress 0
		.amdhsa_shared_vgpr_count 0
		.amdhsa_exception_fp_ieee_invalid_op 0
		.amdhsa_exception_fp_denorm_src 0
		.amdhsa_exception_fp_ieee_div_zero 0
		.amdhsa_exception_fp_ieee_overflow 0
		.amdhsa_exception_fp_ieee_underflow 0
		.amdhsa_exception_fp_ieee_inexact 0
		.amdhsa_exception_int_div_zero 0
	.end_amdhsa_kernel
	.section	.text._ZN9rocsparseL26bsric0_2_8_unrolled_kernelILi1ELi32ELi1E21rocsparse_complex_numIdEEEv20rocsparse_direction_iiPKiS5_PT2_S5_PiS5_S8_21rocsparse_index_base_,"axG",@progbits,_ZN9rocsparseL26bsric0_2_8_unrolled_kernelILi1ELi32ELi1E21rocsparse_complex_numIdEEEv20rocsparse_direction_iiPKiS5_PT2_S5_PiS5_S8_21rocsparse_index_base_,comdat
.Lfunc_end59:
	.size	_ZN9rocsparseL26bsric0_2_8_unrolled_kernelILi1ELi32ELi1E21rocsparse_complex_numIdEEEv20rocsparse_direction_iiPKiS5_PT2_S5_PiS5_S8_21rocsparse_index_base_, .Lfunc_end59-_ZN9rocsparseL26bsric0_2_8_unrolled_kernelILi1ELi32ELi1E21rocsparse_complex_numIdEEEv20rocsparse_direction_iiPKiS5_PT2_S5_PiS5_S8_21rocsparse_index_base_
                                        ; -- End function
	.section	.AMDGPU.csdata,"",@progbits
; Kernel info:
; codeLenInByte = 4808
; NumSgprs: 40
; NumVgprs: 41
; ScratchSize: 0
; MemoryBound: 0
; FloatMode: 240
; IeeeMode: 1
; LDSByteSize: 512 bytes/workgroup (compile time only)
; SGPRBlocks: 4
; VGPRBlocks: 5
; NumSGPRsForWavesPerEU: 40
; NumVGPRsForWavesPerEU: 41
; Occupancy: 16
; WaveLimiterHint : 1
; COMPUTE_PGM_RSRC2:SCRATCH_EN: 0
; COMPUTE_PGM_RSRC2:USER_SGPR: 15
; COMPUTE_PGM_RSRC2:TRAP_HANDLER: 0
; COMPUTE_PGM_RSRC2:TGID_X_EN: 1
; COMPUTE_PGM_RSRC2:TGID_Y_EN: 0
; COMPUTE_PGM_RSRC2:TGID_Z_EN: 0
; COMPUTE_PGM_RSRC2:TIDIG_COMP_CNT: 0
	.section	.text._ZN9rocsparseL26bsric0_2_8_unrolled_kernelILi4ELi32ELi2E21rocsparse_complex_numIdEEEv20rocsparse_direction_iiPKiS5_PT2_S5_PiS5_S8_21rocsparse_index_base_,"axG",@progbits,_ZN9rocsparseL26bsric0_2_8_unrolled_kernelILi4ELi32ELi2E21rocsparse_complex_numIdEEEv20rocsparse_direction_iiPKiS5_PT2_S5_PiS5_S8_21rocsparse_index_base_,comdat
	.globl	_ZN9rocsparseL26bsric0_2_8_unrolled_kernelILi4ELi32ELi2E21rocsparse_complex_numIdEEEv20rocsparse_direction_iiPKiS5_PT2_S5_PiS5_S8_21rocsparse_index_base_ ; -- Begin function _ZN9rocsparseL26bsric0_2_8_unrolled_kernelILi4ELi32ELi2E21rocsparse_complex_numIdEEEv20rocsparse_direction_iiPKiS5_PT2_S5_PiS5_S8_21rocsparse_index_base_
	.p2align	8
	.type	_ZN9rocsparseL26bsric0_2_8_unrolled_kernelILi4ELi32ELi2E21rocsparse_complex_numIdEEEv20rocsparse_direction_iiPKiS5_PT2_S5_PiS5_S8_21rocsparse_index_base_,@function
_ZN9rocsparseL26bsric0_2_8_unrolled_kernelILi4ELi32ELi2E21rocsparse_complex_numIdEEEv20rocsparse_direction_iiPKiS5_PT2_S5_PiS5_S8_21rocsparse_index_base_: ; @_ZN9rocsparseL26bsric0_2_8_unrolled_kernelILi4ELi32ELi2E21rocsparse_complex_numIdEEEv20rocsparse_direction_iiPKiS5_PT2_S5_PiS5_S8_21rocsparse_index_base_
; %bb.0:
	s_load_b256 s[4:11], s[0:1], 0x28
	s_mov_b32 s2, s15
	s_mov_b32 s3, 0
	v_and_b32_e32 v12, 0x3ff, v0
	s_lshl_b64 s[12:13], s[2:3], 2
	v_bfe_u32 v13, v0, 10, 10
	s_waitcnt lgkmcnt(0)
	s_add_u32 s8, s8, s12
	s_addc_u32 s9, s9, s13
	s_load_b32 s16, s[8:9], 0x0
	s_waitcnt lgkmcnt(0)
	s_ashr_i32 s17, s16, 31
	s_delay_alu instid0(SALU_CYCLE_1) | instskip(NEXT) | instid1(SALU_CYCLE_1)
	s_lshl_b64 s[8:9], s[16:17], 2
	s_add_u32 s12, s4, s8
	s_addc_u32 s13, s5, s9
	s_load_b32 s26, s[12:13], 0x0
	s_load_b32 s17, s[0:1], 0x48
	s_waitcnt lgkmcnt(0)
	s_cmp_lg_u32 s26, -1
	s_cbranch_scc0 .LBB60_6
; %bb.1:
	s_clause 0x1
	s_load_b128 s[12:15], s[0:1], 0x10
	s_load_b64 s[18:19], s[0:1], 0x20
	v_lshlrev_b32_e32 v18, 1, v13
	s_delay_alu instid0(VALU_DEP_1)
	v_add_nc_u32_e32 v17, v18, v12
	s_waitcnt lgkmcnt(0)
	s_add_u32 s2, s12, s8
	s_addc_u32 s3, s13, s9
	s_load_b32 s2, s[2:3], 0x0
	s_mov_b32 s3, exec_lo
	s_waitcnt lgkmcnt(0)
	s_sub_i32 s27, s2, s17
	s_delay_alu instid0(SALU_CYCLE_1) | instskip(NEXT) | instid1(VALU_DEP_1)
	v_add_nc_u32_e32 v0, s27, v17
	v_cmpx_ge_i32_e64 s26, v0
	s_cbranch_execz .LBB60_4
; %bb.2:
	v_ashrrev_i32_e32 v1, 31, v0
	v_lshlrev_b32_e32 v3, 3, v13
	v_lshlrev_b32_e32 v4, 2, v12
	s_mov_b32 s20, 0
	s_delay_alu instid0(VALU_DEP_3) | instskip(NEXT) | instid1(VALU_DEP_2)
	v_lshlrev_b64 v[1:2], 2, v[0:1]
	v_add3_u32 v3, v3, v4, 0x100
	s_delay_alu instid0(VALU_DEP_2) | instskip(NEXT) | instid1(VALU_DEP_3)
	v_add_co_u32 v1, vcc_lo, s14, v1
	v_add_co_ci_u32_e32 v2, vcc_lo, s15, v2, vcc_lo
.LBB60_3:                               ; =>This Inner Loop Header: Depth=1
	global_load_b32 v4, v[1:2], off
	v_add_nc_u32_e32 v0, 4, v0
	v_add_co_u32 v1, vcc_lo, v1, 16
	v_add_co_ci_u32_e32 v2, vcc_lo, 0, v2, vcc_lo
	s_delay_alu instid0(VALU_DEP_3) | instskip(NEXT) | instid1(VALU_DEP_1)
	v_cmp_lt_i32_e64 s2, s26, v0
	s_or_b32 s20, s2, s20
	s_waitcnt vmcnt(0)
	v_subrev_nc_u32_e32 v4, s17, v4
	ds_store_b32 v3, v4
	v_add_nc_u32_e32 v3, 16, v3
	s_and_not1_b32 exec_lo, exec_lo, s20
	s_cbranch_execnz .LBB60_3
.LBB60_4:
	s_or_b32 exec_lo, exec_lo, s3
	v_dual_mov_b32 v1, 0 :: v_dual_lshlrev_b32 v0, 4, v12
	s_mov_b32 s2, 0
	s_cmp_lt_i32 s27, s26
	s_delay_alu instid0(VALU_DEP_1) | instskip(NEXT) | instid1(VALU_DEP_2)
	v_mad_u32_u24 v16, v13, 48, v0
	v_mov_b32_e32 v2, v1
	v_mov_b32_e32 v3, v1
	;; [unrolled: 1-line block ×3, first 2 shown]
	ds_store_b128 v16, v[1:4] offset:672
	s_waitcnt lgkmcnt(0)
	buffer_gl0_inv
	s_cbranch_scc1 .LBB60_7
; %bb.5:
	v_lshl_add_u32 v19, v12, 1, v13
	v_or_b32_e32 v14, v12, v13
	s_load_b32 s28, s[0:1], 0x0
	v_add_nc_u32_e32 v15, 0x2a0, v16
	s_and_not1_b32 vcc_lo, exec_lo, s2
	s_cbranch_vccz .LBB60_8
	s_branch .LBB60_41
.LBB60_6:
	s_cbranch_execnz .LBB60_70
	s_branch .LBB60_75
.LBB60_7:
                                        ; implicit-def: $vgpr19
                                        ; implicit-def: $vgpr14
	s_load_b32 s28, s[0:1], 0x0
	v_add_nc_u32_e32 v15, 0x2a0, v16
.LBB60_8:
	s_waitcnt lgkmcnt(0)
	s_cmp_eq_u32 s28, 0
	v_mad_u32_u24 v21, v13, 48, 0x240
	s_cselect_b32 vcc_lo, -1, 0
	v_lshlrev_b32_e32 v20, 1, v12
	v_mul_u32_u24_e32 v1, 48, v13
	v_mad_u32_u24 v22, v13, 48, 0x1e0
	v_or_b32_e32 v14, v12, v13
	v_add_nc_u32_e32 v23, v21, v0
	v_dual_mov_b32 v28, 0 :: v_dual_add_nc_u32 v19, v20, v13
	v_add3_u32 v24, v1, v0, 0x180
	v_add_nc_u32_e32 v25, v22, v0
	v_cmp_ne_u32_e64 s0, 0, v14
	v_mad_u32_u24 v26, v12, 48, 0x240
	v_cndmask_b32_e32 v27, v19, v17, vcc_lo
	s_cmp_lg_u32 s28, 0
	s_mov_b32 s2, s27
	s_cselect_b32 s29, -1, 0
	s_branch .LBB60_12
.LBB60_9:                               ;   in Loop: Header=BB60_12 Depth=1
	s_or_b32 exec_lo, exec_lo, s20
	v_mov_b32_e32 v6, 0
	v_dual_mov_b32 v7, 0x3ff00000 :: v_dual_mov_b32 v8, 0
	v_mov_b32_e32 v9, 0
.LBB60_10:                              ;   in Loop: Header=BB60_12 Depth=1
	s_or_b32 exec_lo, exec_lo, s1
	s_delay_alu instid0(VALU_DEP_1) | instskip(SKIP_1) | instid1(SALU_CYCLE_1)
	v_mul_f64 v[10:11], v[8:9], v[8:9]
	s_add_i32 s2, s2, 1
	s_cmp_ge_i32 s2, s26
	s_cselect_b32 s23, -1, 0
	s_delay_alu instid0(VALU_DEP_1) | instskip(NEXT) | instid1(VALU_DEP_1)
	v_fma_f64 v[10:11], v[6:7], v[6:7], v[10:11]
	v_div_scale_f64 v[41:42], null, v[10:11], v[10:11], 1.0
	v_div_scale_f64 v[47:48], vcc_lo, 1.0, v[10:11], 1.0
	s_delay_alu instid0(VALU_DEP_2) | instskip(SKIP_2) | instid1(VALU_DEP_1)
	v_rcp_f64_e32 v[29:30], v[41:42]
	s_waitcnt_depctr 0xfff
	v_fma_f64 v[31:32], -v[41:42], v[29:30], 1.0
	v_fma_f64 v[43:44], v[29:30], v[31:32], v[29:30]
	ds_load_b128 v[29:32], v28 offset:432
	ds_load_b128 v[33:36], v21
	ds_load_b128 v[37:40], v22 offset:16
	s_waitcnt lgkmcnt(0)
	v_fma_f64 v[39:40], v[31:32], v[33:34], v[39:40]
	v_fma_f64 v[33:34], v[29:30], v[33:34], v[37:38]
	v_fma_f64 v[45:46], -v[41:42], v[43:44], 1.0
	s_delay_alu instid0(VALU_DEP_3) | instskip(NEXT) | instid1(VALU_DEP_3)
	v_fma_f64 v[29:30], v[29:30], -v[35:36], v[39:40]
	v_fma_f64 v[31:32], v[31:32], v[35:36], v[33:34]
	s_delay_alu instid0(VALU_DEP_3) | instskip(NEXT) | instid1(VALU_DEP_3)
	v_fma_f64 v[43:44], v[43:44], v[45:46], v[43:44]
	v_add_f64 v[2:3], v[2:3], -v[29:30]
	s_delay_alu instid0(VALU_DEP_3) | instskip(NEXT) | instid1(VALU_DEP_3)
	v_add_f64 v[0:1], v[0:1], -v[31:32]
	v_mul_f64 v[37:38], v[47:48], v[43:44]
	s_delay_alu instid0(VALU_DEP_3) | instskip(NEXT) | instid1(VALU_DEP_3)
	v_mul_f64 v[31:32], v[8:9], v[2:3]
	v_mul_f64 v[8:9], v[8:9], -v[0:1]
	s_delay_alu instid0(VALU_DEP_3) | instskip(NEXT) | instid1(VALU_DEP_3)
	v_fma_f64 v[29:30], -v[41:42], v[37:38], v[47:48]
	v_fma_f64 v[0:1], v[0:1], v[6:7], v[31:32]
	s_delay_alu instid0(VALU_DEP_3) | instskip(NEXT) | instid1(VALU_DEP_3)
	v_fma_f64 v[2:3], v[2:3], v[6:7], v[8:9]
	v_div_fmas_f64 v[29:30], v[29:30], v[43:44], v[37:38]
	s_delay_alu instid0(VALU_DEP_1) | instskip(NEXT) | instid1(VALU_DEP_1)
	v_div_fixup_f64 v[10:11], v[29:30], v[10:11], 1.0
	v_mul_f64 v[0:1], v[10:11], v[0:1]
	s_delay_alu instid0(VALU_DEP_4)
	v_mul_f64 v[2:3], v[10:11], v[2:3]
	ds_store_b128 v21, v[0:3] offset:16
	s_waitcnt lgkmcnt(0)
	s_waitcnt_vscnt null, 0x0
	buffer_gl0_inv
	ds_load_b128 v[6:9], v26 offset:16
	ds_load_b128 v[29:32], v15
	s_waitcnt lgkmcnt(0)
	v_fma_f64 v[10:11], v[0:1], v[6:7], v[29:30]
	v_fma_f64 v[29:30], v[2:3], v[6:7], v[31:32]
	s_delay_alu instid0(VALU_DEP_2) | instskip(NEXT) | instid1(VALU_DEP_2)
	v_fma_f64 v[6:7], v[2:3], v[8:9], v[10:11]
	v_fma_f64 v[8:9], v[0:1], -v[8:9], v[29:30]
	ds_store_b128 v15, v[6:9]
	s_waitcnt lgkmcnt(0)
	buffer_gl0_inv
	ds_load_2addr_b64 v[0:3], v23 offset1:1
	s_waitcnt lgkmcnt(0)
	global_store_b128 v[4:5], v[0:3], off
	s_waitcnt_vscnt null, 0x0
	buffer_gl1_inv
	buffer_gl0_inv
.LBB60_11:                              ;   in Loop: Header=BB60_12 Depth=1
	s_and_b32 vcc_lo, exec_lo, s23
	s_cbranch_vccnz .LBB60_41
.LBB60_12:                              ; =>This Loop Header: Depth=1
                                        ;     Child Loop BB60_15 Depth 2
                                        ;     Child Loop BB60_26 Depth 2
	s_ashr_i32 s3, s2, 31
	s_delay_alu instid0(SALU_CYCLE_1) | instskip(NEXT) | instid1(SALU_CYCLE_1)
	s_lshl_b64 s[20:21], s[2:3], 2
	s_add_u32 s20, s14, s20
	s_addc_u32 s21, s15, s21
	s_load_b32 s3, s[20:21], 0x0
	s_waitcnt lgkmcnt(0)
	s_sub_i32 s22, s3, s17
	s_delay_alu instid0(SALU_CYCLE_1) | instskip(NEXT) | instid1(SALU_CYCLE_1)
	s_ashr_i32 s23, s22, 31
	s_lshl_b64 s[20:21], s[22:23], 2
	s_mov_b32 s23, -1
	s_add_u32 s24, s4, s20
	s_addc_u32 s25, s5, s21
	s_load_b32 s1, s[24:25], 0x0
	s_waitcnt lgkmcnt(0)
	s_cmp_eq_u32 s1, -1
	s_cbranch_scc1 .LBB60_11
; %bb.13:                               ;   in Loop: Header=BB60_12 Depth=1
	v_lshl_add_u32 v0, s2, 2, v27
	s_add_u32 s24, s12, s20
	s_addc_u32 s25, s13, s21
	ds_load_b32 v6, v28 offset:256
	s_load_b32 s23, s[24:25], 0x0
	v_ashrrev_i32_e32 v1, 31, v0
	s_delay_alu instid0(VALU_DEP_1) | instskip(NEXT) | instid1(VALU_DEP_1)
	v_lshlrev_b64 v[0:1], 4, v[0:1]
	v_add_co_u32 v4, vcc_lo, s18, v0
	s_delay_alu instid0(VALU_DEP_2) | instskip(SKIP_4) | instid1(SALU_CYCLE_1)
	v_add_co_ci_u32_e32 v5, vcc_lo, s19, v1, vcc_lo
	s_waitcnt lgkmcnt(0)
	v_cmp_ge_i32_e32 vcc_lo, s22, v6
	global_load_b128 v[0:3], v[4:5], off
	s_sub_i32 s24, s23, s17
	s_cmp_le_i32 s24, s1
	s_cselect_b32 s23, -1, 0
	s_delay_alu instid0(SALU_CYCLE_1) | instskip(NEXT) | instid1(SALU_CYCLE_1)
	s_and_b32 s23, s23, vcc_lo
	s_and_not1_b32 vcc_lo, exec_lo, s23
	s_mov_b32 s23, 0
	s_waitcnt vmcnt(0)
	ds_store_2addr_b64 v23, v[0:1], v[2:3] offset1:1
	s_cbranch_vccnz .LBB60_25
; %bb.14:                               ;   in Loop: Header=BB60_12 Depth=1
	s_mov_b32 s30, 0
	s_mov_b32 s31, 0
.LBB60_15:                              ;   Parent Loop BB60_12 Depth=1
                                        ; =>  This Inner Loop Header: Depth=2
	s_ashr_i32 s25, s24, 31
                                        ; implicit-def: $sgpr33
	s_delay_alu instid0(SALU_CYCLE_1) | instskip(NEXT) | instid1(SALU_CYCLE_1)
	s_lshl_b64 s[34:35], s[24:25], 2
	s_add_u32 s34, s14, s34
	s_addc_u32 s35, s15, s35
	s_lshl_b32 s23, s31, 2
	s_delay_alu instid0(SALU_CYCLE_1)
	v_mov_b32_e32 v0, s23
	s_load_b32 s23, s[34:35], 0x0
	s_mov_b32 s35, -1
                                        ; implicit-def: $sgpr34
	ds_load_b32 v0, v0 offset:256
	s_waitcnt lgkmcnt(0)
	s_sub_i32 s36, s23, s17
                                        ; implicit-def: $sgpr23
	s_delay_alu instid0(SALU_CYCLE_1)
	v_cmp_ge_i32_e32 vcc_lo, s36, v0
	v_readfirstlane_b32 s25, v0
	s_cbranch_vccz .LBB60_21
; %bb.16:                               ;   in Loop: Header=BB60_15 Depth=2
	s_delay_alu instid0(VALU_DEP_1)
	s_cmp_le_i32 s36, s25
                                        ; implicit-def: $sgpr23
                                        ; implicit-def: $sgpr34
                                        ; implicit-def: $sgpr33
	s_cbranch_scc0 .LBB60_18
; %bb.17:                               ;   in Loop: Header=BB60_15 Depth=2
	s_add_i32 s23, s31, s27
	s_lshl_b32 s33, s30, 2
	s_lshl_b32 s23, s23, 2
	s_delay_alu instid0(SALU_CYCLE_1)
	v_dual_mov_b32 v0, s33 :: v_dual_mov_b32 v1, s23
	s_lshl_b32 s33, s24, 2
	s_add_i32 s34, s24, 1
	v_mov_b32_e32 v2, s33
	s_add_i32 s33, s31, 1
	s_add_i32 s23, s30, 1
	s_mov_b32 s35, 0
	ds_store_2addr_b32 v0, v2, v1 offset1:32
.LBB60_18:                              ;   in Loop: Header=BB60_15 Depth=2
	s_and_not1_b32 vcc_lo, exec_lo, s35
	s_cbranch_vccnz .LBB60_20
; %bb.19:                               ;   in Loop: Header=BB60_15 Depth=2
	s_add_i32 s33, s31, 1
	s_mov_b32 s23, s30
	s_mov_b32 s34, s24
.LBB60_20:                              ;   in Loop: Header=BB60_15 Depth=2
	s_mov_b32 s35, 0
.LBB60_21:                              ;   in Loop: Header=BB60_15 Depth=2
	s_delay_alu instid0(SALU_CYCLE_1)
	s_and_not1_b32 vcc_lo, exec_lo, s35
	s_cbranch_vccnz .LBB60_23
; %bb.22:                               ;   in Loop: Header=BB60_15 Depth=2
	s_add_i32 s34, s24, 1
	s_mov_b32 s33, s31
	s_mov_b32 s23, s30
.LBB60_23:                              ;   in Loop: Header=BB60_15 Depth=2
	s_cmp_le_i32 s34, s1
	s_cselect_b32 s24, -1, 0
	s_cmp_le_i32 s25, s22
	s_cselect_b32 s25, -1, 0
	s_delay_alu instid0(SALU_CYCLE_1) | instskip(NEXT) | instid1(SALU_CYCLE_1)
	s_and_b32 s24, s24, s25
	s_and_b32 vcc_lo, exec_lo, s24
	s_cbranch_vccz .LBB60_25
; %bb.24:                               ;   in Loop: Header=BB60_15 Depth=2
	s_mov_b32 s30, s23
	s_mov_b32 s24, s34
	;; [unrolled: 1-line block ×3, first 2 shown]
	s_branch .LBB60_15
.LBB60_25:                              ;   in Loop: Header=BB60_12 Depth=1
	s_add_u32 s20, s6, s20
	s_addc_u32 s21, s7, s21
	s_waitcnt lgkmcnt(0)
	buffer_gl0_inv
.LBB60_26:                              ;   Parent Loop BB60_12 Depth=1
                                        ; =>  This Inner Loop Header: Depth=2
	global_load_b32 v0, v28, s[20:21] glc
	s_waitcnt vmcnt(0)
	v_cmp_eq_u32_e32 vcc_lo, 0, v0
	s_cbranch_vccnz .LBB60_26
; %bb.27:                               ;   in Loop: Header=BB60_12 Depth=1
	v_lshl_add_u32 v0, s1, 2, v27
	buffer_gl1_inv
	buffer_gl0_inv
	v_mov_b32_e32 v2, 0
	v_mov_b32_e32 v3, 0
	s_cmp_lt_i32 s23, 2
	v_ashrrev_i32_e32 v1, 31, v0
	s_delay_alu instid0(VALU_DEP_1) | instskip(NEXT) | instid1(VALU_DEP_1)
	v_lshlrev_b64 v[0:1], 4, v[0:1]
	v_add_co_u32 v0, vcc_lo, s18, v0
	s_delay_alu instid0(VALU_DEP_2)
	v_add_co_ci_u32_e32 v1, vcc_lo, s19, v1, vcc_lo
	global_load_b128 v[6:9], v[0:1], off
	v_dual_mov_b32 v0, v2 :: v_dual_mov_b32 v1, v3
	s_waitcnt vmcnt(0)
	ds_store_2addr_b64 v24, v[6:7], v[8:9] offset1:1
	s_waitcnt lgkmcnt(0)
	buffer_gl0_inv
	s_cbranch_scc1 .LBB60_34
; %bb.28:                               ;   in Loop: Header=BB60_12 Depth=1
	v_mov_b32_e32 v6, 0
	v_mov_b32_e32 v7, 0
	s_add_i32 s1, s23, -1
	s_mov_b32 s20, 0
	s_delay_alu instid0(VALU_DEP_1)
	v_dual_mov_b32 v9, v7 :: v_dual_mov_b32 v8, v6
	v_mov_b32_e32 v0, s20
	s_and_b32 vcc_lo, exec_lo, s29
	ds_load_2addr_b32 v[10:11], v0 offset1:32
	s_cbranch_vccz .LBB60_30
.LBB60_29:                              ;   in Loop: Header=BB60_12 Depth=1
	s_waitcnt lgkmcnt(0)
	v_add_nc_u32_e32 v33, v10, v12
	v_add_nc_u32_e32 v35, v11, v13
	s_delay_alu instid0(VALU_DEP_2) | instskip(NEXT) | instid1(VALU_DEP_2)
	v_ashrrev_i32_e32 v34, 31, v33
	v_ashrrev_i32_e32 v36, 31, v35
	s_delay_alu instid0(VALU_DEP_2) | instskip(NEXT) | instid1(VALU_DEP_2)
	v_lshlrev_b64 v[0:1], 4, v[33:34]
	v_lshlrev_b64 v[2:3], 4, v[35:36]
	v_add_nc_u32_e32 v33, 2, v33
	v_add_nc_u32_e32 v35, 2, v35
	s_delay_alu instid0(VALU_DEP_4)
	v_add_co_u32 v0, vcc_lo, s18, v0
	v_add_co_ci_u32_e32 v1, vcc_lo, s19, v1, vcc_lo
	v_add_co_u32 v29, vcc_lo, s18, v2
	v_add_co_ci_u32_e32 v30, vcc_lo, s19, v3, vcc_lo
	v_ashrrev_i32_e32 v34, 31, v33
	s_clause 0x1
	global_load_b128 v[0:3], v[0:1], off
	global_load_b128 v[29:32], v[29:30], off
	v_ashrrev_i32_e32 v36, 31, v35
	v_lshlrev_b64 v[33:34], 4, v[33:34]
	s_delay_alu instid0(VALU_DEP_2) | instskip(NEXT) | instid1(VALU_DEP_2)
	v_lshlrev_b64 v[35:36], 4, v[35:36]
	v_add_co_u32 v33, vcc_lo, s18, v33
	s_delay_alu instid0(VALU_DEP_3) | instskip(NEXT) | instid1(VALU_DEP_3)
	v_add_co_ci_u32_e32 v34, vcc_lo, s19, v34, vcc_lo
	v_add_co_u32 v37, vcc_lo, s18, v35
	s_delay_alu instid0(VALU_DEP_4)
	v_add_co_ci_u32_e32 v38, vcc_lo, s19, v36, vcc_lo
	s_clause 0x1
	global_load_b128 v[33:36], v[33:34], off
	global_load_b128 v[37:40], v[37:38], off
	s_waitcnt vmcnt(2)
	v_fma_f64 v[41:42], v[0:1], v[29:30], v[8:9]
	v_fma_f64 v[29:30], v[2:3], v[29:30], v[6:7]
	s_delay_alu instid0(VALU_DEP_2) | instskip(NEXT) | instid1(VALU_DEP_2)
	v_fma_f64 v[2:3], v[2:3], v[31:32], v[41:42]
	v_fma_f64 v[0:1], v[0:1], -v[31:32], v[29:30]
	s_waitcnt vmcnt(0)
	s_delay_alu instid0(VALU_DEP_2) | instskip(NEXT) | instid1(VALU_DEP_2)
	v_fma_f64 v[2:3], v[33:34], v[37:38], v[2:3]
	v_fma_f64 v[29:30], v[35:36], v[37:38], v[0:1]
	s_delay_alu instid0(VALU_DEP_2) | instskip(NEXT) | instid1(VALU_DEP_2)
	v_fma_f64 v[0:1], v[35:36], v[39:40], v[2:3]
	v_fma_f64 v[2:3], v[33:34], -v[39:40], v[29:30]
	s_cbranch_execz .LBB60_31
	s_branch .LBB60_32
.LBB60_30:                              ;   in Loop: Header=BB60_12 Depth=1
                                        ; implicit-def: $vgpr2_vgpr3
.LBB60_31:                              ;   in Loop: Header=BB60_12 Depth=1
	s_waitcnt lgkmcnt(0)
	v_add_nc_u32_e32 v0, v10, v20
	v_add_nc_u32_e32 v2, v11, v18
	s_delay_alu instid0(VALU_DEP_2) | instskip(NEXT) | instid1(VALU_DEP_2)
	v_ashrrev_i32_e32 v1, 31, v0
	v_ashrrev_i32_e32 v3, 31, v2
	s_delay_alu instid0(VALU_DEP_2) | instskip(NEXT) | instid1(VALU_DEP_2)
	v_lshlrev_b64 v[0:1], 4, v[0:1]
	v_lshlrev_b64 v[2:3], 4, v[2:3]
	s_delay_alu instid0(VALU_DEP_2) | instskip(NEXT) | instid1(VALU_DEP_3)
	v_add_co_u32 v10, vcc_lo, s18, v0
	v_add_co_ci_u32_e32 v11, vcc_lo, s19, v1, vcc_lo
	s_delay_alu instid0(VALU_DEP_3) | instskip(NEXT) | instid1(VALU_DEP_4)
	v_add_co_u32 v37, vcc_lo, s18, v2
	v_add_co_ci_u32_e32 v38, vcc_lo, s19, v3, vcc_lo
	s_clause 0x3
	global_load_b128 v[0:3], v[10:11], off
	global_load_b128 v[29:32], v[37:38], off
	global_load_b128 v[33:36], v[10:11], off offset:16
	global_load_b128 v[37:40], v[37:38], off offset:16
	s_waitcnt vmcnt(2)
	v_fma_f64 v[8:9], v[0:1], v[29:30], v[8:9]
	v_fma_f64 v[6:7], v[2:3], v[29:30], v[6:7]
	s_delay_alu instid0(VALU_DEP_2) | instskip(NEXT) | instid1(VALU_DEP_2)
	v_fma_f64 v[2:3], v[2:3], v[31:32], v[8:9]
	v_fma_f64 v[0:1], v[0:1], -v[31:32], v[6:7]
	s_waitcnt vmcnt(0)
	s_delay_alu instid0(VALU_DEP_2) | instskip(NEXT) | instid1(VALU_DEP_2)
	v_fma_f64 v[2:3], v[33:34], v[37:38], v[2:3]
	v_fma_f64 v[6:7], v[35:36], v[37:38], v[0:1]
	s_delay_alu instid0(VALU_DEP_2) | instskip(NEXT) | instid1(VALU_DEP_2)
	v_fma_f64 v[0:1], v[35:36], v[39:40], v[2:3]
	v_fma_f64 v[2:3], v[33:34], -v[39:40], v[6:7]
.LBB60_32:                              ;   in Loop: Header=BB60_12 Depth=1
	s_add_i32 s1, s1, -1
	s_add_i32 s20, s20, 4
	s_cmp_eq_u32 s1, 0
	s_cbranch_scc1 .LBB60_34
; %bb.33:                               ;   in Loop: Header=BB60_12 Depth=1
	s_delay_alu instid0(VALU_DEP_1) | instskip(NEXT) | instid1(VALU_DEP_3)
	v_dual_mov_b32 v7, v3 :: v_dual_mov_b32 v6, v2
	v_dual_mov_b32 v9, v1 :: v_dual_mov_b32 v8, v0
	v_mov_b32_e32 v0, s20
	s_and_b32 vcc_lo, exec_lo, s29
	s_waitcnt lgkmcnt(0)
	ds_load_2addr_b32 v[10:11], v0 offset1:32
	s_cbranch_vccz .LBB60_30
	s_branch .LBB60_29
.LBB60_34:                              ;   in Loop: Header=BB60_12 Depth=1
	ds_store_b128 v25, v[0:3]
	s_waitcnt lgkmcnt(0)
	buffer_gl0_inv
	ds_load_b128 v[6:9], v28 offset:384
	ds_load_b128 v[0:3], v21
	s_waitcnt lgkmcnt(1)
	v_cmp_neq_f64_e32 vcc_lo, 0, v[6:7]
	v_cmp_neq_f64_e64 s1, 0, v[8:9]
	s_delay_alu instid0(VALU_DEP_1) | instskip(SKIP_4) | instid1(SALU_CYCLE_1)
	s_or_b32 vcc_lo, vcc_lo, s1
	v_cndmask_b32_e32 v7, 0x3ff00000, v7, vcc_lo
	v_dual_cndmask_b32 v6, 0, v6 :: v_dual_cndmask_b32 v9, 0, v9
	v_cndmask_b32_e32 v8, 0, v8, vcc_lo
	s_or_b32 s1, vcc_lo, s0
	s_xor_b32 s20, s1, -1
	s_delay_alu instid0(SALU_CYCLE_1)
	s_and_saveexec_b32 s1, s20
	s_cbranch_execz .LBB60_38
; %bb.35:                               ;   in Loop: Header=BB60_12 Depth=1
	v_mbcnt_lo_u32_b32 v6, exec_lo, 0
	s_mov_b32 s20, exec_lo
	s_delay_alu instid0(VALU_DEP_1)
	v_cmpx_eq_u32_e32 0, v6
	s_cbranch_execz .LBB60_37
; %bb.36:                               ;   in Loop: Header=BB60_12 Depth=1
	v_mov_b32_e32 v6, s3
	global_atomic_min_i32 v28, v6, s[10:11]
.LBB60_37:                              ;   in Loop: Header=BB60_12 Depth=1
	s_or_b32 exec_lo, exec_lo, s20
	v_mov_b32_e32 v6, 0
	v_dual_mov_b32 v7, 0x3ff00000 :: v_dual_mov_b32 v8, 0
	v_mov_b32_e32 v9, 0
.LBB60_38:                              ;   in Loop: Header=BB60_12 Depth=1
	s_or_b32 exec_lo, exec_lo, s1
	s_delay_alu instid0(VALU_DEP_1) | instskip(NEXT) | instid1(VALU_DEP_1)
	v_mul_f64 v[10:11], v[8:9], v[8:9]
	v_fma_f64 v[10:11], v[6:7], v[6:7], v[10:11]
	s_delay_alu instid0(VALU_DEP_1) | instskip(SKIP_1) | instid1(VALU_DEP_2)
	v_div_scale_f64 v[33:34], null, v[10:11], v[10:11], 1.0
	v_div_scale_f64 v[35:36], vcc_lo, 1.0, v[10:11], 1.0
	v_rcp_f64_e32 v[29:30], v[33:34]
	s_waitcnt_depctr 0xfff
	v_fma_f64 v[31:32], -v[33:34], v[29:30], 1.0
	s_delay_alu instid0(VALU_DEP_1) | instskip(NEXT) | instid1(VALU_DEP_1)
	v_fma_f64 v[29:30], v[29:30], v[31:32], v[29:30]
	v_fma_f64 v[31:32], -v[33:34], v[29:30], 1.0
	s_delay_alu instid0(VALU_DEP_1)
	v_fma_f64 v[37:38], v[29:30], v[31:32], v[29:30]
	ds_load_b128 v[29:32], v22
	s_waitcnt lgkmcnt(0)
	v_add_f64 v[2:3], v[2:3], -v[31:32]
	v_add_f64 v[0:1], v[0:1], -v[29:30]
	v_mul_f64 v[39:40], v[35:36], v[37:38]
	s_delay_alu instid0(VALU_DEP_3) | instskip(NEXT) | instid1(VALU_DEP_3)
	v_mul_f64 v[29:30], v[8:9], v[2:3]
	v_mul_f64 v[8:9], v[8:9], -v[0:1]
	s_delay_alu instid0(VALU_DEP_3) | instskip(NEXT) | instid1(VALU_DEP_3)
	v_fma_f64 v[31:32], -v[33:34], v[39:40], v[35:36]
	v_fma_f64 v[0:1], v[0:1], v[6:7], v[29:30]
	s_delay_alu instid0(VALU_DEP_3) | instskip(NEXT) | instid1(VALU_DEP_3)
	v_fma_f64 v[2:3], v[2:3], v[6:7], v[8:9]
	v_div_fmas_f64 v[31:32], v[31:32], v[37:38], v[39:40]
	s_delay_alu instid0(VALU_DEP_1) | instskip(NEXT) | instid1(VALU_DEP_1)
	v_div_fixup_f64 v[10:11], v[31:32], v[10:11], 1.0
	v_mul_f64 v[0:1], v[10:11], v[0:1]
	s_delay_alu instid0(VALU_DEP_4)
	v_mul_f64 v[2:3], v[10:11], v[2:3]
	ds_store_b128 v21, v[0:3]
	s_waitcnt lgkmcnt(0)
	s_waitcnt_vscnt null, 0x0
	buffer_gl0_inv
	ds_load_b128 v[6:9], v26
	ds_load_b128 v[29:32], v15
	s_waitcnt lgkmcnt(0)
	v_fma_f64 v[10:11], v[0:1], v[6:7], v[29:30]
	v_fma_f64 v[29:30], v[2:3], v[6:7], v[31:32]
	s_delay_alu instid0(VALU_DEP_2) | instskip(NEXT) | instid1(VALU_DEP_2)
	v_fma_f64 v[6:7], v[2:3], v[8:9], v[10:11]
	v_fma_f64 v[8:9], v[0:1], -v[8:9], v[29:30]
	ds_store_b128 v15, v[6:9]
	s_waitcnt lgkmcnt(0)
	buffer_gl0_inv
	ds_load_b128 v[6:9], v28 offset:448
	ds_load_b128 v[0:3], v21 offset:16
	s_waitcnt lgkmcnt(1)
	v_cmp_neq_f64_e32 vcc_lo, 0, v[6:7]
	v_cmp_neq_f64_e64 s1, 0, v[8:9]
	s_delay_alu instid0(VALU_DEP_1) | instskip(SKIP_4) | instid1(SALU_CYCLE_1)
	s_or_b32 vcc_lo, vcc_lo, s1
	v_cndmask_b32_e32 v7, 0x3ff00000, v7, vcc_lo
	v_dual_cndmask_b32 v6, 0, v6 :: v_dual_cndmask_b32 v9, 0, v9
	v_cndmask_b32_e32 v8, 0, v8, vcc_lo
	s_or_b32 s1, vcc_lo, s0
	s_xor_b32 s20, s1, -1
	s_delay_alu instid0(SALU_CYCLE_1)
	s_and_saveexec_b32 s1, s20
	s_cbranch_execz .LBB60_10
; %bb.39:                               ;   in Loop: Header=BB60_12 Depth=1
	v_mbcnt_lo_u32_b32 v6, exec_lo, 0
	s_mov_b32 s20, exec_lo
	s_delay_alu instid0(VALU_DEP_1)
	v_cmpx_eq_u32_e32 0, v6
	s_cbranch_execz .LBB60_9
; %bb.40:                               ;   in Loop: Header=BB60_12 Depth=1
	v_mov_b32_e32 v6, s3
	global_atomic_min_i32 v28, v6, s[10:11]
	s_branch .LBB60_9
.LBB60_41:
	s_waitcnt lgkmcnt(0)
	s_cmp_eq_u32 s28, 0
	v_cmp_ne_u32_e64 s1, 0, v13
	s_cselect_b32 vcc_lo, -1, 0
	s_mov_b32 s2, exec_lo
	v_cndmask_b32_e32 v0, v19, v17, vcc_lo
	s_delay_alu instid0(VALU_DEP_1) | instskip(NEXT) | instid1(VALU_DEP_1)
	v_lshl_add_u32 v0, s26, 2, v0
	v_ashrrev_i32_e32 v1, 31, v0
	s_delay_alu instid0(VALU_DEP_1) | instskip(NEXT) | instid1(VALU_DEP_1)
	v_lshlrev_b64 v[0:1], 4, v[0:1]
	v_add_co_u32 v0, vcc_lo, s18, v0
	s_delay_alu instid0(VALU_DEP_2)
	v_add_co_ci_u32_e32 v1, vcc_lo, s19, v1, vcc_lo
	global_load_b128 v[2:5], v[0:1], off
	s_waitcnt vmcnt(0)
	ds_store_2addr_b64 v16, v[2:3], v[4:5] offset0:72 offset1:73
	s_waitcnt lgkmcnt(0)
	buffer_gl0_inv
	v_cmpx_eq_u32_e32 0, v13
	s_cbranch_execz .LBB60_49
; %bb.42:
	v_mov_b32_e32 v6, 0
	ds_load_b128 v[2:5], v6 offset:672
	ds_load_b128 v[6:9], v6 offset:576
	s_waitcnt lgkmcnt(0)
	v_add_f64 v[2:3], v[6:7], -v[2:3]
	v_add_f64 v[6:7], v[8:9], -v[4:5]
	s_delay_alu instid0(VALU_DEP_2) | instskip(NEXT) | instid1(VALU_DEP_2)
	v_cmp_gt_f64_e32 vcc_lo, 0, v[2:3]
	v_cmp_gt_f64_e64 s0, 0, v[6:7]
	v_xor_b32_e32 v4, 0x80000000, v3
	v_xor_b32_e32 v5, 0x80000000, v7
	s_delay_alu instid0(VALU_DEP_2) | instskip(NEXT) | instid1(VALU_DEP_2)
	v_cndmask_b32_e32 v3, v3, v4, vcc_lo
	v_cndmask_b32_e64 v5, v7, v5, s0
	v_cndmask_b32_e32 v2, v2, v2, vcc_lo
	v_cndmask_b32_e64 v4, v6, v6, s0
	s_delay_alu instid0(VALU_DEP_1)
	v_cmp_ngt_f64_e32 vcc_lo, v[2:3], v[4:5]
	s_cbranch_vccz .LBB60_46
; %bb.43:
	v_cmp_eq_f64_e32 vcc_lo, 0, v[6:7]
	v_mov_b32_e32 v6, 0
	v_mov_b32_e32 v7, 0
	s_cbranch_vccnz .LBB60_45
; %bb.44:
	v_div_scale_f64 v[6:7], null, v[4:5], v[4:5], v[2:3]
	v_div_scale_f64 v[17:18], vcc_lo, v[2:3], v[4:5], v[2:3]
	s_delay_alu instid0(VALU_DEP_2) | instskip(SKIP_2) | instid1(VALU_DEP_1)
	v_rcp_f64_e32 v[8:9], v[6:7]
	s_waitcnt_depctr 0xfff
	v_fma_f64 v[10:11], -v[6:7], v[8:9], 1.0
	v_fma_f64 v[8:9], v[8:9], v[10:11], v[8:9]
	s_delay_alu instid0(VALU_DEP_1) | instskip(NEXT) | instid1(VALU_DEP_1)
	v_fma_f64 v[10:11], -v[6:7], v[8:9], 1.0
	v_fma_f64 v[8:9], v[8:9], v[10:11], v[8:9]
	s_delay_alu instid0(VALU_DEP_1) | instskip(NEXT) | instid1(VALU_DEP_1)
	v_mul_f64 v[10:11], v[17:18], v[8:9]
	v_fma_f64 v[6:7], -v[6:7], v[10:11], v[17:18]
	s_delay_alu instid0(VALU_DEP_1) | instskip(NEXT) | instid1(VALU_DEP_1)
	v_div_fmas_f64 v[6:7], v[6:7], v[8:9], v[10:11]
	v_div_fixup_f64 v[6:7], v[6:7], v[4:5], v[2:3]
	s_delay_alu instid0(VALU_DEP_1) | instskip(NEXT) | instid1(VALU_DEP_1)
	v_fma_f64 v[6:7], v[6:7], v[6:7], 1.0
	v_cmp_gt_f64_e32 vcc_lo, 0x10000000, v[6:7]
	v_cndmask_b32_e64 v8, 0, 1, vcc_lo
	s_and_b32 s0, vcc_lo, exec_lo
	s_cselect_b32 s0, 0xffffff80, 0
	s_delay_alu instid0(VALU_DEP_1) | instskip(NEXT) | instid1(VALU_DEP_1)
	v_lshlrev_b32_e32 v8, 8, v8
	v_ldexp_f64 v[6:7], v[6:7], v8
	s_delay_alu instid0(VALU_DEP_1) | instskip(SKIP_4) | instid1(VALU_DEP_1)
	v_rsq_f64_e32 v[8:9], v[6:7]
	v_cmp_class_f64_e64 vcc_lo, v[6:7], 0x260
	s_waitcnt_depctr 0xfff
	v_mul_f64 v[10:11], v[6:7], v[8:9]
	v_mul_f64 v[8:9], v[8:9], 0.5
	v_fma_f64 v[17:18], -v[8:9], v[10:11], 0.5
	s_delay_alu instid0(VALU_DEP_1) | instskip(SKIP_1) | instid1(VALU_DEP_2)
	v_fma_f64 v[10:11], v[10:11], v[17:18], v[10:11]
	v_fma_f64 v[8:9], v[8:9], v[17:18], v[8:9]
	v_fma_f64 v[17:18], -v[10:11], v[10:11], v[6:7]
	s_delay_alu instid0(VALU_DEP_1) | instskip(NEXT) | instid1(VALU_DEP_1)
	v_fma_f64 v[10:11], v[17:18], v[8:9], v[10:11]
	v_fma_f64 v[17:18], -v[10:11], v[10:11], v[6:7]
	s_delay_alu instid0(VALU_DEP_1) | instskip(NEXT) | instid1(VALU_DEP_1)
	v_fma_f64 v[8:9], v[17:18], v[8:9], v[10:11]
	v_ldexp_f64 v[8:9], v[8:9], s0
	s_delay_alu instid0(VALU_DEP_1) | instskip(NEXT) | instid1(VALU_DEP_1)
	v_dual_cndmask_b32 v7, v9, v7 :: v_dual_cndmask_b32 v6, v8, v6
	v_mul_f64 v[6:7], v[4:5], v[6:7]
.LBB60_45:
	s_cbranch_execz .LBB60_47
	s_branch .LBB60_48
.LBB60_46:
                                        ; implicit-def: $vgpr6_vgpr7
.LBB60_47:
	v_div_scale_f64 v[6:7], null, v[2:3], v[2:3], v[4:5]
	v_div_scale_f64 v[17:18], vcc_lo, v[4:5], v[2:3], v[4:5]
	s_delay_alu instid0(VALU_DEP_2) | instskip(SKIP_2) | instid1(VALU_DEP_1)
	v_rcp_f64_e32 v[8:9], v[6:7]
	s_waitcnt_depctr 0xfff
	v_fma_f64 v[10:11], -v[6:7], v[8:9], 1.0
	v_fma_f64 v[8:9], v[8:9], v[10:11], v[8:9]
	s_delay_alu instid0(VALU_DEP_1) | instskip(NEXT) | instid1(VALU_DEP_1)
	v_fma_f64 v[10:11], -v[6:7], v[8:9], 1.0
	v_fma_f64 v[8:9], v[8:9], v[10:11], v[8:9]
	s_delay_alu instid0(VALU_DEP_1) | instskip(NEXT) | instid1(VALU_DEP_1)
	v_mul_f64 v[10:11], v[17:18], v[8:9]
	v_fma_f64 v[6:7], -v[6:7], v[10:11], v[17:18]
	s_delay_alu instid0(VALU_DEP_1) | instskip(NEXT) | instid1(VALU_DEP_1)
	v_div_fmas_f64 v[6:7], v[6:7], v[8:9], v[10:11]
	v_div_fixup_f64 v[4:5], v[6:7], v[2:3], v[4:5]
	s_delay_alu instid0(VALU_DEP_1) | instskip(NEXT) | instid1(VALU_DEP_1)
	v_fma_f64 v[4:5], v[4:5], v[4:5], 1.0
	v_cmp_gt_f64_e32 vcc_lo, 0x10000000, v[4:5]
	v_cndmask_b32_e64 v6, 0, 1, vcc_lo
	s_and_b32 s0, vcc_lo, exec_lo
	s_cselect_b32 s0, 0xffffff80, 0
	s_delay_alu instid0(VALU_DEP_1) | instskip(NEXT) | instid1(VALU_DEP_1)
	v_lshlrev_b32_e32 v6, 8, v6
	v_ldexp_f64 v[4:5], v[4:5], v6
	s_delay_alu instid0(VALU_DEP_1) | instskip(SKIP_4) | instid1(VALU_DEP_1)
	v_rsq_f64_e32 v[6:7], v[4:5]
	v_cmp_class_f64_e64 vcc_lo, v[4:5], 0x260
	s_waitcnt_depctr 0xfff
	v_mul_f64 v[8:9], v[4:5], v[6:7]
	v_mul_f64 v[6:7], v[6:7], 0.5
	v_fma_f64 v[10:11], -v[6:7], v[8:9], 0.5
	s_delay_alu instid0(VALU_DEP_1) | instskip(SKIP_1) | instid1(VALU_DEP_2)
	v_fma_f64 v[8:9], v[8:9], v[10:11], v[8:9]
	v_fma_f64 v[6:7], v[6:7], v[10:11], v[6:7]
	v_fma_f64 v[10:11], -v[8:9], v[8:9], v[4:5]
	s_delay_alu instid0(VALU_DEP_1) | instskip(NEXT) | instid1(VALU_DEP_1)
	v_fma_f64 v[8:9], v[10:11], v[6:7], v[8:9]
	v_fma_f64 v[10:11], -v[8:9], v[8:9], v[4:5]
	s_delay_alu instid0(VALU_DEP_1) | instskip(NEXT) | instid1(VALU_DEP_1)
	v_fma_f64 v[6:7], v[10:11], v[6:7], v[8:9]
	v_ldexp_f64 v[6:7], v[6:7], s0
	s_delay_alu instid0(VALU_DEP_1) | instskip(NEXT) | instid1(VALU_DEP_1)
	v_dual_cndmask_b32 v5, v7, v5 :: v_dual_cndmask_b32 v4, v6, v4
	v_mul_f64 v[6:7], v[2:3], v[4:5]
.LBB60_48:
	s_delay_alu instid0(VALU_DEP_1) | instskip(SKIP_3) | instid1(VALU_DEP_1)
	v_cmp_gt_f64_e32 vcc_lo, 0x10000000, v[6:7]
	v_cndmask_b32_e64 v2, 0, 1, vcc_lo
	s_and_b32 s0, vcc_lo, exec_lo
	s_cselect_b32 s0, 0xffffff80, 0
	v_lshlrev_b32_e32 v2, 8, v2
	s_delay_alu instid0(VALU_DEP_1) | instskip(NEXT) | instid1(VALU_DEP_1)
	v_ldexp_f64 v[2:3], v[6:7], v2
	v_rsq_f64_e32 v[4:5], v[2:3]
	v_cmp_class_f64_e64 vcc_lo, v[2:3], 0x260
	s_waitcnt_depctr 0xfff
	v_mul_f64 v[6:7], v[2:3], v[4:5]
	v_mul_f64 v[4:5], v[4:5], 0.5
	s_delay_alu instid0(VALU_DEP_1) | instskip(NEXT) | instid1(VALU_DEP_1)
	v_fma_f64 v[8:9], -v[4:5], v[6:7], 0.5
	v_fma_f64 v[6:7], v[6:7], v[8:9], v[6:7]
	v_fma_f64 v[4:5], v[4:5], v[8:9], v[4:5]
	s_delay_alu instid0(VALU_DEP_2) | instskip(NEXT) | instid1(VALU_DEP_1)
	v_fma_f64 v[8:9], -v[6:7], v[6:7], v[2:3]
	v_fma_f64 v[6:7], v[8:9], v[4:5], v[6:7]
	s_delay_alu instid0(VALU_DEP_1) | instskip(NEXT) | instid1(VALU_DEP_1)
	v_fma_f64 v[8:9], -v[6:7], v[6:7], v[2:3]
	v_fma_f64 v[4:5], v[8:9], v[4:5], v[6:7]
	s_delay_alu instid0(VALU_DEP_1) | instskip(NEXT) | instid1(VALU_DEP_1)
	v_ldexp_f64 v[5:6], v[4:5], s0
	v_dual_mov_b32 v4, 0 :: v_dual_cndmask_b32 v3, v6, v3
	s_delay_alu instid0(VALU_DEP_1)
	v_dual_cndmask_b32 v2, v5, v2 :: v_dual_mov_b32 v5, v4
	ds_store_b128 v4, v[2:5] offset:576
.LBB60_49:
	s_or_b32 exec_lo, exec_lo, s2
	v_mov_b32_e32 v2, 0
	s_waitcnt lgkmcnt(0)
	buffer_gl0_inv
	v_cmp_ne_u32_e64 s0, 0, v14
	ds_load_b128 v[2:5], v2 offset:576
	s_waitcnt lgkmcnt(0)
	v_cmp_neq_f64_e32 vcc_lo, 0, v[2:3]
	v_cmp_neq_f64_e64 s2, 0, v[4:5]
	s_delay_alu instid0(VALU_DEP_1)
	s_or_b32 vcc_lo, vcc_lo, s2
	v_dual_cndmask_b32 v5, 0, v5 :: v_dual_add_nc_u32 v8, 0x240, v16
	v_cndmask_b32_e32 v3, 0x3ff00000, v3, vcc_lo
	v_cndmask_b32_e32 v2, 0, v2, vcc_lo
	;; [unrolled: 1-line block ×3, first 2 shown]
	s_or_b32 s3, vcc_lo, s0
	s_add_i32 s2, s16, s17
	s_xor_b32 s4, s3, -1
	s_delay_alu instid0(SALU_CYCLE_1)
	s_and_saveexec_b32 s3, s4
	s_cbranch_execz .LBB60_53
; %bb.50:
	v_mbcnt_lo_u32_b32 v2, exec_lo, 0
	s_mov_b32 s4, exec_lo
	s_delay_alu instid0(VALU_DEP_1)
	v_cmpx_eq_u32_e32 0, v2
	s_cbranch_execz .LBB60_52
; %bb.51:
	v_dual_mov_b32 v2, 0 :: v_dual_mov_b32 v3, s2
	global_atomic_min_i32 v2, v3, s[10:11]
.LBB60_52:
	s_or_b32 exec_lo, exec_lo, s4
	v_mov_b32_e32 v2, 0
	v_dual_mov_b32 v3, 0x3ff00000 :: v_dual_mov_b32 v4, 0
	v_mov_b32_e32 v5, 0
.LBB60_53:
	s_or_b32 exec_lo, exec_lo, s3
	s_and_saveexec_b32 s3, s1
	s_cbranch_execz .LBB60_55
; %bb.54:
	s_delay_alu instid0(VALU_DEP_1) | instskip(SKIP_1) | instid1(VALU_DEP_2)
	v_mul_f64 v[6:7], v[4:5], v[4:5]
	v_mul_u32_u24_e32 v11, 48, v13
	v_fma_f64 v[6:7], v[2:3], v[2:3], v[6:7]
	s_delay_alu instid0(VALU_DEP_1) | instskip(SKIP_1) | instid1(VALU_DEP_2)
	v_div_scale_f64 v[9:10], null, v[6:7], v[6:7], 1.0
	v_div_scale_f64 v[24:25], vcc_lo, 1.0, v[6:7], 1.0
	v_rcp_f64_e32 v[16:17], v[9:10]
	s_waitcnt_depctr 0xfff
	v_fma_f64 v[18:19], -v[9:10], v[16:17], 1.0
	s_delay_alu instid0(VALU_DEP_1) | instskip(NEXT) | instid1(VALU_DEP_1)
	v_fma_f64 v[16:17], v[16:17], v[18:19], v[16:17]
	v_fma_f64 v[18:19], -v[9:10], v[16:17], 1.0
	s_delay_alu instid0(VALU_DEP_1)
	v_fma_f64 v[26:27], v[16:17], v[18:19], v[16:17]
	ds_load_b128 v[16:19], v11 offset:576
	ds_load_b128 v[20:23], v11 offset:672
	s_waitcnt lgkmcnt(0)
	v_add_f64 v[18:19], v[18:19], -v[22:23]
	v_add_f64 v[16:17], v[16:17], -v[20:21]
	v_mul_f64 v[28:29], v[24:25], v[26:27]
	s_delay_alu instid0(VALU_DEP_3) | instskip(NEXT) | instid1(VALU_DEP_3)
	v_mul_f64 v[20:21], v[4:5], v[18:19]
	v_mul_f64 v[4:5], v[4:5], -v[16:17]
	s_delay_alu instid0(VALU_DEP_3) | instskip(NEXT) | instid1(VALU_DEP_3)
	v_fma_f64 v[9:10], -v[9:10], v[28:29], v[24:25]
	v_fma_f64 v[16:17], v[16:17], v[2:3], v[20:21]
	s_delay_alu instid0(VALU_DEP_3) | instskip(NEXT) | instid1(VALU_DEP_3)
	v_fma_f64 v[4:5], v[18:19], v[2:3], v[4:5]
	v_div_fmas_f64 v[9:10], v[9:10], v[26:27], v[28:29]
	s_delay_alu instid0(VALU_DEP_1) | instskip(NEXT) | instid1(VALU_DEP_1)
	v_div_fixup_f64 v[6:7], v[9:10], v[6:7], 1.0
	v_mul_f64 v[2:3], v[6:7], v[16:17]
	s_delay_alu instid0(VALU_DEP_4)
	v_mul_f64 v[4:5], v[6:7], v[4:5]
	v_mul_u32_u24_e32 v6, 48, v12
	ds_store_b128 v11, v[2:5] offset:576
	s_waitcnt lgkmcnt(0)
	s_waitcnt_vscnt null, 0x0
	buffer_gl0_inv
	ds_load_b128 v[16:19], v6 offset:576
	ds_load_b128 v[20:23], v15
	s_waitcnt lgkmcnt(0)
	v_fma_f64 v[6:7], v[2:3], v[16:17], v[20:21]
	v_fma_f64 v[9:10], v[4:5], v[16:17], v[22:23]
	s_delay_alu instid0(VALU_DEP_2) | instskip(NEXT) | instid1(VALU_DEP_2)
	v_fma_f64 v[4:5], v[4:5], v[18:19], v[6:7]
	v_fma_f64 v[6:7], v[2:3], -v[18:19], v[9:10]
	ds_store_b128 v15, v[4:7]
.LBB60_55:
	s_or_b32 exec_lo, exec_lo, s3
	s_delay_alu instid0(SALU_CYCLE_1)
	s_mov_b32 s3, exec_lo
	s_waitcnt lgkmcnt(0)
	s_waitcnt_vscnt null, 0x0
	buffer_gl0_inv
	v_cmpx_eq_u32_e32 1, v13
	s_cbranch_execz .LBB60_63
; %bb.56:
	v_mov_b32_e32 v6, 0
	ds_load_b128 v[2:5], v6 offset:736
	ds_load_b128 v[16:19], v6 offset:640
	s_waitcnt lgkmcnt(0)
	v_add_f64 v[2:3], v[16:17], -v[2:3]
	v_add_f64 v[6:7], v[18:19], -v[4:5]
	s_delay_alu instid0(VALU_DEP_2) | instskip(NEXT) | instid1(VALU_DEP_2)
	v_cmp_gt_f64_e32 vcc_lo, 0, v[2:3]
	v_cmp_gt_f64_e64 s1, 0, v[6:7]
	v_xor_b32_e32 v4, 0x80000000, v3
	v_xor_b32_e32 v5, 0x80000000, v7
	s_delay_alu instid0(VALU_DEP_2) | instskip(NEXT) | instid1(VALU_DEP_2)
	v_cndmask_b32_e32 v3, v3, v4, vcc_lo
	v_cndmask_b32_e64 v5, v7, v5, s1
	v_cndmask_b32_e32 v2, v2, v2, vcc_lo
	v_cndmask_b32_e64 v4, v6, v6, s1
	s_delay_alu instid0(VALU_DEP_1)
	v_cmp_gt_f64_e32 vcc_lo, v[2:3], v[4:5]
	s_cbranch_vccnz .LBB60_60
; %bb.57:
	v_cmp_eq_f64_e32 vcc_lo, 0, v[6:7]
	v_mov_b32_e32 v6, 0
	v_mov_b32_e32 v7, 0
	s_cbranch_vccnz .LBB60_59
; %bb.58:
	v_div_scale_f64 v[6:7], null, v[4:5], v[4:5], v[2:3]
	v_div_scale_f64 v[18:19], vcc_lo, v[2:3], v[4:5], v[2:3]
	s_delay_alu instid0(VALU_DEP_2) | instskip(SKIP_2) | instid1(VALU_DEP_1)
	v_rcp_f64_e32 v[9:10], v[6:7]
	s_waitcnt_depctr 0xfff
	v_fma_f64 v[16:17], -v[6:7], v[9:10], 1.0
	v_fma_f64 v[9:10], v[9:10], v[16:17], v[9:10]
	s_delay_alu instid0(VALU_DEP_1) | instskip(NEXT) | instid1(VALU_DEP_1)
	v_fma_f64 v[16:17], -v[6:7], v[9:10], 1.0
	v_fma_f64 v[9:10], v[9:10], v[16:17], v[9:10]
	s_delay_alu instid0(VALU_DEP_1) | instskip(NEXT) | instid1(VALU_DEP_1)
	v_mul_f64 v[16:17], v[18:19], v[9:10]
	v_fma_f64 v[6:7], -v[6:7], v[16:17], v[18:19]
	s_delay_alu instid0(VALU_DEP_1) | instskip(NEXT) | instid1(VALU_DEP_1)
	v_div_fmas_f64 v[6:7], v[6:7], v[9:10], v[16:17]
	v_div_fixup_f64 v[6:7], v[6:7], v[4:5], v[2:3]
	s_delay_alu instid0(VALU_DEP_1) | instskip(NEXT) | instid1(VALU_DEP_1)
	v_fma_f64 v[6:7], v[6:7], v[6:7], 1.0
	v_cmp_gt_f64_e32 vcc_lo, 0x10000000, v[6:7]
	v_cndmask_b32_e64 v9, 0, 1, vcc_lo
	s_and_b32 s1, vcc_lo, exec_lo
	s_cselect_b32 s1, 0xffffff80, 0
	s_delay_alu instid0(VALU_DEP_1) | instskip(NEXT) | instid1(VALU_DEP_1)
	v_lshlrev_b32_e32 v9, 8, v9
	v_ldexp_f64 v[6:7], v[6:7], v9
	s_delay_alu instid0(VALU_DEP_1) | instskip(SKIP_4) | instid1(VALU_DEP_1)
	v_rsq_f64_e32 v[9:10], v[6:7]
	v_cmp_class_f64_e64 vcc_lo, v[6:7], 0x260
	s_waitcnt_depctr 0xfff
	v_mul_f64 v[16:17], v[6:7], v[9:10]
	v_mul_f64 v[9:10], v[9:10], 0.5
	v_fma_f64 v[18:19], -v[9:10], v[16:17], 0.5
	s_delay_alu instid0(VALU_DEP_1) | instskip(SKIP_1) | instid1(VALU_DEP_2)
	v_fma_f64 v[16:17], v[16:17], v[18:19], v[16:17]
	v_fma_f64 v[9:10], v[9:10], v[18:19], v[9:10]
	v_fma_f64 v[18:19], -v[16:17], v[16:17], v[6:7]
	s_delay_alu instid0(VALU_DEP_1) | instskip(NEXT) | instid1(VALU_DEP_1)
	v_fma_f64 v[16:17], v[18:19], v[9:10], v[16:17]
	v_fma_f64 v[18:19], -v[16:17], v[16:17], v[6:7]
	s_delay_alu instid0(VALU_DEP_1) | instskip(NEXT) | instid1(VALU_DEP_1)
	v_fma_f64 v[9:10], v[18:19], v[9:10], v[16:17]
	v_ldexp_f64 v[9:10], v[9:10], s1
	s_delay_alu instid0(VALU_DEP_1) | instskip(NEXT) | instid1(VALU_DEP_1)
	v_dual_cndmask_b32 v7, v10, v7 :: v_dual_cndmask_b32 v6, v9, v6
	v_mul_f64 v[6:7], v[4:5], v[6:7]
.LBB60_59:
	s_cbranch_execz .LBB60_61
	s_branch .LBB60_62
.LBB60_60:
                                        ; implicit-def: $vgpr6_vgpr7
.LBB60_61:
	v_div_scale_f64 v[6:7], null, v[2:3], v[2:3], v[4:5]
	v_div_scale_f64 v[18:19], vcc_lo, v[4:5], v[2:3], v[4:5]
	s_delay_alu instid0(VALU_DEP_2) | instskip(SKIP_2) | instid1(VALU_DEP_1)
	v_rcp_f64_e32 v[9:10], v[6:7]
	s_waitcnt_depctr 0xfff
	v_fma_f64 v[16:17], -v[6:7], v[9:10], 1.0
	v_fma_f64 v[9:10], v[9:10], v[16:17], v[9:10]
	s_delay_alu instid0(VALU_DEP_1) | instskip(NEXT) | instid1(VALU_DEP_1)
	v_fma_f64 v[16:17], -v[6:7], v[9:10], 1.0
	v_fma_f64 v[9:10], v[9:10], v[16:17], v[9:10]
	s_delay_alu instid0(VALU_DEP_1) | instskip(NEXT) | instid1(VALU_DEP_1)
	v_mul_f64 v[16:17], v[18:19], v[9:10]
	v_fma_f64 v[6:7], -v[6:7], v[16:17], v[18:19]
	s_delay_alu instid0(VALU_DEP_1) | instskip(NEXT) | instid1(VALU_DEP_1)
	v_div_fmas_f64 v[6:7], v[6:7], v[9:10], v[16:17]
	v_div_fixup_f64 v[4:5], v[6:7], v[2:3], v[4:5]
	s_delay_alu instid0(VALU_DEP_1) | instskip(NEXT) | instid1(VALU_DEP_1)
	v_fma_f64 v[4:5], v[4:5], v[4:5], 1.0
	v_cmp_gt_f64_e32 vcc_lo, 0x10000000, v[4:5]
	v_cndmask_b32_e64 v6, 0, 1, vcc_lo
	s_and_b32 s1, vcc_lo, exec_lo
	s_cselect_b32 s1, 0xffffff80, 0
	s_delay_alu instid0(VALU_DEP_1) | instskip(NEXT) | instid1(VALU_DEP_1)
	v_lshlrev_b32_e32 v6, 8, v6
	v_ldexp_f64 v[4:5], v[4:5], v6
	s_delay_alu instid0(VALU_DEP_1) | instskip(SKIP_4) | instid1(VALU_DEP_1)
	v_rsq_f64_e32 v[6:7], v[4:5]
	v_cmp_class_f64_e64 vcc_lo, v[4:5], 0x260
	s_waitcnt_depctr 0xfff
	v_mul_f64 v[9:10], v[4:5], v[6:7]
	v_mul_f64 v[6:7], v[6:7], 0.5
	v_fma_f64 v[16:17], -v[6:7], v[9:10], 0.5
	s_delay_alu instid0(VALU_DEP_1) | instskip(SKIP_1) | instid1(VALU_DEP_2)
	v_fma_f64 v[9:10], v[9:10], v[16:17], v[9:10]
	v_fma_f64 v[6:7], v[6:7], v[16:17], v[6:7]
	v_fma_f64 v[16:17], -v[9:10], v[9:10], v[4:5]
	s_delay_alu instid0(VALU_DEP_1) | instskip(NEXT) | instid1(VALU_DEP_1)
	v_fma_f64 v[9:10], v[16:17], v[6:7], v[9:10]
	v_fma_f64 v[16:17], -v[9:10], v[9:10], v[4:5]
	s_delay_alu instid0(VALU_DEP_1) | instskip(NEXT) | instid1(VALU_DEP_1)
	v_fma_f64 v[6:7], v[16:17], v[6:7], v[9:10]
	v_ldexp_f64 v[6:7], v[6:7], s1
	s_delay_alu instid0(VALU_DEP_1) | instskip(NEXT) | instid1(VALU_DEP_1)
	v_dual_cndmask_b32 v5, v7, v5 :: v_dual_cndmask_b32 v4, v6, v4
	v_mul_f64 v[6:7], v[2:3], v[4:5]
.LBB60_62:
	s_delay_alu instid0(VALU_DEP_1) | instskip(SKIP_3) | instid1(VALU_DEP_1)
	v_cmp_gt_f64_e32 vcc_lo, 0x10000000, v[6:7]
	v_cndmask_b32_e64 v2, 0, 1, vcc_lo
	s_and_b32 s1, vcc_lo, exec_lo
	s_cselect_b32 s1, 0xffffff80, 0
	v_lshlrev_b32_e32 v2, 8, v2
	s_delay_alu instid0(VALU_DEP_1) | instskip(NEXT) | instid1(VALU_DEP_1)
	v_ldexp_f64 v[2:3], v[6:7], v2
	v_rsq_f64_e32 v[4:5], v[2:3]
	v_cmp_class_f64_e64 vcc_lo, v[2:3], 0x260
	s_waitcnt_depctr 0xfff
	v_mul_f64 v[6:7], v[2:3], v[4:5]
	v_mul_f64 v[4:5], v[4:5], 0.5
	s_delay_alu instid0(VALU_DEP_1) | instskip(NEXT) | instid1(VALU_DEP_1)
	v_fma_f64 v[9:10], -v[4:5], v[6:7], 0.5
	v_fma_f64 v[6:7], v[6:7], v[9:10], v[6:7]
	v_fma_f64 v[4:5], v[4:5], v[9:10], v[4:5]
	s_delay_alu instid0(VALU_DEP_2) | instskip(NEXT) | instid1(VALU_DEP_1)
	v_fma_f64 v[9:10], -v[6:7], v[6:7], v[2:3]
	v_fma_f64 v[6:7], v[9:10], v[4:5], v[6:7]
	s_delay_alu instid0(VALU_DEP_1) | instskip(NEXT) | instid1(VALU_DEP_1)
	v_fma_f64 v[9:10], -v[6:7], v[6:7], v[2:3]
	v_fma_f64 v[4:5], v[9:10], v[4:5], v[6:7]
	s_delay_alu instid0(VALU_DEP_1) | instskip(NEXT) | instid1(VALU_DEP_1)
	v_ldexp_f64 v[5:6], v[4:5], s1
	v_dual_mov_b32 v4, 0 :: v_dual_cndmask_b32 v3, v6, v3
	s_delay_alu instid0(VALU_DEP_1)
	v_dual_cndmask_b32 v2, v5, v2 :: v_dual_mov_b32 v5, v4
	ds_store_b128 v4, v[2:5] offset:640
.LBB60_63:
	s_or_b32 exec_lo, exec_lo, s3
	v_mov_b32_e32 v2, 0
	s_waitcnt lgkmcnt(0)
	buffer_gl0_inv
	ds_load_b128 v[2:5], v2 offset:640
	s_waitcnt lgkmcnt(0)
	v_cmp_neq_f64_e32 vcc_lo, 0, v[2:3]
	v_cmp_neq_f64_e64 s1, 0, v[4:5]
	s_delay_alu instid0(VALU_DEP_1) | instskip(SKIP_4) | instid1(SALU_CYCLE_1)
	s_or_b32 vcc_lo, vcc_lo, s1
	v_cndmask_b32_e32 v3, 0x3ff00000, v3, vcc_lo
	v_dual_cndmask_b32 v2, 0, v2 :: v_dual_cndmask_b32 v5, 0, v5
	v_cndmask_b32_e32 v4, 0, v4, vcc_lo
	s_or_b32 s0, vcc_lo, s0
	s_xor_b32 s1, s0, -1
	s_delay_alu instid0(SALU_CYCLE_1)
	s_and_saveexec_b32 s0, s1
	s_cbranch_execz .LBB60_67
; %bb.64:
	v_mbcnt_lo_u32_b32 v2, exec_lo, 0
	s_mov_b32 s1, exec_lo
	s_delay_alu instid0(VALU_DEP_1)
	v_cmpx_eq_u32_e32 0, v2
	s_cbranch_execz .LBB60_66
; %bb.65:
	v_dual_mov_b32 v2, 0 :: v_dual_mov_b32 v3, s2
	global_atomic_min_i32 v2, v3, s[10:11]
.LBB60_66:
	s_or_b32 exec_lo, exec_lo, s1
	v_mov_b32_e32 v2, 0
	v_dual_mov_b32 v3, 0x3ff00000 :: v_dual_mov_b32 v4, 0
	v_mov_b32_e32 v5, 0
.LBB60_67:
	s_or_b32 exec_lo, exec_lo, s0
	s_delay_alu instid0(SALU_CYCLE_1)
	s_mov_b32 s0, exec_lo
	v_cmpx_lt_u32_e32 1, v13
	s_cbranch_execz .LBB60_69
; %bb.68:
	v_mul_f64 v[6:7], v[4:5], v[4:5]
	v_mul_u32_u24_e32 v11, 48, v13
	s_delay_alu instid0(VALU_DEP_2) | instskip(NEXT) | instid1(VALU_DEP_1)
	v_fma_f64 v[6:7], v[2:3], v[2:3], v[6:7]
	v_div_scale_f64 v[9:10], null, v[6:7], v[6:7], 1.0
	v_div_scale_f64 v[24:25], vcc_lo, 1.0, v[6:7], 1.0
	s_delay_alu instid0(VALU_DEP_2) | instskip(SKIP_2) | instid1(VALU_DEP_1)
	v_rcp_f64_e32 v[16:17], v[9:10]
	s_waitcnt_depctr 0xfff
	v_fma_f64 v[18:19], -v[9:10], v[16:17], 1.0
	v_fma_f64 v[16:17], v[16:17], v[18:19], v[16:17]
	s_delay_alu instid0(VALU_DEP_1) | instskip(NEXT) | instid1(VALU_DEP_1)
	v_fma_f64 v[18:19], -v[9:10], v[16:17], 1.0
	v_fma_f64 v[26:27], v[16:17], v[18:19], v[16:17]
	ds_load_b128 v[16:19], v11 offset:592
	ds_load_b128 v[20:23], v11 offset:688
	s_waitcnt lgkmcnt(0)
	v_add_f64 v[18:19], v[18:19], -v[22:23]
	v_add_f64 v[16:17], v[16:17], -v[20:21]
	v_mul_f64 v[28:29], v[24:25], v[26:27]
	s_delay_alu instid0(VALU_DEP_3) | instskip(NEXT) | instid1(VALU_DEP_3)
	v_mul_f64 v[20:21], v[4:5], v[18:19]
	v_mul_f64 v[4:5], v[4:5], -v[16:17]
	s_delay_alu instid0(VALU_DEP_3) | instskip(NEXT) | instid1(VALU_DEP_3)
	v_fma_f64 v[9:10], -v[9:10], v[28:29], v[24:25]
	v_fma_f64 v[16:17], v[16:17], v[2:3], v[20:21]
	s_delay_alu instid0(VALU_DEP_3) | instskip(NEXT) | instid1(VALU_DEP_3)
	v_fma_f64 v[4:5], v[18:19], v[2:3], v[4:5]
	v_div_fmas_f64 v[9:10], v[9:10], v[26:27], v[28:29]
	s_delay_alu instid0(VALU_DEP_1) | instskip(NEXT) | instid1(VALU_DEP_1)
	v_div_fixup_f64 v[6:7], v[9:10], v[6:7], 1.0
	v_mul_f64 v[2:3], v[6:7], v[16:17]
	s_delay_alu instid0(VALU_DEP_4)
	v_mul_f64 v[4:5], v[6:7], v[4:5]
	v_mul_u32_u24_e32 v6, 48, v12
	ds_store_b128 v11, v[2:5] offset:592
	s_waitcnt lgkmcnt(0)
	s_waitcnt_vscnt null, 0x0
	buffer_gl0_inv
	ds_load_b128 v[16:19], v6 offset:592
	ds_load_b128 v[20:23], v15
	s_waitcnt lgkmcnt(0)
	v_fma_f64 v[6:7], v[2:3], v[16:17], v[20:21]
	v_fma_f64 v[9:10], v[4:5], v[16:17], v[22:23]
	s_delay_alu instid0(VALU_DEP_2) | instskip(NEXT) | instid1(VALU_DEP_2)
	v_fma_f64 v[4:5], v[4:5], v[18:19], v[6:7]
	v_fma_f64 v[6:7], v[2:3], -v[18:19], v[9:10]
	ds_store_b128 v15, v[4:7]
.LBB60_69:
	s_or_b32 exec_lo, exec_lo, s0
	s_waitcnt lgkmcnt(0)
	s_waitcnt_vscnt null, 0x0
	buffer_gl0_inv
	ds_load_2addr_b64 v[2:5], v8 offset1:1
	v_cmp_eq_u32_e64 s3, 0, v14
	s_waitcnt lgkmcnt(0)
	global_store_b128 v[0:1], v[2:5], off
	s_branch .LBB60_75
.LBB60_70:
	v_or_b32_e32 v0, v12, v13
	s_mov_b32 s0, exec_lo
	s_delay_alu instid0(VALU_DEP_1)
	v_cmpx_eq_u32_e32 0, v0
	s_cbranch_execz .LBB60_74
; %bb.71:
	v_mbcnt_lo_u32_b32 v0, exec_lo, 0
	s_mov_b32 s1, exec_lo
	s_delay_alu instid0(VALU_DEP_1)
	v_cmpx_eq_u32_e32 0, v0
	s_cbranch_execz .LBB60_73
; %bb.72:
	s_add_i32 s2, s16, s17
	s_delay_alu instid0(SALU_CYCLE_1)
	v_dual_mov_b32 v0, 0 :: v_dual_mov_b32 v1, s2
	global_atomic_min_i32 v0, v1, s[10:11]
.LBB60_73:
	s_or_b32 exec_lo, exec_lo, s1
	s_delay_alu instid0(SALU_CYCLE_1)
	s_or_b32 s3, s3, exec_lo
.LBB60_74:
	s_or_b32 exec_lo, exec_lo, s0
.LBB60_75:
	s_and_saveexec_b32 s0, s3
	s_cbranch_execnz .LBB60_77
; %bb.76:
	s_nop 0
	s_sendmsg sendmsg(MSG_DEALLOC_VGPRS)
	s_endpgm
.LBB60_77:
	v_dual_mov_b32 v0, 0 :: v_dual_mov_b32 v1, 1
	s_add_u32 s0, s6, s8
	s_addc_u32 s1, s7, s9
	s_waitcnt_vscnt null, 0x0
	global_store_b32 v0, v1, s[0:1]
	s_nop 0
	s_sendmsg sendmsg(MSG_DEALLOC_VGPRS)
	s_endpgm
	.section	.rodata,"a",@progbits
	.p2align	6, 0x0
	.amdhsa_kernel _ZN9rocsparseL26bsric0_2_8_unrolled_kernelILi4ELi32ELi2E21rocsparse_complex_numIdEEEv20rocsparse_direction_iiPKiS5_PT2_S5_PiS5_S8_21rocsparse_index_base_
		.amdhsa_group_segment_fixed_size 768
		.amdhsa_private_segment_fixed_size 0
		.amdhsa_kernarg_size 76
		.amdhsa_user_sgpr_count 15
		.amdhsa_user_sgpr_dispatch_ptr 0
		.amdhsa_user_sgpr_queue_ptr 0
		.amdhsa_user_sgpr_kernarg_segment_ptr 1
		.amdhsa_user_sgpr_dispatch_id 0
		.amdhsa_user_sgpr_private_segment_size 0
		.amdhsa_wavefront_size32 1
		.amdhsa_uses_dynamic_stack 0
		.amdhsa_enable_private_segment 0
		.amdhsa_system_sgpr_workgroup_id_x 1
		.amdhsa_system_sgpr_workgroup_id_y 0
		.amdhsa_system_sgpr_workgroup_id_z 0
		.amdhsa_system_sgpr_workgroup_info 0
		.amdhsa_system_vgpr_workitem_id 1
		.amdhsa_next_free_vgpr 49
		.amdhsa_next_free_sgpr 37
		.amdhsa_reserve_vcc 1
		.amdhsa_float_round_mode_32 0
		.amdhsa_float_round_mode_16_64 0
		.amdhsa_float_denorm_mode_32 3
		.amdhsa_float_denorm_mode_16_64 3
		.amdhsa_dx10_clamp 1
		.amdhsa_ieee_mode 1
		.amdhsa_fp16_overflow 0
		.amdhsa_workgroup_processor_mode 1
		.amdhsa_memory_ordered 1
		.amdhsa_forward_progress 0
		.amdhsa_shared_vgpr_count 0
		.amdhsa_exception_fp_ieee_invalid_op 0
		.amdhsa_exception_fp_denorm_src 0
		.amdhsa_exception_fp_ieee_div_zero 0
		.amdhsa_exception_fp_ieee_overflow 0
		.amdhsa_exception_fp_ieee_underflow 0
		.amdhsa_exception_fp_ieee_inexact 0
		.amdhsa_exception_int_div_zero 0
	.end_amdhsa_kernel
	.section	.text._ZN9rocsparseL26bsric0_2_8_unrolled_kernelILi4ELi32ELi2E21rocsparse_complex_numIdEEEv20rocsparse_direction_iiPKiS5_PT2_S5_PiS5_S8_21rocsparse_index_base_,"axG",@progbits,_ZN9rocsparseL26bsric0_2_8_unrolled_kernelILi4ELi32ELi2E21rocsparse_complex_numIdEEEv20rocsparse_direction_iiPKiS5_PT2_S5_PiS5_S8_21rocsparse_index_base_,comdat
.Lfunc_end60:
	.size	_ZN9rocsparseL26bsric0_2_8_unrolled_kernelILi4ELi32ELi2E21rocsparse_complex_numIdEEEv20rocsparse_direction_iiPKiS5_PT2_S5_PiS5_S8_21rocsparse_index_base_, .Lfunc_end60-_ZN9rocsparseL26bsric0_2_8_unrolled_kernelILi4ELi32ELi2E21rocsparse_complex_numIdEEEv20rocsparse_direction_iiPKiS5_PT2_S5_PiS5_S8_21rocsparse_index_base_
                                        ; -- End function
	.section	.AMDGPU.csdata,"",@progbits
; Kernel info:
; codeLenInByte = 5992
; NumSgprs: 39
; NumVgprs: 49
; ScratchSize: 0
; MemoryBound: 1
; FloatMode: 240
; IeeeMode: 1
; LDSByteSize: 768 bytes/workgroup (compile time only)
; SGPRBlocks: 4
; VGPRBlocks: 6
; NumSGPRsForWavesPerEU: 39
; NumVGPRsForWavesPerEU: 49
; Occupancy: 16
; WaveLimiterHint : 1
; COMPUTE_PGM_RSRC2:SCRATCH_EN: 0
; COMPUTE_PGM_RSRC2:USER_SGPR: 15
; COMPUTE_PGM_RSRC2:TRAP_HANDLER: 0
; COMPUTE_PGM_RSRC2:TGID_X_EN: 1
; COMPUTE_PGM_RSRC2:TGID_Y_EN: 0
; COMPUTE_PGM_RSRC2:TGID_Z_EN: 0
; COMPUTE_PGM_RSRC2:TIDIG_COMP_CNT: 1
	.section	.text._ZN9rocsparseL26bsric0_2_8_unrolled_kernelILi9ELi32ELi3E21rocsparse_complex_numIdEEEv20rocsparse_direction_iiPKiS5_PT2_S5_PiS5_S8_21rocsparse_index_base_,"axG",@progbits,_ZN9rocsparseL26bsric0_2_8_unrolled_kernelILi9ELi32ELi3E21rocsparse_complex_numIdEEEv20rocsparse_direction_iiPKiS5_PT2_S5_PiS5_S8_21rocsparse_index_base_,comdat
	.globl	_ZN9rocsparseL26bsric0_2_8_unrolled_kernelILi9ELi32ELi3E21rocsparse_complex_numIdEEEv20rocsparse_direction_iiPKiS5_PT2_S5_PiS5_S8_21rocsparse_index_base_ ; -- Begin function _ZN9rocsparseL26bsric0_2_8_unrolled_kernelILi9ELi32ELi3E21rocsparse_complex_numIdEEEv20rocsparse_direction_iiPKiS5_PT2_S5_PiS5_S8_21rocsparse_index_base_
	.p2align	8
	.type	_ZN9rocsparseL26bsric0_2_8_unrolled_kernelILi9ELi32ELi3E21rocsparse_complex_numIdEEEv20rocsparse_direction_iiPKiS5_PT2_S5_PiS5_S8_21rocsparse_index_base_,@function
_ZN9rocsparseL26bsric0_2_8_unrolled_kernelILi9ELi32ELi3E21rocsparse_complex_numIdEEEv20rocsparse_direction_iiPKiS5_PT2_S5_PiS5_S8_21rocsparse_index_base_: ; @_ZN9rocsparseL26bsric0_2_8_unrolled_kernelILi9ELi32ELi3E21rocsparse_complex_numIdEEEv20rocsparse_direction_iiPKiS5_PT2_S5_PiS5_S8_21rocsparse_index_base_
; %bb.0:
	s_load_b256 s[4:11], s[0:1], 0x28
	s_mov_b32 s2, s15
	s_mov_b32 s3, 0
	v_and_b32_e32 v14, 0x3ff, v0
	s_lshl_b64 s[12:13], s[2:3], 2
	v_bfe_u32 v15, v0, 10, 10
	s_waitcnt lgkmcnt(0)
	s_add_u32 s8, s8, s12
	s_addc_u32 s9, s9, s13
	s_load_b32 s16, s[8:9], 0x0
	s_waitcnt lgkmcnt(0)
	s_ashr_i32 s17, s16, 31
	s_delay_alu instid0(SALU_CYCLE_1) | instskip(NEXT) | instid1(SALU_CYCLE_1)
	s_lshl_b64 s[8:9], s[16:17], 2
	s_add_u32 s12, s4, s8
	s_addc_u32 s13, s5, s9
	s_load_b32 s26, s[12:13], 0x0
	s_load_b32 s17, s[0:1], 0x48
	s_waitcnt lgkmcnt(0)
	s_cmp_lg_u32 s26, -1
	s_cbranch_scc0 .LBB61_49
; %bb.1:
	s_clause 0x1
	s_load_b128 s[12:15], s[0:1], 0x10
	s_load_b64 s[18:19], s[0:1], 0x20
	v_mad_u32_u24 v16, v15, 3, v14
	s_waitcnt lgkmcnt(0)
	s_add_u32 s2, s12, s8
	s_addc_u32 s3, s13, s9
	s_load_b32 s2, s[2:3], 0x0
	s_mov_b32 s3, exec_lo
	s_waitcnt lgkmcnt(0)
	s_sub_i32 s27, s2, s17
	s_delay_alu instid0(SALU_CYCLE_1) | instskip(NEXT) | instid1(VALU_DEP_1)
	v_add_nc_u32_e32 v0, s27, v16
	v_cmpx_ge_i32_e64 s26, v0
	s_cbranch_execz .LBB61_4
; %bb.2:
	v_ashrrev_i32_e32 v1, 31, v0
	v_lshl_add_u32 v3, v16, 2, 0x400
	s_mov_b32 s20, 0
	s_delay_alu instid0(VALU_DEP_2) | instskip(NEXT) | instid1(VALU_DEP_1)
	v_lshlrev_b64 v[1:2], 2, v[0:1]
	v_add_co_u32 v1, vcc_lo, s14, v1
	s_delay_alu instid0(VALU_DEP_2)
	v_add_co_ci_u32_e32 v2, vcc_lo, s15, v2, vcc_lo
.LBB61_3:                               ; =>This Inner Loop Header: Depth=1
	global_load_b32 v4, v[1:2], off
	v_add_nc_u32_e32 v0, 9, v0
	v_add_co_u32 v1, vcc_lo, v1, 36
	v_add_co_ci_u32_e32 v2, vcc_lo, 0, v2, vcc_lo
	s_delay_alu instid0(VALU_DEP_3) | instskip(NEXT) | instid1(VALU_DEP_1)
	v_cmp_lt_i32_e64 s2, s26, v0
	s_or_b32 s20, s2, s20
	s_waitcnt vmcnt(0)
	v_subrev_nc_u32_e32 v4, s17, v4
	ds_store_b32 v3, v4
	v_add_nc_u32_e32 v3, 36, v3
	s_and_not1_b32 exec_lo, exec_lo, s20
	s_cbranch_execnz .LBB61_3
.LBB61_4:
	s_or_b32 exec_lo, exec_lo, s3
	s_load_b32 s28, s[0:1], 0x0
	v_mov_b32_e32 v0, 0
	v_lshlrev_b32_e32 v4, 4, v14
	v_mul_u32_u24_e32 v20, 3, v15
	v_mad_u32_u24 v17, v14, 3, v15
	s_cmp_ge_i32 s27, s26
	v_mov_b32_e32 v1, v0
	v_lshl_add_u32 v19, v15, 6, v4
	v_mov_b32_e32 v2, v0
	s_delay_alu instid0(VALU_DEP_2)
	v_dual_mov_b32 v3, v0 :: v_dual_add_nc_u32 v18, 0x240, v19
	ds_store_b128 v19, v[0:3] offset:576
	s_waitcnt lgkmcnt(0)
	buffer_gl0_inv
	s_cbranch_scc1 .LBB61_42
; %bb.5:
	v_lshlrev_b32_e32 v1, 6, v15
	s_cmp_eq_u32 s28, 0
	v_mad_u32_u24 v2, v14, 3, v15
	v_or_b32_e32 v3, v14, v15
	s_cselect_b32 vcc_lo, -1, 0
	v_add_nc_u32_e32 v22, 0x180, v1
	v_add_nc_u32_e32 v23, 0xc0, v1
	v_cndmask_b32_e32 v5, v2, v16, vcc_lo
	v_mul_u32_u24_e32 v21, 3, v14
	v_add_nc_u32_e32 v24, v1, v4
	v_add_nc_u32_e32 v25, v22, v4
	;; [unrolled: 1-line block ×3, first 2 shown]
	v_cmp_ne_u32_e64 s0, 0, v3
	v_lshl_add_u32 v27, v14, 6, 0x180
	s_cmp_lg_u32 s28, 0
	s_mov_b32 s2, s27
	s_cselect_b32 s29, -1, 0
	s_branch .LBB61_9
.LBB61_6:                               ;   in Loop: Header=BB61_9 Depth=1
	s_or_b32 exec_lo, exec_lo, s20
	v_mov_b32_e32 v8, 0
	v_dual_mov_b32 v9, 0x3ff00000 :: v_dual_mov_b32 v10, 0
	v_mov_b32_e32 v11, 0
.LBB61_7:                               ;   in Loop: Header=BB61_9 Depth=1
	s_or_b32 exec_lo, exec_lo, s1
	s_delay_alu instid0(VALU_DEP_1)
	v_mul_f64 v[12:13], v[10:11], v[10:11]
	ds_load_b128 v[28:31], v0 offset:128
	ds_load_b128 v[32:35], v23 offset:32
	ds_load_b128 v[36:39], v22
	ds_load_b128 v[40:43], v22 offset:16
	s_add_i32 s2, s2, 1
	s_delay_alu instid0(SALU_CYCLE_1)
	s_cmp_ge_i32 s2, s26
	s_cselect_b32 s23, -1, 0
	s_waitcnt lgkmcnt(1)
	v_fma_f64 v[34:35], v[30:31], v[36:37], v[34:35]
	v_fma_f64 v[32:33], v[28:29], v[36:37], v[32:33]
	;; [unrolled: 1-line block ×3, first 2 shown]
	s_delay_alu instid0(VALU_DEP_3) | instskip(NEXT) | instid1(VALU_DEP_3)
	v_fma_f64 v[34:35], v[28:29], -v[38:39], v[34:35]
	v_fma_f64 v[32:33], v[30:31], v[38:39], v[32:33]
	ds_load_b128 v[28:31], v0 offset:144
	v_div_scale_f64 v[44:45], null, v[12:13], v[12:13], 1.0
	v_div_scale_f64 v[38:39], vcc_lo, 1.0, v[12:13], 1.0
	s_waitcnt lgkmcnt(0)
	v_fma_f64 v[34:35], v[30:31], v[40:41], v[34:35]
	v_fma_f64 v[32:33], v[28:29], v[40:41], v[32:33]
	s_delay_alu instid0(VALU_DEP_4) | instskip(NEXT) | instid1(VALU_DEP_2)
	v_rcp_f64_e32 v[46:47], v[44:45]
	v_fma_f64 v[28:29], v[28:29], -v[42:43], v[34:35]
	s_delay_alu instid0(VALU_DEP_2) | instskip(SKIP_4) | instid1(VALU_DEP_3)
	v_fma_f64 v[30:31], v[30:31], v[42:43], v[32:33]
	s_waitcnt_depctr 0xfff
	v_fma_f64 v[48:49], -v[44:45], v[46:47], 1.0
	v_add_f64 v[3:4], v[3:4], -v[28:29]
	v_add_f64 v[1:2], v[1:2], -v[30:31]
	v_fma_f64 v[46:47], v[46:47], v[48:49], v[46:47]
	s_delay_alu instid0(VALU_DEP_3) | instskip(NEXT) | instid1(VALU_DEP_3)
	v_mul_f64 v[30:31], v[10:11], v[3:4]
	v_mul_f64 v[10:11], v[10:11], -v[1:2]
	s_delay_alu instid0(VALU_DEP_3) | instskip(NEXT) | instid1(VALU_DEP_3)
	v_fma_f64 v[36:37], -v[44:45], v[46:47], 1.0
	v_fma_f64 v[1:2], v[1:2], v[8:9], v[30:31]
	s_delay_alu instid0(VALU_DEP_3) | instskip(NEXT) | instid1(VALU_DEP_3)
	v_fma_f64 v[3:4], v[3:4], v[8:9], v[10:11]
	v_fma_f64 v[36:37], v[46:47], v[36:37], v[46:47]
	s_delay_alu instid0(VALU_DEP_1) | instskip(NEXT) | instid1(VALU_DEP_1)
	v_mul_f64 v[34:35], v[38:39], v[36:37]
	v_fma_f64 v[28:29], -v[44:45], v[34:35], v[38:39]
	s_delay_alu instid0(VALU_DEP_1) | instskip(NEXT) | instid1(VALU_DEP_1)
	v_div_fmas_f64 v[28:29], v[28:29], v[36:37], v[34:35]
	v_div_fixup_f64 v[12:13], v[28:29], v[12:13], 1.0
	s_delay_alu instid0(VALU_DEP_1)
	v_mul_f64 v[1:2], v[12:13], v[1:2]
	v_mul_f64 v[3:4], v[12:13], v[3:4]
	ds_store_b128 v22, v[1:4] offset:32
	s_waitcnt lgkmcnt(0)
	s_waitcnt_vscnt null, 0x0
	buffer_gl0_inv
	ds_load_b128 v[8:11], v27 offset:32
	ds_load_b128 v[28:31], v18
	s_waitcnt lgkmcnt(0)
	v_fma_f64 v[12:13], v[1:2], v[8:9], v[28:29]
	v_fma_f64 v[28:29], v[3:4], v[8:9], v[30:31]
	s_delay_alu instid0(VALU_DEP_2) | instskip(NEXT) | instid1(VALU_DEP_2)
	v_fma_f64 v[8:9], v[3:4], v[10:11], v[12:13]
	v_fma_f64 v[10:11], v[1:2], -v[10:11], v[28:29]
	ds_store_b128 v18, v[8:11]
	s_waitcnt lgkmcnt(0)
	buffer_gl0_inv
	ds_load_2addr_b64 v[1:4], v25 offset1:1
	s_waitcnt lgkmcnt(0)
	global_store_b128 v[6:7], v[1:4], off
	s_waitcnt_vscnt null, 0x0
	buffer_gl1_inv
	buffer_gl0_inv
.LBB61_8:                               ;   in Loop: Header=BB61_9 Depth=1
	s_and_b32 vcc_lo, exec_lo, s23
	s_cbranch_vccnz .LBB61_42
.LBB61_9:                               ; =>This Loop Header: Depth=1
                                        ;     Child Loop BB61_12 Depth 2
                                        ;     Child Loop BB61_23 Depth 2
	s_ashr_i32 s3, s2, 31
	s_delay_alu instid0(SALU_CYCLE_1) | instskip(NEXT) | instid1(SALU_CYCLE_1)
	s_lshl_b64 s[20:21], s[2:3], 2
	s_add_u32 s20, s14, s20
	s_addc_u32 s21, s15, s21
	s_load_b32 s3, s[20:21], 0x0
	s_waitcnt lgkmcnt(0)
	s_sub_i32 s22, s3, s17
	s_delay_alu instid0(SALU_CYCLE_1) | instskip(NEXT) | instid1(SALU_CYCLE_1)
	s_ashr_i32 s23, s22, 31
	s_lshl_b64 s[20:21], s[22:23], 2
	s_mov_b32 s23, -1
	s_add_u32 s24, s4, s20
	s_addc_u32 s25, s5, s21
	s_load_b32 s1, s[24:25], 0x0
	s_waitcnt lgkmcnt(0)
	s_cmp_eq_u32 s1, -1
	s_cbranch_scc1 .LBB61_8
; %bb.10:                               ;   in Loop: Header=BB61_9 Depth=1
	v_mad_u64_u32 v[1:2], null, s2, 9, v[5:6]
	s_add_u32 s24, s12, s20
	s_addc_u32 s25, s13, s21
	ds_load_b32 v8, v0 offset:1024
	s_load_b32 s23, s[24:25], 0x0
	v_ashrrev_i32_e32 v2, 31, v1
	s_delay_alu instid0(VALU_DEP_1) | instskip(NEXT) | instid1(VALU_DEP_1)
	v_lshlrev_b64 v[1:2], 4, v[1:2]
	v_add_co_u32 v6, vcc_lo, s18, v1
	s_delay_alu instid0(VALU_DEP_2)
	v_add_co_ci_u32_e32 v7, vcc_lo, s19, v2, vcc_lo
	s_waitcnt lgkmcnt(0)
	v_cmp_ge_i32_e32 vcc_lo, s22, v8
	s_sub_i32 s24, s23, s17
	global_load_b128 v[1:4], v[6:7], off
	s_cmp_le_i32 s24, s1
	s_cselect_b32 s23, -1, 0
	s_delay_alu instid0(SALU_CYCLE_1) | instskip(NEXT) | instid1(SALU_CYCLE_1)
	s_and_b32 s23, s23, vcc_lo
	s_and_not1_b32 vcc_lo, exec_lo, s23
	s_mov_b32 s23, 0
	s_waitcnt vmcnt(0)
	ds_store_2addr_b64 v25, v[1:2], v[3:4] offset1:1
	s_cbranch_vccnz .LBB61_22
; %bb.11:                               ;   in Loop: Header=BB61_9 Depth=1
	s_mov_b32 s30, 0
	s_mov_b32 s31, 0
.LBB61_12:                              ;   Parent Loop BB61_9 Depth=1
                                        ; =>  This Inner Loop Header: Depth=2
	s_ashr_i32 s25, s24, 31
                                        ; implicit-def: $sgpr33
	s_delay_alu instid0(SALU_CYCLE_1) | instskip(NEXT) | instid1(SALU_CYCLE_1)
	s_lshl_b64 s[34:35], s[24:25], 2
	s_add_u32 s34, s14, s34
	s_addc_u32 s35, s15, s35
	s_lshl_b32 s23, s31, 2
	s_delay_alu instid0(SALU_CYCLE_1)
	v_mov_b32_e32 v1, s23
	s_load_b32 s23, s[34:35], 0x0
	s_mov_b32 s35, -1
                                        ; implicit-def: $sgpr34
	ds_load_b32 v1, v1 offset:1024
	s_waitcnt lgkmcnt(0)
	s_sub_i32 s36, s23, s17
                                        ; implicit-def: $sgpr23
	s_delay_alu instid0(SALU_CYCLE_1)
	v_cmp_ge_i32_e32 vcc_lo, s36, v1
	v_readfirstlane_b32 s25, v1
	s_cbranch_vccz .LBB61_18
; %bb.13:                               ;   in Loop: Header=BB61_12 Depth=2
	s_delay_alu instid0(VALU_DEP_1)
	s_cmp_le_i32 s36, s25
                                        ; implicit-def: $sgpr23
                                        ; implicit-def: $sgpr34
                                        ; implicit-def: $sgpr33
	s_cbranch_scc0 .LBB61_15
; %bb.14:                               ;   in Loop: Header=BB61_12 Depth=2
	s_add_i32 s23, s31, s27
	s_lshl_b32 s33, s30, 2
	s_mul_i32 s23, s23, 9
	s_delay_alu instid0(SALU_CYCLE_1)
	v_dual_mov_b32 v1, s33 :: v_dual_mov_b32 v2, s23
	s_mul_i32 s33, s24, 9
	s_add_i32 s34, s24, 1
	v_mov_b32_e32 v3, s33
	s_add_i32 s33, s31, 1
	s_add_i32 s23, s30, 1
	s_mov_b32 s35, 0
	ds_store_2addr_b32 v1, v3, v2 offset0:192 offset1:224
.LBB61_15:                              ;   in Loop: Header=BB61_12 Depth=2
	s_and_not1_b32 vcc_lo, exec_lo, s35
	s_cbranch_vccnz .LBB61_17
; %bb.16:                               ;   in Loop: Header=BB61_12 Depth=2
	s_add_i32 s33, s31, 1
	s_mov_b32 s23, s30
	s_mov_b32 s34, s24
.LBB61_17:                              ;   in Loop: Header=BB61_12 Depth=2
	s_mov_b32 s35, 0
.LBB61_18:                              ;   in Loop: Header=BB61_12 Depth=2
	s_delay_alu instid0(SALU_CYCLE_1)
	s_and_not1_b32 vcc_lo, exec_lo, s35
	s_cbranch_vccnz .LBB61_20
; %bb.19:                               ;   in Loop: Header=BB61_12 Depth=2
	s_add_i32 s34, s24, 1
	s_mov_b32 s33, s31
	s_mov_b32 s23, s30
.LBB61_20:                              ;   in Loop: Header=BB61_12 Depth=2
	s_cmp_le_i32 s34, s1
	s_cselect_b32 s24, -1, 0
	s_cmp_le_i32 s25, s22
	s_cselect_b32 s25, -1, 0
	s_delay_alu instid0(SALU_CYCLE_1) | instskip(NEXT) | instid1(SALU_CYCLE_1)
	s_and_b32 s24, s24, s25
	s_and_b32 vcc_lo, exec_lo, s24
	s_cbranch_vccz .LBB61_22
; %bb.21:                               ;   in Loop: Header=BB61_12 Depth=2
	s_mov_b32 s30, s23
	s_mov_b32 s24, s34
	;; [unrolled: 1-line block ×3, first 2 shown]
	s_branch .LBB61_12
.LBB61_22:                              ;   in Loop: Header=BB61_9 Depth=1
	s_add_u32 s20, s6, s20
	s_addc_u32 s21, s7, s21
	s_waitcnt lgkmcnt(0)
	buffer_gl0_inv
.LBB61_23:                              ;   Parent Loop BB61_9 Depth=1
                                        ; =>  This Inner Loop Header: Depth=2
	global_load_b32 v1, v0, s[20:21] glc
	s_waitcnt vmcnt(0)
	v_cmp_eq_u32_e32 vcc_lo, 0, v1
	s_cbranch_vccnz .LBB61_23
; %bb.24:                               ;   in Loop: Header=BB61_9 Depth=1
	v_mad_u64_u32 v[1:2], null, s1, 9, v[5:6]
	buffer_gl1_inv
	buffer_gl0_inv
	v_mov_b32_e32 v3, 0
	v_mov_b32_e32 v4, 0
	s_cmp_lt_i32 s23, 2
	v_ashrrev_i32_e32 v2, 31, v1
	s_delay_alu instid0(VALU_DEP_1) | instskip(NEXT) | instid1(VALU_DEP_1)
	v_lshlrev_b64 v[1:2], 4, v[1:2]
	v_add_co_u32 v1, vcc_lo, s18, v1
	s_delay_alu instid0(VALU_DEP_2)
	v_add_co_ci_u32_e32 v2, vcc_lo, s19, v2, vcc_lo
	global_load_b128 v[8:11], v[1:2], off
	v_dual_mov_b32 v1, v3 :: v_dual_mov_b32 v2, v4
	s_waitcnt vmcnt(0)
	ds_store_2addr_b64 v24, v[8:9], v[10:11] offset1:1
	s_waitcnt lgkmcnt(0)
	buffer_gl0_inv
	s_cbranch_scc1 .LBB61_31
; %bb.25:                               ;   in Loop: Header=BB61_9 Depth=1
	v_mov_b32_e32 v8, 0
	v_mov_b32_e32 v9, 0
	s_add_i32 s1, s23, -1
	s_movk_i32 s20, 0x300
	s_delay_alu instid0(VALU_DEP_1)
	v_dual_mov_b32 v11, v9 :: v_dual_mov_b32 v10, v8
	v_mov_b32_e32 v1, s20
	s_and_b32 vcc_lo, exec_lo, s29
	ds_load_2addr_b32 v[12:13], v1 offset1:32
	s_cbranch_vccz .LBB61_27
.LBB61_26:                              ;   in Loop: Header=BB61_9 Depth=1
	s_waitcnt lgkmcnt(0)
	v_add_nc_u32_e32 v40, v12, v14
	v_add_nc_u32_e32 v42, v13, v15
	s_delay_alu instid0(VALU_DEP_2) | instskip(NEXT) | instid1(VALU_DEP_2)
	v_ashrrev_i32_e32 v41, 31, v40
	v_ashrrev_i32_e32 v43, 31, v42
	v_add_nc_u32_e32 v32, 3, v40
	v_add_nc_u32_e32 v34, 3, v42
	s_delay_alu instid0(VALU_DEP_4) | instskip(NEXT) | instid1(VALU_DEP_4)
	v_lshlrev_b64 v[1:2], 4, v[40:41]
	v_lshlrev_b64 v[3:4], 4, v[42:43]
	s_delay_alu instid0(VALU_DEP_4) | instskip(NEXT) | instid1(VALU_DEP_4)
	v_ashrrev_i32_e32 v33, 31, v32
	v_ashrrev_i32_e32 v35, 31, v34
	v_add_nc_u32_e32 v40, 6, v40
	v_add_nc_u32_e32 v42, 6, v42
	v_add_co_u32 v1, vcc_lo, s18, v1
	v_add_co_ci_u32_e32 v2, vcc_lo, s19, v2, vcc_lo
	v_add_co_u32 v28, vcc_lo, s18, v3
	v_add_co_ci_u32_e32 v29, vcc_lo, s19, v4, vcc_lo
	v_lshlrev_b64 v[32:33], 4, v[32:33]
	s_clause 0x1
	global_load_b128 v[1:4], v[1:2], off
	global_load_b128 v[28:31], v[28:29], off
	v_lshlrev_b64 v[34:35], 4, v[34:35]
	v_ashrrev_i32_e32 v41, 31, v40
	v_ashrrev_i32_e32 v43, 31, v42
	v_add_co_u32 v32, vcc_lo, s18, v32
	v_add_co_ci_u32_e32 v33, vcc_lo, s19, v33, vcc_lo
	v_add_co_u32 v36, vcc_lo, s18, v34
	v_add_co_ci_u32_e32 v37, vcc_lo, s19, v35, vcc_lo
	s_clause 0x1
	global_load_b128 v[32:35], v[32:33], off
	global_load_b128 v[36:39], v[36:37], off
	v_lshlrev_b64 v[40:41], 4, v[40:41]
	v_lshlrev_b64 v[42:43], 4, v[42:43]
	s_delay_alu instid0(VALU_DEP_2) | instskip(NEXT) | instid1(VALU_DEP_3)
	v_add_co_u32 v40, vcc_lo, s18, v40
	v_add_co_ci_u32_e32 v41, vcc_lo, s19, v41, vcc_lo
	s_delay_alu instid0(VALU_DEP_3) | instskip(NEXT) | instid1(VALU_DEP_4)
	v_add_co_u32 v44, vcc_lo, s18, v42
	v_add_co_ci_u32_e32 v45, vcc_lo, s19, v43, vcc_lo
	s_clause 0x1
	global_load_b128 v[40:43], v[40:41], off
	global_load_b128 v[44:47], v[44:45], off
	s_waitcnt vmcnt(4)
	v_fma_f64 v[48:49], v[1:2], v[28:29], v[10:11]
	v_fma_f64 v[28:29], v[3:4], v[28:29], v[8:9]
	s_delay_alu instid0(VALU_DEP_2) | instskip(NEXT) | instid1(VALU_DEP_2)
	v_fma_f64 v[3:4], v[3:4], v[30:31], v[48:49]
	v_fma_f64 v[1:2], v[1:2], -v[30:31], v[28:29]
	s_waitcnt vmcnt(2)
	s_delay_alu instid0(VALU_DEP_2) | instskip(NEXT) | instid1(VALU_DEP_2)
	v_fma_f64 v[3:4], v[32:33], v[36:37], v[3:4]
	v_fma_f64 v[1:2], v[34:35], v[36:37], v[1:2]
	s_delay_alu instid0(VALU_DEP_2) | instskip(NEXT) | instid1(VALU_DEP_2)
	v_fma_f64 v[3:4], v[34:35], v[38:39], v[3:4]
	v_fma_f64 v[1:2], v[32:33], -v[38:39], v[1:2]
	s_waitcnt vmcnt(0)
	s_delay_alu instid0(VALU_DEP_2) | instskip(NEXT) | instid1(VALU_DEP_2)
	v_fma_f64 v[3:4], v[40:41], v[44:45], v[3:4]
	v_fma_f64 v[28:29], v[42:43], v[44:45], v[1:2]
	s_delay_alu instid0(VALU_DEP_2) | instskip(NEXT) | instid1(VALU_DEP_2)
	v_fma_f64 v[1:2], v[42:43], v[46:47], v[3:4]
	v_fma_f64 v[3:4], v[40:41], -v[46:47], v[28:29]
	s_cbranch_execz .LBB61_28
	s_branch .LBB61_29
.LBB61_27:                              ;   in Loop: Header=BB61_9 Depth=1
                                        ; implicit-def: $vgpr3_vgpr4
.LBB61_28:                              ;   in Loop: Header=BB61_9 Depth=1
	s_waitcnt lgkmcnt(0)
	v_add_nc_u32_e32 v1, v12, v21
	v_add_nc_u32_e32 v3, v13, v20
	s_delay_alu instid0(VALU_DEP_2) | instskip(NEXT) | instid1(VALU_DEP_2)
	v_ashrrev_i32_e32 v2, 31, v1
	v_ashrrev_i32_e32 v4, 31, v3
	s_delay_alu instid0(VALU_DEP_2) | instskip(NEXT) | instid1(VALU_DEP_2)
	v_lshlrev_b64 v[1:2], 4, v[1:2]
	v_lshlrev_b64 v[3:4], 4, v[3:4]
	s_delay_alu instid0(VALU_DEP_2) | instskip(NEXT) | instid1(VALU_DEP_3)
	v_add_co_u32 v12, vcc_lo, s18, v1
	v_add_co_ci_u32_e32 v13, vcc_lo, s19, v2, vcc_lo
	s_delay_alu instid0(VALU_DEP_3) | instskip(NEXT) | instid1(VALU_DEP_4)
	v_add_co_u32 v44, vcc_lo, s18, v3
	v_add_co_ci_u32_e32 v45, vcc_lo, s19, v4, vcc_lo
	s_clause 0x5
	global_load_b128 v[1:4], v[12:13], off
	global_load_b128 v[28:31], v[44:45], off
	global_load_b128 v[32:35], v[12:13], off offset:16
	global_load_b128 v[36:39], v[44:45], off offset:16
	;; [unrolled: 1-line block ×4, first 2 shown]
	s_waitcnt vmcnt(4)
	v_fma_f64 v[10:11], v[1:2], v[28:29], v[10:11]
	v_fma_f64 v[8:9], v[3:4], v[28:29], v[8:9]
	s_delay_alu instid0(VALU_DEP_2) | instskip(NEXT) | instid1(VALU_DEP_2)
	v_fma_f64 v[3:4], v[3:4], v[30:31], v[10:11]
	v_fma_f64 v[1:2], v[1:2], -v[30:31], v[8:9]
	s_waitcnt vmcnt(2)
	s_delay_alu instid0(VALU_DEP_2) | instskip(NEXT) | instid1(VALU_DEP_2)
	v_fma_f64 v[3:4], v[32:33], v[36:37], v[3:4]
	v_fma_f64 v[1:2], v[34:35], v[36:37], v[1:2]
	s_delay_alu instid0(VALU_DEP_2) | instskip(NEXT) | instid1(VALU_DEP_2)
	v_fma_f64 v[3:4], v[34:35], v[38:39], v[3:4]
	v_fma_f64 v[1:2], v[32:33], -v[38:39], v[1:2]
	s_waitcnt vmcnt(0)
	s_delay_alu instid0(VALU_DEP_2) | instskip(NEXT) | instid1(VALU_DEP_2)
	v_fma_f64 v[3:4], v[40:41], v[44:45], v[3:4]
	v_fma_f64 v[8:9], v[42:43], v[44:45], v[1:2]
	s_delay_alu instid0(VALU_DEP_2) | instskip(NEXT) | instid1(VALU_DEP_2)
	v_fma_f64 v[1:2], v[42:43], v[46:47], v[3:4]
	v_fma_f64 v[3:4], v[40:41], -v[46:47], v[8:9]
.LBB61_29:                              ;   in Loop: Header=BB61_9 Depth=1
	s_add_i32 s1, s1, -1
	s_add_i32 s20, s20, 4
	s_cmp_eq_u32 s1, 0
	s_cbranch_scc1 .LBB61_31
; %bb.30:                               ;   in Loop: Header=BB61_9 Depth=1
	s_delay_alu instid0(VALU_DEP_1) | instskip(NEXT) | instid1(VALU_DEP_3)
	v_dual_mov_b32 v9, v4 :: v_dual_mov_b32 v8, v3
	v_dual_mov_b32 v11, v2 :: v_dual_mov_b32 v10, v1
	v_mov_b32_e32 v1, s20
	s_and_b32 vcc_lo, exec_lo, s29
	s_waitcnt lgkmcnt(0)
	ds_load_2addr_b32 v[12:13], v1 offset1:32
	s_cbranch_vccz .LBB61_27
	s_branch .LBB61_26
.LBB61_31:                              ;   in Loop: Header=BB61_9 Depth=1
	ds_store_b128 v26, v[1:4]
	s_waitcnt lgkmcnt(0)
	buffer_gl0_inv
	ds_load_b128 v[8:11], v0
	ds_load_b128 v[1:4], v22
	s_waitcnt lgkmcnt(1)
	v_cmp_neq_f64_e32 vcc_lo, 0, v[8:9]
	v_cmp_neq_f64_e64 s1, 0, v[10:11]
	s_delay_alu instid0(VALU_DEP_1) | instskip(SKIP_4) | instid1(SALU_CYCLE_1)
	s_or_b32 vcc_lo, vcc_lo, s1
	v_cndmask_b32_e32 v9, 0x3ff00000, v9, vcc_lo
	v_dual_cndmask_b32 v8, 0, v8 :: v_dual_cndmask_b32 v11, 0, v11
	v_cndmask_b32_e32 v10, 0, v10, vcc_lo
	s_or_b32 s1, vcc_lo, s0
	s_xor_b32 s20, s1, -1
	s_delay_alu instid0(SALU_CYCLE_1)
	s_and_saveexec_b32 s1, s20
	s_cbranch_execz .LBB61_35
; %bb.32:                               ;   in Loop: Header=BB61_9 Depth=1
	v_mbcnt_lo_u32_b32 v8, exec_lo, 0
	s_mov_b32 s20, exec_lo
	s_delay_alu instid0(VALU_DEP_1)
	v_cmpx_eq_u32_e32 0, v8
	s_cbranch_execz .LBB61_34
; %bb.33:                               ;   in Loop: Header=BB61_9 Depth=1
	v_mov_b32_e32 v8, s3
	global_atomic_min_i32 v0, v8, s[10:11]
.LBB61_34:                              ;   in Loop: Header=BB61_9 Depth=1
	s_or_b32 exec_lo, exec_lo, s20
	v_mov_b32_e32 v8, 0
	v_dual_mov_b32 v9, 0x3ff00000 :: v_dual_mov_b32 v10, 0
	v_mov_b32_e32 v11, 0
.LBB61_35:                              ;   in Loop: Header=BB61_9 Depth=1
	s_or_b32 exec_lo, exec_lo, s1
	s_delay_alu instid0(VALU_DEP_1) | instskip(NEXT) | instid1(VALU_DEP_1)
	v_mul_f64 v[12:13], v[10:11], v[10:11]
	v_fma_f64 v[12:13], v[8:9], v[8:9], v[12:13]
	s_delay_alu instid0(VALU_DEP_1) | instskip(SKIP_1) | instid1(VALU_DEP_2)
	v_div_scale_f64 v[32:33], null, v[12:13], v[12:13], 1.0
	v_div_scale_f64 v[34:35], vcc_lo, 1.0, v[12:13], 1.0
	v_rcp_f64_e32 v[28:29], v[32:33]
	s_waitcnt_depctr 0xfff
	v_fma_f64 v[30:31], -v[32:33], v[28:29], 1.0
	s_delay_alu instid0(VALU_DEP_1) | instskip(NEXT) | instid1(VALU_DEP_1)
	v_fma_f64 v[28:29], v[28:29], v[30:31], v[28:29]
	v_fma_f64 v[30:31], -v[32:33], v[28:29], 1.0
	s_delay_alu instid0(VALU_DEP_1)
	v_fma_f64 v[36:37], v[28:29], v[30:31], v[28:29]
	ds_load_b128 v[28:31], v23
	s_waitcnt lgkmcnt(0)
	v_add_f64 v[3:4], v[3:4], -v[30:31]
	v_add_f64 v[1:2], v[1:2], -v[28:29]
	v_mul_f64 v[38:39], v[34:35], v[36:37]
	s_delay_alu instid0(VALU_DEP_3) | instskip(NEXT) | instid1(VALU_DEP_3)
	v_mul_f64 v[28:29], v[10:11], v[3:4]
	v_mul_f64 v[10:11], v[10:11], -v[1:2]
	s_delay_alu instid0(VALU_DEP_3) | instskip(NEXT) | instid1(VALU_DEP_3)
	v_fma_f64 v[30:31], -v[32:33], v[38:39], v[34:35]
	v_fma_f64 v[1:2], v[1:2], v[8:9], v[28:29]
	s_delay_alu instid0(VALU_DEP_3) | instskip(NEXT) | instid1(VALU_DEP_3)
	v_fma_f64 v[3:4], v[3:4], v[8:9], v[10:11]
	v_div_fmas_f64 v[30:31], v[30:31], v[36:37], v[38:39]
	s_delay_alu instid0(VALU_DEP_1) | instskip(NEXT) | instid1(VALU_DEP_1)
	v_div_fixup_f64 v[12:13], v[30:31], v[12:13], 1.0
	v_mul_f64 v[1:2], v[12:13], v[1:2]
	s_delay_alu instid0(VALU_DEP_4)
	v_mul_f64 v[3:4], v[12:13], v[3:4]
	ds_store_b128 v22, v[1:4]
	s_waitcnt lgkmcnt(0)
	s_waitcnt_vscnt null, 0x0
	buffer_gl0_inv
	ds_load_b128 v[8:11], v27
	ds_load_b128 v[28:31], v18
	s_waitcnt lgkmcnt(0)
	v_fma_f64 v[12:13], v[1:2], v[8:9], v[28:29]
	v_fma_f64 v[28:29], v[3:4], v[8:9], v[30:31]
	s_delay_alu instid0(VALU_DEP_2) | instskip(NEXT) | instid1(VALU_DEP_2)
	v_fma_f64 v[8:9], v[3:4], v[10:11], v[12:13]
	v_fma_f64 v[10:11], v[1:2], -v[10:11], v[28:29]
	ds_store_b128 v18, v[8:11]
	s_waitcnt lgkmcnt(0)
	buffer_gl0_inv
	ds_load_b128 v[8:11], v0 offset:80
	ds_load_b128 v[1:4], v22 offset:16
	s_waitcnt lgkmcnt(1)
	v_cmp_neq_f64_e32 vcc_lo, 0, v[8:9]
	v_cmp_neq_f64_e64 s1, 0, v[10:11]
	s_delay_alu instid0(VALU_DEP_1) | instskip(SKIP_4) | instid1(SALU_CYCLE_1)
	s_or_b32 vcc_lo, vcc_lo, s1
	v_cndmask_b32_e32 v9, 0x3ff00000, v9, vcc_lo
	v_dual_cndmask_b32 v8, 0, v8 :: v_dual_cndmask_b32 v11, 0, v11
	v_cndmask_b32_e32 v10, 0, v10, vcc_lo
	s_or_b32 s1, vcc_lo, s0
	s_xor_b32 s20, s1, -1
	s_delay_alu instid0(SALU_CYCLE_1)
	s_and_saveexec_b32 s1, s20
	s_cbranch_execz .LBB61_39
; %bb.36:                               ;   in Loop: Header=BB61_9 Depth=1
	v_mbcnt_lo_u32_b32 v8, exec_lo, 0
	s_mov_b32 s20, exec_lo
	s_delay_alu instid0(VALU_DEP_1)
	v_cmpx_eq_u32_e32 0, v8
	s_cbranch_execz .LBB61_38
; %bb.37:                               ;   in Loop: Header=BB61_9 Depth=1
	v_mov_b32_e32 v8, s3
	global_atomic_min_i32 v0, v8, s[10:11]
.LBB61_38:                              ;   in Loop: Header=BB61_9 Depth=1
	s_or_b32 exec_lo, exec_lo, s20
	v_mov_b32_e32 v8, 0
	v_dual_mov_b32 v9, 0x3ff00000 :: v_dual_mov_b32 v10, 0
	v_mov_b32_e32 v11, 0
.LBB61_39:                              ;   in Loop: Header=BB61_9 Depth=1
	s_or_b32 exec_lo, exec_lo, s1
	s_delay_alu instid0(VALU_DEP_1) | instskip(NEXT) | instid1(VALU_DEP_1)
	v_mul_f64 v[12:13], v[10:11], v[10:11]
	v_fma_f64 v[12:13], v[8:9], v[8:9], v[12:13]
	s_delay_alu instid0(VALU_DEP_1) | instskip(SKIP_1) | instid1(VALU_DEP_2)
	v_div_scale_f64 v[40:41], null, v[12:13], v[12:13], 1.0
	v_div_scale_f64 v[46:47], vcc_lo, 1.0, v[12:13], 1.0
	v_rcp_f64_e32 v[28:29], v[40:41]
	s_waitcnt_depctr 0xfff
	v_fma_f64 v[30:31], -v[40:41], v[28:29], 1.0
	s_delay_alu instid0(VALU_DEP_1)
	v_fma_f64 v[42:43], v[28:29], v[30:31], v[28:29]
	ds_load_b128 v[28:31], v0 offset:64
	ds_load_b128 v[32:35], v22
	ds_load_b128 v[36:39], v23 offset:16
	s_waitcnt lgkmcnt(0)
	v_fma_f64 v[38:39], v[30:31], v[32:33], v[38:39]
	v_fma_f64 v[32:33], v[28:29], v[32:33], v[36:37]
	v_fma_f64 v[44:45], -v[40:41], v[42:43], 1.0
	s_delay_alu instid0(VALU_DEP_3) | instskip(NEXT) | instid1(VALU_DEP_3)
	v_fma_f64 v[28:29], v[28:29], -v[34:35], v[38:39]
	v_fma_f64 v[30:31], v[30:31], v[34:35], v[32:33]
	s_delay_alu instid0(VALU_DEP_3) | instskip(NEXT) | instid1(VALU_DEP_3)
	v_fma_f64 v[42:43], v[42:43], v[44:45], v[42:43]
	v_add_f64 v[3:4], v[3:4], -v[28:29]
	s_delay_alu instid0(VALU_DEP_3) | instskip(NEXT) | instid1(VALU_DEP_3)
	v_add_f64 v[1:2], v[1:2], -v[30:31]
	v_mul_f64 v[36:37], v[46:47], v[42:43]
	s_delay_alu instid0(VALU_DEP_3) | instskip(NEXT) | instid1(VALU_DEP_3)
	v_mul_f64 v[30:31], v[10:11], v[3:4]
	v_mul_f64 v[10:11], v[10:11], -v[1:2]
	s_delay_alu instid0(VALU_DEP_3) | instskip(NEXT) | instid1(VALU_DEP_3)
	v_fma_f64 v[28:29], -v[40:41], v[36:37], v[46:47]
	v_fma_f64 v[1:2], v[1:2], v[8:9], v[30:31]
	s_delay_alu instid0(VALU_DEP_3) | instskip(NEXT) | instid1(VALU_DEP_3)
	v_fma_f64 v[3:4], v[3:4], v[8:9], v[10:11]
	v_div_fmas_f64 v[28:29], v[28:29], v[42:43], v[36:37]
	s_delay_alu instid0(VALU_DEP_1) | instskip(NEXT) | instid1(VALU_DEP_1)
	v_div_fixup_f64 v[12:13], v[28:29], v[12:13], 1.0
	v_mul_f64 v[1:2], v[12:13], v[1:2]
	s_delay_alu instid0(VALU_DEP_4)
	v_mul_f64 v[3:4], v[12:13], v[3:4]
	ds_store_b128 v22, v[1:4] offset:16
	s_waitcnt lgkmcnt(0)
	s_waitcnt_vscnt null, 0x0
	buffer_gl0_inv
	ds_load_b128 v[8:11], v27 offset:16
	ds_load_b128 v[28:31], v18
	s_waitcnt lgkmcnt(0)
	v_fma_f64 v[12:13], v[1:2], v[8:9], v[28:29]
	v_fma_f64 v[28:29], v[3:4], v[8:9], v[30:31]
	s_delay_alu instid0(VALU_DEP_2) | instskip(NEXT) | instid1(VALU_DEP_2)
	v_fma_f64 v[8:9], v[3:4], v[10:11], v[12:13]
	v_fma_f64 v[10:11], v[1:2], -v[10:11], v[28:29]
	ds_store_b128 v18, v[8:11]
	s_waitcnt lgkmcnt(0)
	buffer_gl0_inv
	ds_load_b128 v[8:11], v0 offset:160
	ds_load_b128 v[1:4], v22 offset:32
	s_waitcnt lgkmcnt(1)
	v_cmp_neq_f64_e32 vcc_lo, 0, v[8:9]
	v_cmp_neq_f64_e64 s1, 0, v[10:11]
	s_delay_alu instid0(VALU_DEP_1) | instskip(SKIP_4) | instid1(SALU_CYCLE_1)
	s_or_b32 vcc_lo, vcc_lo, s1
	v_cndmask_b32_e32 v9, 0x3ff00000, v9, vcc_lo
	v_dual_cndmask_b32 v8, 0, v8 :: v_dual_cndmask_b32 v11, 0, v11
	v_cndmask_b32_e32 v10, 0, v10, vcc_lo
	s_or_b32 s1, vcc_lo, s0
	s_xor_b32 s20, s1, -1
	s_delay_alu instid0(SALU_CYCLE_1)
	s_and_saveexec_b32 s1, s20
	s_cbranch_execz .LBB61_7
; %bb.40:                               ;   in Loop: Header=BB61_9 Depth=1
	v_mbcnt_lo_u32_b32 v8, exec_lo, 0
	s_mov_b32 s20, exec_lo
	s_delay_alu instid0(VALU_DEP_1)
	v_cmpx_eq_u32_e32 0, v8
	s_cbranch_execz .LBB61_6
; %bb.41:                               ;   in Loop: Header=BB61_9 Depth=1
	v_mov_b32_e32 v8, s3
	global_atomic_min_i32 v0, v8, s[10:11]
	s_branch .LBB61_6
.LBB61_42:
	v_mov_b32_e32 v0, v16
	s_cmp_lg_u32 s28, 0
	s_cselect_b32 s3, -1, 0
	s_cmp_eq_u32 s28, 0
	s_cbranch_scc1 .LBB61_44
; %bb.43:
	v_mad_u32_u24 v0, v14, 3, v15
.LBB61_44:
	s_mul_i32 s26, s26, 9
	v_cmp_ne_u32_e64 s1, 0, v15
	s_delay_alu instid0(VALU_DEP_2) | instskip(SKIP_1) | instid1(VALU_DEP_1)
	v_add_nc_u32_e32 v0, s26, v0
	s_mov_b32 s2, exec_lo
	v_ashrrev_i32_e32 v1, 31, v0
	s_delay_alu instid0(VALU_DEP_1) | instskip(NEXT) | instid1(VALU_DEP_1)
	v_lshlrev_b64 v[0:1], 4, v[0:1]
	v_add_co_u32 v0, vcc_lo, s18, v0
	s_delay_alu instid0(VALU_DEP_2)
	v_add_co_ci_u32_e32 v1, vcc_lo, s19, v1, vcc_lo
	global_load_b128 v[0:3], v[0:1], off
	s_waitcnt vmcnt(0)
	ds_store_2addr_b64 v19, v[0:1], v[2:3] offset0:48 offset1:49
	s_waitcnt lgkmcnt(0)
	buffer_gl0_inv
	v_cmpx_eq_u32_e32 0, v15
	s_cbranch_execz .LBB61_53
; %bb.45:
	v_mov_b32_e32 v4, 0
	ds_load_b128 v[0:3], v4 offset:576
	ds_load_b128 v[4:7], v4 offset:384
	s_waitcnt lgkmcnt(0)
	v_add_f64 v[0:1], v[4:5], -v[0:1]
	v_add_f64 v[4:5], v[6:7], -v[2:3]
	s_delay_alu instid0(VALU_DEP_2) | instskip(NEXT) | instid1(VALU_DEP_2)
	v_cmp_gt_f64_e32 vcc_lo, 0, v[0:1]
	v_cmp_gt_f64_e64 s0, 0, v[4:5]
	v_xor_b32_e32 v2, 0x80000000, v1
	v_xor_b32_e32 v3, 0x80000000, v5
	s_delay_alu instid0(VALU_DEP_2) | instskip(NEXT) | instid1(VALU_DEP_2)
	v_cndmask_b32_e32 v1, v1, v2, vcc_lo
	v_cndmask_b32_e64 v3, v5, v3, s0
	v_cndmask_b32_e32 v0, v0, v0, vcc_lo
	v_cndmask_b32_e64 v2, v4, v4, s0
	s_delay_alu instid0(VALU_DEP_1)
	v_cmp_ngt_f64_e32 vcc_lo, v[0:1], v[2:3]
	s_cbranch_vccz .LBB61_50
; %bb.46:
	v_cmp_eq_f64_e32 vcc_lo, 0, v[4:5]
	v_mov_b32_e32 v4, 0
	v_mov_b32_e32 v5, 0
	s_cbranch_vccnz .LBB61_48
; %bb.47:
	v_div_scale_f64 v[4:5], null, v[2:3], v[2:3], v[0:1]
	v_div_scale_f64 v[10:11], vcc_lo, v[0:1], v[2:3], v[0:1]
	s_delay_alu instid0(VALU_DEP_2) | instskip(SKIP_2) | instid1(VALU_DEP_1)
	v_rcp_f64_e32 v[6:7], v[4:5]
	s_waitcnt_depctr 0xfff
	v_fma_f64 v[8:9], -v[4:5], v[6:7], 1.0
	v_fma_f64 v[6:7], v[6:7], v[8:9], v[6:7]
	s_delay_alu instid0(VALU_DEP_1) | instskip(NEXT) | instid1(VALU_DEP_1)
	v_fma_f64 v[8:9], -v[4:5], v[6:7], 1.0
	v_fma_f64 v[6:7], v[6:7], v[8:9], v[6:7]
	s_delay_alu instid0(VALU_DEP_1) | instskip(NEXT) | instid1(VALU_DEP_1)
	v_mul_f64 v[8:9], v[10:11], v[6:7]
	v_fma_f64 v[4:5], -v[4:5], v[8:9], v[10:11]
	s_delay_alu instid0(VALU_DEP_1) | instskip(NEXT) | instid1(VALU_DEP_1)
	v_div_fmas_f64 v[4:5], v[4:5], v[6:7], v[8:9]
	v_div_fixup_f64 v[4:5], v[4:5], v[2:3], v[0:1]
	s_delay_alu instid0(VALU_DEP_1) | instskip(NEXT) | instid1(VALU_DEP_1)
	v_fma_f64 v[4:5], v[4:5], v[4:5], 1.0
	v_cmp_gt_f64_e32 vcc_lo, 0x10000000, v[4:5]
	v_cndmask_b32_e64 v6, 0, 1, vcc_lo
	s_and_b32 s0, vcc_lo, exec_lo
	s_cselect_b32 s0, 0xffffff80, 0
	s_delay_alu instid0(VALU_DEP_1) | instskip(NEXT) | instid1(VALU_DEP_1)
	v_lshlrev_b32_e32 v6, 8, v6
	v_ldexp_f64 v[4:5], v[4:5], v6
	s_delay_alu instid0(VALU_DEP_1) | instskip(SKIP_4) | instid1(VALU_DEP_1)
	v_rsq_f64_e32 v[6:7], v[4:5]
	v_cmp_class_f64_e64 vcc_lo, v[4:5], 0x260
	s_waitcnt_depctr 0xfff
	v_mul_f64 v[8:9], v[4:5], v[6:7]
	v_mul_f64 v[6:7], v[6:7], 0.5
	v_fma_f64 v[10:11], -v[6:7], v[8:9], 0.5
	s_delay_alu instid0(VALU_DEP_1) | instskip(SKIP_1) | instid1(VALU_DEP_2)
	v_fma_f64 v[8:9], v[8:9], v[10:11], v[8:9]
	v_fma_f64 v[6:7], v[6:7], v[10:11], v[6:7]
	v_fma_f64 v[10:11], -v[8:9], v[8:9], v[4:5]
	s_delay_alu instid0(VALU_DEP_1) | instskip(NEXT) | instid1(VALU_DEP_1)
	v_fma_f64 v[8:9], v[10:11], v[6:7], v[8:9]
	v_fma_f64 v[10:11], -v[8:9], v[8:9], v[4:5]
	s_delay_alu instid0(VALU_DEP_1) | instskip(NEXT) | instid1(VALU_DEP_1)
	v_fma_f64 v[6:7], v[10:11], v[6:7], v[8:9]
	v_ldexp_f64 v[6:7], v[6:7], s0
	s_delay_alu instid0(VALU_DEP_1) | instskip(NEXT) | instid1(VALU_DEP_1)
	v_dual_cndmask_b32 v5, v7, v5 :: v_dual_cndmask_b32 v4, v6, v4
	v_mul_f64 v[4:5], v[2:3], v[4:5]
.LBB61_48:
	s_cbranch_execz .LBB61_51
	s_branch .LBB61_52
.LBB61_49:
	s_cbranch_execnz .LBB61_90
	s_branch .LBB61_95
.LBB61_50:
                                        ; implicit-def: $vgpr4_vgpr5
.LBB61_51:
	v_div_scale_f64 v[4:5], null, v[0:1], v[0:1], v[2:3]
	v_div_scale_f64 v[10:11], vcc_lo, v[2:3], v[0:1], v[2:3]
	s_delay_alu instid0(VALU_DEP_2) | instskip(SKIP_2) | instid1(VALU_DEP_1)
	v_rcp_f64_e32 v[6:7], v[4:5]
	s_waitcnt_depctr 0xfff
	v_fma_f64 v[8:9], -v[4:5], v[6:7], 1.0
	v_fma_f64 v[6:7], v[6:7], v[8:9], v[6:7]
	s_delay_alu instid0(VALU_DEP_1) | instskip(NEXT) | instid1(VALU_DEP_1)
	v_fma_f64 v[8:9], -v[4:5], v[6:7], 1.0
	v_fma_f64 v[6:7], v[6:7], v[8:9], v[6:7]
	s_delay_alu instid0(VALU_DEP_1) | instskip(NEXT) | instid1(VALU_DEP_1)
	v_mul_f64 v[8:9], v[10:11], v[6:7]
	v_fma_f64 v[4:5], -v[4:5], v[8:9], v[10:11]
	s_delay_alu instid0(VALU_DEP_1) | instskip(NEXT) | instid1(VALU_DEP_1)
	v_div_fmas_f64 v[4:5], v[4:5], v[6:7], v[8:9]
	v_div_fixup_f64 v[2:3], v[4:5], v[0:1], v[2:3]
	s_delay_alu instid0(VALU_DEP_1) | instskip(NEXT) | instid1(VALU_DEP_1)
	v_fma_f64 v[2:3], v[2:3], v[2:3], 1.0
	v_cmp_gt_f64_e32 vcc_lo, 0x10000000, v[2:3]
	v_cndmask_b32_e64 v4, 0, 1, vcc_lo
	s_and_b32 s0, vcc_lo, exec_lo
	s_cselect_b32 s0, 0xffffff80, 0
	s_delay_alu instid0(VALU_DEP_1) | instskip(NEXT) | instid1(VALU_DEP_1)
	v_lshlrev_b32_e32 v4, 8, v4
	v_ldexp_f64 v[2:3], v[2:3], v4
	s_delay_alu instid0(VALU_DEP_1) | instskip(SKIP_4) | instid1(VALU_DEP_1)
	v_rsq_f64_e32 v[4:5], v[2:3]
	v_cmp_class_f64_e64 vcc_lo, v[2:3], 0x260
	s_waitcnt_depctr 0xfff
	v_mul_f64 v[6:7], v[2:3], v[4:5]
	v_mul_f64 v[4:5], v[4:5], 0.5
	v_fma_f64 v[8:9], -v[4:5], v[6:7], 0.5
	s_delay_alu instid0(VALU_DEP_1) | instskip(SKIP_1) | instid1(VALU_DEP_2)
	v_fma_f64 v[6:7], v[6:7], v[8:9], v[6:7]
	v_fma_f64 v[4:5], v[4:5], v[8:9], v[4:5]
	v_fma_f64 v[8:9], -v[6:7], v[6:7], v[2:3]
	s_delay_alu instid0(VALU_DEP_1) | instskip(NEXT) | instid1(VALU_DEP_1)
	v_fma_f64 v[6:7], v[8:9], v[4:5], v[6:7]
	v_fma_f64 v[8:9], -v[6:7], v[6:7], v[2:3]
	s_delay_alu instid0(VALU_DEP_1) | instskip(NEXT) | instid1(VALU_DEP_1)
	v_fma_f64 v[4:5], v[8:9], v[4:5], v[6:7]
	v_ldexp_f64 v[4:5], v[4:5], s0
	s_delay_alu instid0(VALU_DEP_1) | instskip(NEXT) | instid1(VALU_DEP_1)
	v_dual_cndmask_b32 v3, v5, v3 :: v_dual_cndmask_b32 v2, v4, v2
	v_mul_f64 v[4:5], v[0:1], v[2:3]
.LBB61_52:
	s_delay_alu instid0(VALU_DEP_1) | instskip(SKIP_3) | instid1(VALU_DEP_1)
	v_cmp_gt_f64_e32 vcc_lo, 0x10000000, v[4:5]
	v_cndmask_b32_e64 v0, 0, 1, vcc_lo
	s_and_b32 s0, vcc_lo, exec_lo
	s_cselect_b32 s0, 0xffffff80, 0
	v_lshlrev_b32_e32 v0, 8, v0
	s_delay_alu instid0(VALU_DEP_1) | instskip(NEXT) | instid1(VALU_DEP_1)
	v_ldexp_f64 v[0:1], v[4:5], v0
	v_rsq_f64_e32 v[2:3], v[0:1]
	v_cmp_class_f64_e64 vcc_lo, v[0:1], 0x260
	s_waitcnt_depctr 0xfff
	v_mul_f64 v[4:5], v[0:1], v[2:3]
	v_mul_f64 v[2:3], v[2:3], 0.5
	s_delay_alu instid0(VALU_DEP_1) | instskip(NEXT) | instid1(VALU_DEP_1)
	v_fma_f64 v[6:7], -v[2:3], v[4:5], 0.5
	v_fma_f64 v[4:5], v[4:5], v[6:7], v[4:5]
	v_fma_f64 v[2:3], v[2:3], v[6:7], v[2:3]
	s_delay_alu instid0(VALU_DEP_2) | instskip(NEXT) | instid1(VALU_DEP_1)
	v_fma_f64 v[6:7], -v[4:5], v[4:5], v[0:1]
	v_fma_f64 v[4:5], v[6:7], v[2:3], v[4:5]
	s_delay_alu instid0(VALU_DEP_1) | instskip(NEXT) | instid1(VALU_DEP_1)
	v_fma_f64 v[6:7], -v[4:5], v[4:5], v[0:1]
	v_fma_f64 v[2:3], v[6:7], v[2:3], v[4:5]
	s_delay_alu instid0(VALU_DEP_1) | instskip(NEXT) | instid1(VALU_DEP_1)
	v_ldexp_f64 v[3:4], v[2:3], s0
	v_dual_mov_b32 v2, 0 :: v_dual_cndmask_b32 v1, v4, v1
	s_delay_alu instid0(VALU_DEP_1)
	v_dual_cndmask_b32 v0, v3, v0 :: v_dual_mov_b32 v3, v2
	ds_store_b128 v2, v[0:3] offset:384
.LBB61_53:
	s_or_b32 exec_lo, exec_lo, s2
	v_mov_b32_e32 v0, 0
	s_waitcnt lgkmcnt(0)
	buffer_gl0_inv
	v_or_b32_e32 v7, v14, v15
	v_add_nc_u32_e32 v6, 0x180, v19
	ds_load_b128 v[0:3], v0 offset:384
	v_cmp_ne_u32_e64 s0, 0, v7
	s_waitcnt lgkmcnt(0)
	v_cmp_neq_f64_e32 vcc_lo, 0, v[0:1]
	v_cmp_neq_f64_e64 s2, 0, v[2:3]
	s_delay_alu instid0(VALU_DEP_1)
	s_or_b32 vcc_lo, vcc_lo, s2
	s_add_i32 s2, s16, s17
	v_cndmask_b32_e32 v1, 0x3ff00000, v1, vcc_lo
	v_dual_cndmask_b32 v0, 0, v0 :: v_dual_cndmask_b32 v3, 0, v3
	v_cndmask_b32_e32 v2, 0, v2, vcc_lo
	s_or_b32 s4, vcc_lo, s0
	s_delay_alu instid0(SALU_CYCLE_1) | instskip(NEXT) | instid1(SALU_CYCLE_1)
	s_xor_b32 s5, s4, -1
	s_and_saveexec_b32 s4, s5
	s_cbranch_execz .LBB61_57
; %bb.54:
	v_mbcnt_lo_u32_b32 v0, exec_lo, 0
	s_mov_b32 s5, exec_lo
	s_delay_alu instid0(VALU_DEP_1)
	v_cmpx_eq_u32_e32 0, v0
	s_cbranch_execz .LBB61_56
; %bb.55:
	v_dual_mov_b32 v0, 0 :: v_dual_mov_b32 v1, s2
	global_atomic_min_i32 v0, v1, s[10:11]
.LBB61_56:
	s_or_b32 exec_lo, exec_lo, s5
	v_mov_b32_e32 v0, 0
	v_dual_mov_b32 v1, 0x3ff00000 :: v_dual_mov_b32 v2, 0
	v_mov_b32_e32 v3, 0
.LBB61_57:
	s_or_b32 exec_lo, exec_lo, s4
	s_and_saveexec_b32 s4, s1
	s_cbranch_execz .LBB61_59
; %bb.58:
	s_delay_alu instid0(VALU_DEP_1) | instskip(SKIP_1) | instid1(VALU_DEP_2)
	v_mul_f64 v[4:5], v[2:3], v[2:3]
	v_lshlrev_b32_e32 v29, 6, v15
	v_fma_f64 v[4:5], v[0:1], v[0:1], v[4:5]
	s_delay_alu instid0(VALU_DEP_1) | instskip(SKIP_1) | instid1(VALU_DEP_2)
	v_div_scale_f64 v[12:13], null, v[4:5], v[4:5], 1.0
	v_div_scale_f64 v[23:24], vcc_lo, 1.0, v[4:5], 1.0
	v_rcp_f64_e32 v[8:9], v[12:13]
	s_waitcnt_depctr 0xfff
	v_fma_f64 v[10:11], -v[12:13], v[8:9], 1.0
	s_delay_alu instid0(VALU_DEP_1) | instskip(NEXT) | instid1(VALU_DEP_1)
	v_fma_f64 v[8:9], v[8:9], v[10:11], v[8:9]
	v_fma_f64 v[10:11], -v[12:13], v[8:9], 1.0
	s_delay_alu instid0(VALU_DEP_1)
	v_fma_f64 v[25:26], v[8:9], v[10:11], v[8:9]
	ds_load_b128 v[8:11], v29 offset:384
	ds_load_b128 v[19:22], v29 offset:576
	s_waitcnt lgkmcnt(0)
	v_add_f64 v[10:11], v[10:11], -v[21:22]
	v_add_f64 v[8:9], v[8:9], -v[19:20]
	v_mul_f64 v[27:28], v[23:24], v[25:26]
	s_delay_alu instid0(VALU_DEP_3) | instskip(NEXT) | instid1(VALU_DEP_3)
	v_mul_f64 v[19:20], v[2:3], v[10:11]
	v_mul_f64 v[2:3], v[2:3], -v[8:9]
	s_delay_alu instid0(VALU_DEP_3) | instskip(NEXT) | instid1(VALU_DEP_3)
	v_fma_f64 v[12:13], -v[12:13], v[27:28], v[23:24]
	v_fma_f64 v[8:9], v[8:9], v[0:1], v[19:20]
	s_delay_alu instid0(VALU_DEP_3) | instskip(NEXT) | instid1(VALU_DEP_3)
	v_fma_f64 v[2:3], v[10:11], v[0:1], v[2:3]
	v_div_fmas_f64 v[12:13], v[12:13], v[25:26], v[27:28]
	s_delay_alu instid0(VALU_DEP_1) | instskip(NEXT) | instid1(VALU_DEP_1)
	v_div_fixup_f64 v[4:5], v[12:13], v[4:5], 1.0
	v_mul_f64 v[0:1], v[4:5], v[8:9]
	s_delay_alu instid0(VALU_DEP_4)
	v_mul_f64 v[2:3], v[4:5], v[2:3]
	v_lshlrev_b32_e32 v4, 6, v14
	ds_store_b128 v29, v[0:3] offset:384
	s_waitcnt lgkmcnt(0)
	s_waitcnt_vscnt null, 0x0
	buffer_gl0_inv
	ds_load_b128 v[8:11], v4 offset:384
	ds_load_b128 v[19:22], v18
	s_waitcnt lgkmcnt(0)
	v_fma_f64 v[4:5], v[0:1], v[8:9], v[19:20]
	v_fma_f64 v[8:9], v[2:3], v[8:9], v[21:22]
	s_delay_alu instid0(VALU_DEP_2) | instskip(NEXT) | instid1(VALU_DEP_2)
	v_fma_f64 v[2:3], v[2:3], v[10:11], v[4:5]
	v_fma_f64 v[4:5], v[0:1], -v[10:11], v[8:9]
	ds_store_b128 v18, v[2:5]
.LBB61_59:
	s_or_b32 exec_lo, exec_lo, s4
	s_delay_alu instid0(SALU_CYCLE_1)
	s_mov_b32 s4, exec_lo
	s_waitcnt lgkmcnt(0)
	s_waitcnt_vscnt null, 0x0
	buffer_gl0_inv
	v_cmpx_eq_u32_e32 1, v15
	s_cbranch_execz .LBB61_67
; %bb.60:
	v_mov_b32_e32 v4, 0
	ds_load_b128 v[0:3], v4 offset:656
	ds_load_b128 v[8:11], v4 offset:464
	s_waitcnt lgkmcnt(0)
	v_add_f64 v[0:1], v[8:9], -v[0:1]
	v_add_f64 v[4:5], v[10:11], -v[2:3]
	s_delay_alu instid0(VALU_DEP_2) | instskip(NEXT) | instid1(VALU_DEP_2)
	v_cmp_gt_f64_e32 vcc_lo, 0, v[0:1]
	v_cmp_gt_f64_e64 s1, 0, v[4:5]
	v_xor_b32_e32 v2, 0x80000000, v1
	v_xor_b32_e32 v3, 0x80000000, v5
	s_delay_alu instid0(VALU_DEP_2) | instskip(NEXT) | instid1(VALU_DEP_2)
	v_cndmask_b32_e32 v1, v1, v2, vcc_lo
	v_cndmask_b32_e64 v3, v5, v3, s1
	v_cndmask_b32_e32 v0, v0, v0, vcc_lo
	v_cndmask_b32_e64 v2, v4, v4, s1
	s_delay_alu instid0(VALU_DEP_1)
	v_cmp_gt_f64_e32 vcc_lo, v[0:1], v[2:3]
	s_cbranch_vccnz .LBB61_64
; %bb.61:
	v_cmp_eq_f64_e32 vcc_lo, 0, v[4:5]
	v_mov_b32_e32 v4, 0
	v_mov_b32_e32 v5, 0
	s_cbranch_vccnz .LBB61_63
; %bb.62:
	v_div_scale_f64 v[4:5], null, v[2:3], v[2:3], v[0:1]
	v_div_scale_f64 v[12:13], vcc_lo, v[0:1], v[2:3], v[0:1]
	s_delay_alu instid0(VALU_DEP_2) | instskip(SKIP_2) | instid1(VALU_DEP_1)
	v_rcp_f64_e32 v[8:9], v[4:5]
	s_waitcnt_depctr 0xfff
	v_fma_f64 v[10:11], -v[4:5], v[8:9], 1.0
	v_fma_f64 v[8:9], v[8:9], v[10:11], v[8:9]
	s_delay_alu instid0(VALU_DEP_1) | instskip(NEXT) | instid1(VALU_DEP_1)
	v_fma_f64 v[10:11], -v[4:5], v[8:9], 1.0
	v_fma_f64 v[8:9], v[8:9], v[10:11], v[8:9]
	s_delay_alu instid0(VALU_DEP_1) | instskip(NEXT) | instid1(VALU_DEP_1)
	v_mul_f64 v[10:11], v[12:13], v[8:9]
	v_fma_f64 v[4:5], -v[4:5], v[10:11], v[12:13]
	s_delay_alu instid0(VALU_DEP_1) | instskip(NEXT) | instid1(VALU_DEP_1)
	v_div_fmas_f64 v[4:5], v[4:5], v[8:9], v[10:11]
	v_div_fixup_f64 v[4:5], v[4:5], v[2:3], v[0:1]
	s_delay_alu instid0(VALU_DEP_1) | instskip(NEXT) | instid1(VALU_DEP_1)
	v_fma_f64 v[4:5], v[4:5], v[4:5], 1.0
	v_cmp_gt_f64_e32 vcc_lo, 0x10000000, v[4:5]
	v_cndmask_b32_e64 v8, 0, 1, vcc_lo
	s_and_b32 s1, vcc_lo, exec_lo
	s_cselect_b32 s1, 0xffffff80, 0
	s_delay_alu instid0(VALU_DEP_1) | instskip(NEXT) | instid1(VALU_DEP_1)
	v_lshlrev_b32_e32 v8, 8, v8
	v_ldexp_f64 v[4:5], v[4:5], v8
	s_delay_alu instid0(VALU_DEP_1) | instskip(SKIP_4) | instid1(VALU_DEP_1)
	v_rsq_f64_e32 v[8:9], v[4:5]
	v_cmp_class_f64_e64 vcc_lo, v[4:5], 0x260
	s_waitcnt_depctr 0xfff
	v_mul_f64 v[10:11], v[4:5], v[8:9]
	v_mul_f64 v[8:9], v[8:9], 0.5
	v_fma_f64 v[12:13], -v[8:9], v[10:11], 0.5
	s_delay_alu instid0(VALU_DEP_1) | instskip(SKIP_1) | instid1(VALU_DEP_2)
	v_fma_f64 v[10:11], v[10:11], v[12:13], v[10:11]
	v_fma_f64 v[8:9], v[8:9], v[12:13], v[8:9]
	v_fma_f64 v[12:13], -v[10:11], v[10:11], v[4:5]
	s_delay_alu instid0(VALU_DEP_1) | instskip(NEXT) | instid1(VALU_DEP_1)
	v_fma_f64 v[10:11], v[12:13], v[8:9], v[10:11]
	v_fma_f64 v[12:13], -v[10:11], v[10:11], v[4:5]
	s_delay_alu instid0(VALU_DEP_1) | instskip(NEXT) | instid1(VALU_DEP_1)
	v_fma_f64 v[8:9], v[12:13], v[8:9], v[10:11]
	v_ldexp_f64 v[8:9], v[8:9], s1
	s_delay_alu instid0(VALU_DEP_1) | instskip(NEXT) | instid1(VALU_DEP_1)
	v_dual_cndmask_b32 v5, v9, v5 :: v_dual_cndmask_b32 v4, v8, v4
	v_mul_f64 v[4:5], v[2:3], v[4:5]
.LBB61_63:
	s_cbranch_execz .LBB61_65
	s_branch .LBB61_66
.LBB61_64:
                                        ; implicit-def: $vgpr4_vgpr5
.LBB61_65:
	v_div_scale_f64 v[4:5], null, v[0:1], v[0:1], v[2:3]
	v_div_scale_f64 v[12:13], vcc_lo, v[2:3], v[0:1], v[2:3]
	s_delay_alu instid0(VALU_DEP_2) | instskip(SKIP_2) | instid1(VALU_DEP_1)
	v_rcp_f64_e32 v[8:9], v[4:5]
	s_waitcnt_depctr 0xfff
	v_fma_f64 v[10:11], -v[4:5], v[8:9], 1.0
	v_fma_f64 v[8:9], v[8:9], v[10:11], v[8:9]
	s_delay_alu instid0(VALU_DEP_1) | instskip(NEXT) | instid1(VALU_DEP_1)
	v_fma_f64 v[10:11], -v[4:5], v[8:9], 1.0
	v_fma_f64 v[8:9], v[8:9], v[10:11], v[8:9]
	s_delay_alu instid0(VALU_DEP_1) | instskip(NEXT) | instid1(VALU_DEP_1)
	v_mul_f64 v[10:11], v[12:13], v[8:9]
	v_fma_f64 v[4:5], -v[4:5], v[10:11], v[12:13]
	s_delay_alu instid0(VALU_DEP_1) | instskip(NEXT) | instid1(VALU_DEP_1)
	v_div_fmas_f64 v[4:5], v[4:5], v[8:9], v[10:11]
	v_div_fixup_f64 v[2:3], v[4:5], v[0:1], v[2:3]
	s_delay_alu instid0(VALU_DEP_1) | instskip(NEXT) | instid1(VALU_DEP_1)
	v_fma_f64 v[2:3], v[2:3], v[2:3], 1.0
	v_cmp_gt_f64_e32 vcc_lo, 0x10000000, v[2:3]
	v_cndmask_b32_e64 v4, 0, 1, vcc_lo
	s_and_b32 s1, vcc_lo, exec_lo
	s_cselect_b32 s1, 0xffffff80, 0
	s_delay_alu instid0(VALU_DEP_1) | instskip(NEXT) | instid1(VALU_DEP_1)
	v_lshlrev_b32_e32 v4, 8, v4
	v_ldexp_f64 v[2:3], v[2:3], v4
	s_delay_alu instid0(VALU_DEP_1) | instskip(SKIP_4) | instid1(VALU_DEP_1)
	v_rsq_f64_e32 v[4:5], v[2:3]
	v_cmp_class_f64_e64 vcc_lo, v[2:3], 0x260
	s_waitcnt_depctr 0xfff
	v_mul_f64 v[8:9], v[2:3], v[4:5]
	v_mul_f64 v[4:5], v[4:5], 0.5
	v_fma_f64 v[10:11], -v[4:5], v[8:9], 0.5
	s_delay_alu instid0(VALU_DEP_1) | instskip(SKIP_1) | instid1(VALU_DEP_2)
	v_fma_f64 v[8:9], v[8:9], v[10:11], v[8:9]
	v_fma_f64 v[4:5], v[4:5], v[10:11], v[4:5]
	v_fma_f64 v[10:11], -v[8:9], v[8:9], v[2:3]
	s_delay_alu instid0(VALU_DEP_1) | instskip(NEXT) | instid1(VALU_DEP_1)
	v_fma_f64 v[8:9], v[10:11], v[4:5], v[8:9]
	v_fma_f64 v[10:11], -v[8:9], v[8:9], v[2:3]
	s_delay_alu instid0(VALU_DEP_1) | instskip(NEXT) | instid1(VALU_DEP_1)
	v_fma_f64 v[4:5], v[10:11], v[4:5], v[8:9]
	v_ldexp_f64 v[4:5], v[4:5], s1
	s_delay_alu instid0(VALU_DEP_1) | instskip(NEXT) | instid1(VALU_DEP_1)
	v_dual_cndmask_b32 v3, v5, v3 :: v_dual_cndmask_b32 v2, v4, v2
	v_mul_f64 v[4:5], v[0:1], v[2:3]
.LBB61_66:
	s_delay_alu instid0(VALU_DEP_1) | instskip(SKIP_3) | instid1(VALU_DEP_1)
	v_cmp_gt_f64_e32 vcc_lo, 0x10000000, v[4:5]
	v_cndmask_b32_e64 v0, 0, 1, vcc_lo
	s_and_b32 s1, vcc_lo, exec_lo
	s_cselect_b32 s1, 0xffffff80, 0
	v_lshlrev_b32_e32 v0, 8, v0
	s_delay_alu instid0(VALU_DEP_1) | instskip(NEXT) | instid1(VALU_DEP_1)
	v_ldexp_f64 v[0:1], v[4:5], v0
	v_rsq_f64_e32 v[2:3], v[0:1]
	v_cmp_class_f64_e64 vcc_lo, v[0:1], 0x260
	s_waitcnt_depctr 0xfff
	v_mul_f64 v[4:5], v[0:1], v[2:3]
	v_mul_f64 v[2:3], v[2:3], 0.5
	s_delay_alu instid0(VALU_DEP_1) | instskip(NEXT) | instid1(VALU_DEP_1)
	v_fma_f64 v[8:9], -v[2:3], v[4:5], 0.5
	v_fma_f64 v[4:5], v[4:5], v[8:9], v[4:5]
	v_fma_f64 v[2:3], v[2:3], v[8:9], v[2:3]
	s_delay_alu instid0(VALU_DEP_2) | instskip(NEXT) | instid1(VALU_DEP_1)
	v_fma_f64 v[8:9], -v[4:5], v[4:5], v[0:1]
	v_fma_f64 v[4:5], v[8:9], v[2:3], v[4:5]
	s_delay_alu instid0(VALU_DEP_1) | instskip(NEXT) | instid1(VALU_DEP_1)
	v_fma_f64 v[8:9], -v[4:5], v[4:5], v[0:1]
	v_fma_f64 v[2:3], v[8:9], v[2:3], v[4:5]
	s_delay_alu instid0(VALU_DEP_1) | instskip(NEXT) | instid1(VALU_DEP_1)
	v_ldexp_f64 v[3:4], v[2:3], s1
	v_dual_mov_b32 v2, 0 :: v_dual_cndmask_b32 v1, v4, v1
	s_delay_alu instid0(VALU_DEP_1)
	v_dual_cndmask_b32 v0, v3, v0 :: v_dual_mov_b32 v3, v2
	ds_store_b128 v2, v[0:3] offset:464
.LBB61_67:
	s_or_b32 exec_lo, exec_lo, s4
	v_mov_b32_e32 v0, 0
	s_waitcnt lgkmcnt(0)
	buffer_gl0_inv
	ds_load_b128 v[0:3], v0 offset:464
	s_waitcnt lgkmcnt(0)
	v_cmp_neq_f64_e32 vcc_lo, 0, v[0:1]
	v_cmp_neq_f64_e64 s1, 0, v[2:3]
	s_delay_alu instid0(VALU_DEP_1) | instskip(SKIP_4) | instid1(SALU_CYCLE_1)
	s_or_b32 vcc_lo, vcc_lo, s1
	v_cndmask_b32_e32 v1, 0x3ff00000, v1, vcc_lo
	v_dual_cndmask_b32 v0, 0, v0 :: v_dual_cndmask_b32 v3, 0, v3
	v_cndmask_b32_e32 v2, 0, v2, vcc_lo
	s_or_b32 s1, vcc_lo, s0
	s_xor_b32 s4, s1, -1
	s_delay_alu instid0(SALU_CYCLE_1)
	s_and_saveexec_b32 s1, s4
	s_cbranch_execz .LBB61_71
; %bb.68:
	v_mbcnt_lo_u32_b32 v0, exec_lo, 0
	s_mov_b32 s4, exec_lo
	s_delay_alu instid0(VALU_DEP_1)
	v_cmpx_eq_u32_e32 0, v0
	s_cbranch_execz .LBB61_70
; %bb.69:
	v_dual_mov_b32 v0, 0 :: v_dual_mov_b32 v1, s2
	global_atomic_min_i32 v0, v1, s[10:11]
.LBB61_70:
	s_or_b32 exec_lo, exec_lo, s4
	v_mov_b32_e32 v0, 0
	v_dual_mov_b32 v1, 0x3ff00000 :: v_dual_mov_b32 v2, 0
	v_mov_b32_e32 v3, 0
.LBB61_71:
	s_or_b32 exec_lo, exec_lo, s1
	s_delay_alu instid0(SALU_CYCLE_1)
	s_mov_b32 s1, exec_lo
	v_cmpx_lt_u32_e32 1, v15
	s_cbranch_execz .LBB61_73
; %bb.72:
	v_mul_f64 v[4:5], v[2:3], v[2:3]
	v_lshlrev_b32_e32 v29, 6, v15
	s_delay_alu instid0(VALU_DEP_2) | instskip(NEXT) | instid1(VALU_DEP_1)
	v_fma_f64 v[4:5], v[0:1], v[0:1], v[4:5]
	v_div_scale_f64 v[12:13], null, v[4:5], v[4:5], 1.0
	v_div_scale_f64 v[23:24], vcc_lo, 1.0, v[4:5], 1.0
	s_delay_alu instid0(VALU_DEP_2) | instskip(SKIP_2) | instid1(VALU_DEP_1)
	v_rcp_f64_e32 v[8:9], v[12:13]
	s_waitcnt_depctr 0xfff
	v_fma_f64 v[10:11], -v[12:13], v[8:9], 1.0
	v_fma_f64 v[8:9], v[8:9], v[10:11], v[8:9]
	s_delay_alu instid0(VALU_DEP_1) | instskip(NEXT) | instid1(VALU_DEP_1)
	v_fma_f64 v[10:11], -v[12:13], v[8:9], 1.0
	v_fma_f64 v[25:26], v[8:9], v[10:11], v[8:9]
	ds_load_b128 v[8:11], v29 offset:400
	ds_load_b128 v[19:22], v29 offset:592
	s_waitcnt lgkmcnt(0)
	v_add_f64 v[10:11], v[10:11], -v[21:22]
	v_add_f64 v[8:9], v[8:9], -v[19:20]
	v_mul_f64 v[27:28], v[23:24], v[25:26]
	s_delay_alu instid0(VALU_DEP_3) | instskip(NEXT) | instid1(VALU_DEP_3)
	v_mul_f64 v[19:20], v[2:3], v[10:11]
	v_mul_f64 v[2:3], v[2:3], -v[8:9]
	s_delay_alu instid0(VALU_DEP_3) | instskip(NEXT) | instid1(VALU_DEP_3)
	v_fma_f64 v[12:13], -v[12:13], v[27:28], v[23:24]
	v_fma_f64 v[8:9], v[8:9], v[0:1], v[19:20]
	s_delay_alu instid0(VALU_DEP_3) | instskip(NEXT) | instid1(VALU_DEP_3)
	v_fma_f64 v[2:3], v[10:11], v[0:1], v[2:3]
	v_div_fmas_f64 v[12:13], v[12:13], v[25:26], v[27:28]
	s_delay_alu instid0(VALU_DEP_1) | instskip(NEXT) | instid1(VALU_DEP_1)
	v_div_fixup_f64 v[4:5], v[12:13], v[4:5], 1.0
	v_mul_f64 v[0:1], v[4:5], v[8:9]
	s_delay_alu instid0(VALU_DEP_4)
	v_mul_f64 v[2:3], v[4:5], v[2:3]
	v_lshlrev_b32_e32 v4, 6, v14
	ds_store_b128 v29, v[0:3] offset:400
	s_waitcnt lgkmcnt(0)
	s_waitcnt_vscnt null, 0x0
	buffer_gl0_inv
	ds_load_b128 v[8:11], v4 offset:400
	ds_load_b128 v[19:22], v18
	s_waitcnt lgkmcnt(0)
	v_fma_f64 v[4:5], v[0:1], v[8:9], v[19:20]
	v_fma_f64 v[8:9], v[2:3], v[8:9], v[21:22]
	s_delay_alu instid0(VALU_DEP_2) | instskip(NEXT) | instid1(VALU_DEP_2)
	v_fma_f64 v[2:3], v[2:3], v[10:11], v[4:5]
	v_fma_f64 v[4:5], v[0:1], -v[10:11], v[8:9]
	ds_store_b128 v18, v[2:5]
.LBB61_73:
	s_or_b32 exec_lo, exec_lo, s1
	s_delay_alu instid0(SALU_CYCLE_1)
	s_mov_b32 s4, exec_lo
	s_waitcnt lgkmcnt(0)
	s_waitcnt_vscnt null, 0x0
	buffer_gl0_inv
	v_cmpx_eq_u32_e32 2, v15
	s_cbranch_execz .LBB61_81
; %bb.74:
	v_mov_b32_e32 v4, 0
	ds_load_b128 v[0:3], v4 offset:736
	ds_load_b128 v[8:11], v4 offset:544
	s_waitcnt lgkmcnt(0)
	v_add_f64 v[0:1], v[8:9], -v[0:1]
	v_add_f64 v[4:5], v[10:11], -v[2:3]
	s_delay_alu instid0(VALU_DEP_2) | instskip(NEXT) | instid1(VALU_DEP_2)
	v_cmp_gt_f64_e32 vcc_lo, 0, v[0:1]
	v_cmp_gt_f64_e64 s1, 0, v[4:5]
	v_xor_b32_e32 v2, 0x80000000, v1
	v_xor_b32_e32 v3, 0x80000000, v5
	s_delay_alu instid0(VALU_DEP_2) | instskip(NEXT) | instid1(VALU_DEP_2)
	v_cndmask_b32_e32 v1, v1, v2, vcc_lo
	v_cndmask_b32_e64 v3, v5, v3, s1
	v_cndmask_b32_e32 v0, v0, v0, vcc_lo
	v_cndmask_b32_e64 v2, v4, v4, s1
	s_delay_alu instid0(VALU_DEP_1)
	v_cmp_gt_f64_e32 vcc_lo, v[0:1], v[2:3]
	s_cbranch_vccnz .LBB61_78
; %bb.75:
	v_cmp_eq_f64_e32 vcc_lo, 0, v[4:5]
	v_mov_b32_e32 v4, 0
	v_mov_b32_e32 v5, 0
	s_cbranch_vccnz .LBB61_77
; %bb.76:
	v_div_scale_f64 v[4:5], null, v[2:3], v[2:3], v[0:1]
	v_div_scale_f64 v[12:13], vcc_lo, v[0:1], v[2:3], v[0:1]
	s_delay_alu instid0(VALU_DEP_2) | instskip(SKIP_2) | instid1(VALU_DEP_1)
	v_rcp_f64_e32 v[8:9], v[4:5]
	s_waitcnt_depctr 0xfff
	v_fma_f64 v[10:11], -v[4:5], v[8:9], 1.0
	v_fma_f64 v[8:9], v[8:9], v[10:11], v[8:9]
	s_delay_alu instid0(VALU_DEP_1) | instskip(NEXT) | instid1(VALU_DEP_1)
	v_fma_f64 v[10:11], -v[4:5], v[8:9], 1.0
	v_fma_f64 v[8:9], v[8:9], v[10:11], v[8:9]
	s_delay_alu instid0(VALU_DEP_1) | instskip(NEXT) | instid1(VALU_DEP_1)
	v_mul_f64 v[10:11], v[12:13], v[8:9]
	v_fma_f64 v[4:5], -v[4:5], v[10:11], v[12:13]
	s_delay_alu instid0(VALU_DEP_1) | instskip(NEXT) | instid1(VALU_DEP_1)
	v_div_fmas_f64 v[4:5], v[4:5], v[8:9], v[10:11]
	v_div_fixup_f64 v[4:5], v[4:5], v[2:3], v[0:1]
	s_delay_alu instid0(VALU_DEP_1) | instskip(NEXT) | instid1(VALU_DEP_1)
	v_fma_f64 v[4:5], v[4:5], v[4:5], 1.0
	v_cmp_gt_f64_e32 vcc_lo, 0x10000000, v[4:5]
	v_cndmask_b32_e64 v8, 0, 1, vcc_lo
	s_and_b32 s1, vcc_lo, exec_lo
	s_cselect_b32 s1, 0xffffff80, 0
	s_delay_alu instid0(VALU_DEP_1) | instskip(NEXT) | instid1(VALU_DEP_1)
	v_lshlrev_b32_e32 v8, 8, v8
	v_ldexp_f64 v[4:5], v[4:5], v8
	s_delay_alu instid0(VALU_DEP_1) | instskip(SKIP_4) | instid1(VALU_DEP_1)
	v_rsq_f64_e32 v[8:9], v[4:5]
	v_cmp_class_f64_e64 vcc_lo, v[4:5], 0x260
	s_waitcnt_depctr 0xfff
	v_mul_f64 v[10:11], v[4:5], v[8:9]
	v_mul_f64 v[8:9], v[8:9], 0.5
	v_fma_f64 v[12:13], -v[8:9], v[10:11], 0.5
	s_delay_alu instid0(VALU_DEP_1) | instskip(SKIP_1) | instid1(VALU_DEP_2)
	v_fma_f64 v[10:11], v[10:11], v[12:13], v[10:11]
	v_fma_f64 v[8:9], v[8:9], v[12:13], v[8:9]
	v_fma_f64 v[12:13], -v[10:11], v[10:11], v[4:5]
	s_delay_alu instid0(VALU_DEP_1) | instskip(NEXT) | instid1(VALU_DEP_1)
	v_fma_f64 v[10:11], v[12:13], v[8:9], v[10:11]
	v_fma_f64 v[12:13], -v[10:11], v[10:11], v[4:5]
	s_delay_alu instid0(VALU_DEP_1) | instskip(NEXT) | instid1(VALU_DEP_1)
	v_fma_f64 v[8:9], v[12:13], v[8:9], v[10:11]
	v_ldexp_f64 v[8:9], v[8:9], s1
	s_delay_alu instid0(VALU_DEP_1) | instskip(NEXT) | instid1(VALU_DEP_1)
	v_dual_cndmask_b32 v5, v9, v5 :: v_dual_cndmask_b32 v4, v8, v4
	v_mul_f64 v[4:5], v[2:3], v[4:5]
.LBB61_77:
	s_cbranch_execz .LBB61_79
	s_branch .LBB61_80
.LBB61_78:
                                        ; implicit-def: $vgpr4_vgpr5
.LBB61_79:
	v_div_scale_f64 v[4:5], null, v[0:1], v[0:1], v[2:3]
	v_div_scale_f64 v[12:13], vcc_lo, v[2:3], v[0:1], v[2:3]
	s_delay_alu instid0(VALU_DEP_2) | instskip(SKIP_2) | instid1(VALU_DEP_1)
	v_rcp_f64_e32 v[8:9], v[4:5]
	s_waitcnt_depctr 0xfff
	v_fma_f64 v[10:11], -v[4:5], v[8:9], 1.0
	v_fma_f64 v[8:9], v[8:9], v[10:11], v[8:9]
	s_delay_alu instid0(VALU_DEP_1) | instskip(NEXT) | instid1(VALU_DEP_1)
	v_fma_f64 v[10:11], -v[4:5], v[8:9], 1.0
	v_fma_f64 v[8:9], v[8:9], v[10:11], v[8:9]
	s_delay_alu instid0(VALU_DEP_1) | instskip(NEXT) | instid1(VALU_DEP_1)
	v_mul_f64 v[10:11], v[12:13], v[8:9]
	v_fma_f64 v[4:5], -v[4:5], v[10:11], v[12:13]
	s_delay_alu instid0(VALU_DEP_1) | instskip(NEXT) | instid1(VALU_DEP_1)
	v_div_fmas_f64 v[4:5], v[4:5], v[8:9], v[10:11]
	v_div_fixup_f64 v[2:3], v[4:5], v[0:1], v[2:3]
	s_delay_alu instid0(VALU_DEP_1) | instskip(NEXT) | instid1(VALU_DEP_1)
	v_fma_f64 v[2:3], v[2:3], v[2:3], 1.0
	v_cmp_gt_f64_e32 vcc_lo, 0x10000000, v[2:3]
	v_cndmask_b32_e64 v4, 0, 1, vcc_lo
	s_and_b32 s1, vcc_lo, exec_lo
	s_cselect_b32 s1, 0xffffff80, 0
	s_delay_alu instid0(VALU_DEP_1) | instskip(NEXT) | instid1(VALU_DEP_1)
	v_lshlrev_b32_e32 v4, 8, v4
	v_ldexp_f64 v[2:3], v[2:3], v4
	s_delay_alu instid0(VALU_DEP_1) | instskip(SKIP_4) | instid1(VALU_DEP_1)
	v_rsq_f64_e32 v[4:5], v[2:3]
	v_cmp_class_f64_e64 vcc_lo, v[2:3], 0x260
	s_waitcnt_depctr 0xfff
	v_mul_f64 v[8:9], v[2:3], v[4:5]
	v_mul_f64 v[4:5], v[4:5], 0.5
	v_fma_f64 v[10:11], -v[4:5], v[8:9], 0.5
	s_delay_alu instid0(VALU_DEP_1) | instskip(SKIP_1) | instid1(VALU_DEP_2)
	v_fma_f64 v[8:9], v[8:9], v[10:11], v[8:9]
	v_fma_f64 v[4:5], v[4:5], v[10:11], v[4:5]
	v_fma_f64 v[10:11], -v[8:9], v[8:9], v[2:3]
	s_delay_alu instid0(VALU_DEP_1) | instskip(NEXT) | instid1(VALU_DEP_1)
	v_fma_f64 v[8:9], v[10:11], v[4:5], v[8:9]
	v_fma_f64 v[10:11], -v[8:9], v[8:9], v[2:3]
	s_delay_alu instid0(VALU_DEP_1) | instskip(NEXT) | instid1(VALU_DEP_1)
	v_fma_f64 v[4:5], v[10:11], v[4:5], v[8:9]
	v_ldexp_f64 v[4:5], v[4:5], s1
	s_delay_alu instid0(VALU_DEP_1) | instskip(NEXT) | instid1(VALU_DEP_1)
	v_dual_cndmask_b32 v3, v5, v3 :: v_dual_cndmask_b32 v2, v4, v2
	v_mul_f64 v[4:5], v[0:1], v[2:3]
.LBB61_80:
	s_delay_alu instid0(VALU_DEP_1) | instskip(SKIP_3) | instid1(VALU_DEP_1)
	v_cmp_gt_f64_e32 vcc_lo, 0x10000000, v[4:5]
	v_cndmask_b32_e64 v0, 0, 1, vcc_lo
	s_and_b32 s1, vcc_lo, exec_lo
	s_cselect_b32 s1, 0xffffff80, 0
	v_lshlrev_b32_e32 v0, 8, v0
	s_delay_alu instid0(VALU_DEP_1) | instskip(NEXT) | instid1(VALU_DEP_1)
	v_ldexp_f64 v[0:1], v[4:5], v0
	v_rsq_f64_e32 v[2:3], v[0:1]
	v_cmp_class_f64_e64 vcc_lo, v[0:1], 0x260
	s_waitcnt_depctr 0xfff
	v_mul_f64 v[4:5], v[0:1], v[2:3]
	v_mul_f64 v[2:3], v[2:3], 0.5
	s_delay_alu instid0(VALU_DEP_1) | instskip(NEXT) | instid1(VALU_DEP_1)
	v_fma_f64 v[8:9], -v[2:3], v[4:5], 0.5
	v_fma_f64 v[4:5], v[4:5], v[8:9], v[4:5]
	v_fma_f64 v[2:3], v[2:3], v[8:9], v[2:3]
	s_delay_alu instid0(VALU_DEP_2) | instskip(NEXT) | instid1(VALU_DEP_1)
	v_fma_f64 v[8:9], -v[4:5], v[4:5], v[0:1]
	v_fma_f64 v[4:5], v[8:9], v[2:3], v[4:5]
	s_delay_alu instid0(VALU_DEP_1) | instskip(NEXT) | instid1(VALU_DEP_1)
	v_fma_f64 v[8:9], -v[4:5], v[4:5], v[0:1]
	v_fma_f64 v[2:3], v[8:9], v[2:3], v[4:5]
	s_delay_alu instid0(VALU_DEP_1) | instskip(NEXT) | instid1(VALU_DEP_1)
	v_ldexp_f64 v[3:4], v[2:3], s1
	v_dual_mov_b32 v2, 0 :: v_dual_cndmask_b32 v1, v4, v1
	s_delay_alu instid0(VALU_DEP_1)
	v_dual_cndmask_b32 v0, v3, v0 :: v_dual_mov_b32 v3, v2
	ds_store_b128 v2, v[0:3] offset:544
.LBB61_81:
	s_or_b32 exec_lo, exec_lo, s4
	v_mov_b32_e32 v0, 0
	s_waitcnt lgkmcnt(0)
	buffer_gl0_inv
	ds_load_b128 v[0:3], v0 offset:544
	s_waitcnt lgkmcnt(0)
	v_cmp_neq_f64_e32 vcc_lo, 0, v[0:1]
	v_cmp_neq_f64_e64 s1, 0, v[2:3]
	s_delay_alu instid0(VALU_DEP_1) | instskip(SKIP_4) | instid1(SALU_CYCLE_1)
	s_or_b32 vcc_lo, vcc_lo, s1
	v_cndmask_b32_e32 v1, 0x3ff00000, v1, vcc_lo
	v_dual_cndmask_b32 v0, 0, v0 :: v_dual_cndmask_b32 v3, 0, v3
	v_cndmask_b32_e32 v2, 0, v2, vcc_lo
	s_or_b32 s0, vcc_lo, s0
	s_xor_b32 s1, s0, -1
	s_delay_alu instid0(SALU_CYCLE_1)
	s_and_saveexec_b32 s0, s1
	s_cbranch_execz .LBB61_85
; %bb.82:
	v_mbcnt_lo_u32_b32 v0, exec_lo, 0
	s_mov_b32 s1, exec_lo
	s_delay_alu instid0(VALU_DEP_1)
	v_cmpx_eq_u32_e32 0, v0
	s_cbranch_execz .LBB61_84
; %bb.83:
	v_dual_mov_b32 v0, 0 :: v_dual_mov_b32 v1, s2
	global_atomic_min_i32 v0, v1, s[10:11]
.LBB61_84:
	s_or_b32 exec_lo, exec_lo, s1
	v_mov_b32_e32 v0, 0
	v_dual_mov_b32 v1, 0x3ff00000 :: v_dual_mov_b32 v2, 0
	v_mov_b32_e32 v3, 0
.LBB61_85:
	s_or_b32 exec_lo, exec_lo, s0
	s_delay_alu instid0(SALU_CYCLE_1)
	s_mov_b32 s0, exec_lo
	v_cmpx_lt_u32_e32 2, v15
	s_cbranch_execz .LBB61_87
; %bb.86:
	v_mul_f64 v[4:5], v[2:3], v[2:3]
	v_lshlrev_b32_e32 v29, 6, v15
	s_delay_alu instid0(VALU_DEP_2) | instskip(NEXT) | instid1(VALU_DEP_1)
	v_fma_f64 v[4:5], v[0:1], v[0:1], v[4:5]
	v_div_scale_f64 v[12:13], null, v[4:5], v[4:5], 1.0
	v_div_scale_f64 v[23:24], vcc_lo, 1.0, v[4:5], 1.0
	s_delay_alu instid0(VALU_DEP_2) | instskip(SKIP_2) | instid1(VALU_DEP_1)
	v_rcp_f64_e32 v[8:9], v[12:13]
	s_waitcnt_depctr 0xfff
	v_fma_f64 v[10:11], -v[12:13], v[8:9], 1.0
	v_fma_f64 v[8:9], v[8:9], v[10:11], v[8:9]
	s_delay_alu instid0(VALU_DEP_1) | instskip(NEXT) | instid1(VALU_DEP_1)
	v_fma_f64 v[10:11], -v[12:13], v[8:9], 1.0
	v_fma_f64 v[25:26], v[8:9], v[10:11], v[8:9]
	ds_load_b128 v[8:11], v29 offset:416
	ds_load_b128 v[19:22], v29 offset:608
	s_waitcnt lgkmcnt(0)
	v_add_f64 v[10:11], v[10:11], -v[21:22]
	v_add_f64 v[8:9], v[8:9], -v[19:20]
	v_mul_f64 v[27:28], v[23:24], v[25:26]
	s_delay_alu instid0(VALU_DEP_3) | instskip(NEXT) | instid1(VALU_DEP_3)
	v_mul_f64 v[19:20], v[2:3], v[10:11]
	v_mul_f64 v[2:3], v[2:3], -v[8:9]
	s_delay_alu instid0(VALU_DEP_3) | instskip(NEXT) | instid1(VALU_DEP_3)
	v_fma_f64 v[12:13], -v[12:13], v[27:28], v[23:24]
	v_fma_f64 v[8:9], v[8:9], v[0:1], v[19:20]
	s_delay_alu instid0(VALU_DEP_3) | instskip(NEXT) | instid1(VALU_DEP_3)
	v_fma_f64 v[2:3], v[10:11], v[0:1], v[2:3]
	v_div_fmas_f64 v[12:13], v[12:13], v[25:26], v[27:28]
	s_delay_alu instid0(VALU_DEP_1) | instskip(NEXT) | instid1(VALU_DEP_1)
	v_div_fixup_f64 v[4:5], v[12:13], v[4:5], 1.0
	v_mul_f64 v[0:1], v[4:5], v[8:9]
	s_delay_alu instid0(VALU_DEP_4)
	v_mul_f64 v[2:3], v[4:5], v[2:3]
	v_lshlrev_b32_e32 v4, 6, v14
	ds_store_b128 v29, v[0:3] offset:416
	s_waitcnt lgkmcnt(0)
	s_waitcnt_vscnt null, 0x0
	buffer_gl0_inv
	ds_load_b128 v[8:11], v4 offset:416
	ds_load_b128 v[19:22], v18
	s_waitcnt lgkmcnt(0)
	v_fma_f64 v[4:5], v[0:1], v[8:9], v[19:20]
	v_fma_f64 v[8:9], v[2:3], v[8:9], v[21:22]
	s_delay_alu instid0(VALU_DEP_2) | instskip(NEXT) | instid1(VALU_DEP_2)
	v_fma_f64 v[2:3], v[2:3], v[10:11], v[4:5]
	v_fma_f64 v[4:5], v[0:1], -v[10:11], v[8:9]
	ds_store_b128 v18, v[2:5]
.LBB61_87:
	s_or_b32 exec_lo, exec_lo, s0
	s_delay_alu instid0(SALU_CYCLE_1)
	s_and_not1_b32 vcc_lo, exec_lo, s3
	s_waitcnt lgkmcnt(0)
	s_waitcnt_vscnt null, 0x0
	buffer_gl0_inv
	s_cbranch_vccnz .LBB61_89
; %bb.88:
	v_mov_b32_e32 v16, v17
.LBB61_89:
	s_delay_alu instid0(VALU_DEP_1) | instskip(SKIP_3) | instid1(VALU_DEP_1)
	v_add_nc_u32_e32 v4, s26, v16
	ds_load_2addr_b64 v[0:3], v6 offset1:1
	v_cmp_eq_u32_e64 s3, 0, v7
	v_ashrrev_i32_e32 v5, 31, v4
	v_lshlrev_b64 v[4:5], 4, v[4:5]
	s_delay_alu instid0(VALU_DEP_1) | instskip(NEXT) | instid1(VALU_DEP_2)
	v_add_co_u32 v4, vcc_lo, s18, v4
	v_add_co_ci_u32_e32 v5, vcc_lo, s19, v5, vcc_lo
	s_waitcnt lgkmcnt(0)
	global_store_b128 v[4:5], v[0:3], off
	s_branch .LBB61_95
.LBB61_90:
	v_or_b32_e32 v0, v14, v15
	s_mov_b32 s0, exec_lo
	s_delay_alu instid0(VALU_DEP_1)
	v_cmpx_eq_u32_e32 0, v0
	s_cbranch_execz .LBB61_94
; %bb.91:
	v_mbcnt_lo_u32_b32 v0, exec_lo, 0
	s_mov_b32 s1, exec_lo
	s_delay_alu instid0(VALU_DEP_1)
	v_cmpx_eq_u32_e32 0, v0
	s_cbranch_execz .LBB61_93
; %bb.92:
	s_add_i32 s2, s16, s17
	s_delay_alu instid0(SALU_CYCLE_1)
	v_dual_mov_b32 v0, 0 :: v_dual_mov_b32 v1, s2
	global_atomic_min_i32 v0, v1, s[10:11]
.LBB61_93:
	s_or_b32 exec_lo, exec_lo, s1
	s_delay_alu instid0(SALU_CYCLE_1)
	s_or_b32 s3, s3, exec_lo
.LBB61_94:
	s_or_b32 exec_lo, exec_lo, s0
.LBB61_95:
	s_and_saveexec_b32 s0, s3
	s_cbranch_execnz .LBB61_97
; %bb.96:
	s_nop 0
	s_sendmsg sendmsg(MSG_DEALLOC_VGPRS)
	s_endpgm
.LBB61_97:
	v_dual_mov_b32 v0, 0 :: v_dual_mov_b32 v1, 1
	s_add_u32 s0, s6, s8
	s_addc_u32 s1, s7, s9
	s_waitcnt_vscnt null, 0x0
	global_store_b32 v0, v1, s[0:1]
	s_nop 0
	s_sendmsg sendmsg(MSG_DEALLOC_VGPRS)
	s_endpgm
	.section	.rodata,"a",@progbits
	.p2align	6, 0x0
	.amdhsa_kernel _ZN9rocsparseL26bsric0_2_8_unrolled_kernelILi9ELi32ELi3E21rocsparse_complex_numIdEEEv20rocsparse_direction_iiPKiS5_PT2_S5_PiS5_S8_21rocsparse_index_base_
		.amdhsa_group_segment_fixed_size 1152
		.amdhsa_private_segment_fixed_size 0
		.amdhsa_kernarg_size 76
		.amdhsa_user_sgpr_count 15
		.amdhsa_user_sgpr_dispatch_ptr 0
		.amdhsa_user_sgpr_queue_ptr 0
		.amdhsa_user_sgpr_kernarg_segment_ptr 1
		.amdhsa_user_sgpr_dispatch_id 0
		.amdhsa_user_sgpr_private_segment_size 0
		.amdhsa_wavefront_size32 1
		.amdhsa_uses_dynamic_stack 0
		.amdhsa_enable_private_segment 0
		.amdhsa_system_sgpr_workgroup_id_x 1
		.amdhsa_system_sgpr_workgroup_id_y 0
		.amdhsa_system_sgpr_workgroup_id_z 0
		.amdhsa_system_sgpr_workgroup_info 0
		.amdhsa_system_vgpr_workitem_id 1
		.amdhsa_next_free_vgpr 50
		.amdhsa_next_free_sgpr 37
		.amdhsa_reserve_vcc 1
		.amdhsa_float_round_mode_32 0
		.amdhsa_float_round_mode_16_64 0
		.amdhsa_float_denorm_mode_32 3
		.amdhsa_float_denorm_mode_16_64 3
		.amdhsa_dx10_clamp 1
		.amdhsa_ieee_mode 1
		.amdhsa_fp16_overflow 0
		.amdhsa_workgroup_processor_mode 1
		.amdhsa_memory_ordered 1
		.amdhsa_forward_progress 0
		.amdhsa_shared_vgpr_count 0
		.amdhsa_exception_fp_ieee_invalid_op 0
		.amdhsa_exception_fp_denorm_src 0
		.amdhsa_exception_fp_ieee_div_zero 0
		.amdhsa_exception_fp_ieee_overflow 0
		.amdhsa_exception_fp_ieee_underflow 0
		.amdhsa_exception_fp_ieee_inexact 0
		.amdhsa_exception_int_div_zero 0
	.end_amdhsa_kernel
	.section	.text._ZN9rocsparseL26bsric0_2_8_unrolled_kernelILi9ELi32ELi3E21rocsparse_complex_numIdEEEv20rocsparse_direction_iiPKiS5_PT2_S5_PiS5_S8_21rocsparse_index_base_,"axG",@progbits,_ZN9rocsparseL26bsric0_2_8_unrolled_kernelILi9ELi32ELi3E21rocsparse_complex_numIdEEEv20rocsparse_direction_iiPKiS5_PT2_S5_PiS5_S8_21rocsparse_index_base_,comdat
.Lfunc_end61:
	.size	_ZN9rocsparseL26bsric0_2_8_unrolled_kernelILi9ELi32ELi3E21rocsparse_complex_numIdEEEv20rocsparse_direction_iiPKiS5_PT2_S5_PiS5_S8_21rocsparse_index_base_, .Lfunc_end61-_ZN9rocsparseL26bsric0_2_8_unrolled_kernelILi9ELi32ELi3E21rocsparse_complex_numIdEEEv20rocsparse_direction_iiPKiS5_PT2_S5_PiS5_S8_21rocsparse_index_base_
                                        ; -- End function
	.section	.AMDGPU.csdata,"",@progbits
; Kernel info:
; codeLenInByte = 8188
; NumSgprs: 39
; NumVgprs: 50
; ScratchSize: 0
; MemoryBound: 1
; FloatMode: 240
; IeeeMode: 1
; LDSByteSize: 1152 bytes/workgroup (compile time only)
; SGPRBlocks: 4
; VGPRBlocks: 6
; NumSGPRsForWavesPerEU: 39
; NumVGPRsForWavesPerEU: 50
; Occupancy: 16
; WaveLimiterHint : 1
; COMPUTE_PGM_RSRC2:SCRATCH_EN: 0
; COMPUTE_PGM_RSRC2:USER_SGPR: 15
; COMPUTE_PGM_RSRC2:TRAP_HANDLER: 0
; COMPUTE_PGM_RSRC2:TGID_X_EN: 1
; COMPUTE_PGM_RSRC2:TGID_Y_EN: 0
; COMPUTE_PGM_RSRC2:TGID_Z_EN: 0
; COMPUTE_PGM_RSRC2:TIDIG_COMP_CNT: 1
	.section	.text._ZN9rocsparseL26bsric0_2_8_unrolled_kernelILi16ELi32ELi4E21rocsparse_complex_numIdEEEv20rocsparse_direction_iiPKiS5_PT2_S5_PiS5_S8_21rocsparse_index_base_,"axG",@progbits,_ZN9rocsparseL26bsric0_2_8_unrolled_kernelILi16ELi32ELi4E21rocsparse_complex_numIdEEEv20rocsparse_direction_iiPKiS5_PT2_S5_PiS5_S8_21rocsparse_index_base_,comdat
	.globl	_ZN9rocsparseL26bsric0_2_8_unrolled_kernelILi16ELi32ELi4E21rocsparse_complex_numIdEEEv20rocsparse_direction_iiPKiS5_PT2_S5_PiS5_S8_21rocsparse_index_base_ ; -- Begin function _ZN9rocsparseL26bsric0_2_8_unrolled_kernelILi16ELi32ELi4E21rocsparse_complex_numIdEEEv20rocsparse_direction_iiPKiS5_PT2_S5_PiS5_S8_21rocsparse_index_base_
	.p2align	8
	.type	_ZN9rocsparseL26bsric0_2_8_unrolled_kernelILi16ELi32ELi4E21rocsparse_complex_numIdEEEv20rocsparse_direction_iiPKiS5_PT2_S5_PiS5_S8_21rocsparse_index_base_,@function
_ZN9rocsparseL26bsric0_2_8_unrolled_kernelILi16ELi32ELi4E21rocsparse_complex_numIdEEEv20rocsparse_direction_iiPKiS5_PT2_S5_PiS5_S8_21rocsparse_index_base_: ; @_ZN9rocsparseL26bsric0_2_8_unrolled_kernelILi16ELi32ELi4E21rocsparse_complex_numIdEEEv20rocsparse_direction_iiPKiS5_PT2_S5_PiS5_S8_21rocsparse_index_base_
; %bb.0:
	s_load_b256 s[4:11], s[0:1], 0x28
	s_mov_b32 s2, s15
	s_mov_b32 s3, 0
	v_and_b32_e32 v12, 0x3ff, v0
	s_lshl_b64 s[12:13], s[2:3], 2
	v_bfe_u32 v13, v0, 10, 10
	s_waitcnt lgkmcnt(0)
	s_add_u32 s8, s8, s12
	s_addc_u32 s9, s9, s13
	s_load_b32 s16, s[8:9], 0x0
	s_waitcnt lgkmcnt(0)
	s_ashr_i32 s17, s16, 31
	s_delay_alu instid0(SALU_CYCLE_1) | instskip(NEXT) | instid1(SALU_CYCLE_1)
	s_lshl_b64 s[8:9], s[16:17], 2
	s_add_u32 s12, s4, s8
	s_addc_u32 s13, s5, s9
	s_load_b32 s26, s[12:13], 0x0
	s_load_b32 s17, s[0:1], 0x48
	s_waitcnt lgkmcnt(0)
	s_cmp_lg_u32 s26, -1
	s_cbranch_scc0 .LBB62_6
; %bb.1:
	s_clause 0x1
	s_load_b128 s[12:15], s[0:1], 0x10
	s_load_b64 s[18:19], s[0:1], 0x20
	v_lshlrev_b32_e32 v18, 2, v13
	s_delay_alu instid0(VALU_DEP_1)
	v_add_nc_u32_e32 v17, v18, v12
	s_waitcnt lgkmcnt(0)
	s_add_u32 s2, s12, s8
	s_addc_u32 s3, s13, s9
	s_load_b32 s2, s[2:3], 0x0
	s_mov_b32 s3, exec_lo
	s_waitcnt lgkmcnt(0)
	s_sub_i32 s27, s2, s17
	s_delay_alu instid0(SALU_CYCLE_1) | instskip(NEXT) | instid1(VALU_DEP_1)
	v_add_nc_u32_e32 v0, s27, v17
	v_cmpx_ge_i32_e64 s26, v0
	s_cbranch_execz .LBB62_4
; %bb.2:
	v_ashrrev_i32_e32 v1, 31, v0
	v_lshlrev_b32_e32 v3, 4, v13
	v_lshlrev_b32_e32 v4, 2, v12
	s_mov_b32 s20, 0
	s_delay_alu instid0(VALU_DEP_3) | instskip(NEXT) | instid1(VALU_DEP_2)
	v_lshlrev_b64 v[1:2], 2, v[0:1]
	v_add3_u32 v3, v3, v4, 0x600
	s_delay_alu instid0(VALU_DEP_2) | instskip(NEXT) | instid1(VALU_DEP_3)
	v_add_co_u32 v1, vcc_lo, s14, v1
	v_add_co_ci_u32_e32 v2, vcc_lo, s15, v2, vcc_lo
.LBB62_3:                               ; =>This Inner Loop Header: Depth=1
	global_load_b32 v4, v[1:2], off
	v_add_nc_u32_e32 v0, 16, v0
	v_add_co_u32 v1, vcc_lo, v1, 64
	v_add_co_ci_u32_e32 v2, vcc_lo, 0, v2, vcc_lo
	s_delay_alu instid0(VALU_DEP_3) | instskip(NEXT) | instid1(VALU_DEP_1)
	v_cmp_lt_i32_e64 s2, s26, v0
	s_or_b32 s20, s2, s20
	s_waitcnt vmcnt(0)
	v_subrev_nc_u32_e32 v4, s17, v4
	ds_store_b32 v3, v4
	v_add_nc_u32_e32 v3, 64, v3
	s_and_not1_b32 exec_lo, exec_lo, s20
	s_cbranch_execnz .LBB62_3
.LBB62_4:
	s_or_b32 exec_lo, exec_lo, s3
	v_dual_mov_b32 v1, 0 :: v_dual_lshlrev_b32 v0, 4, v12
	s_mov_b32 s2, 0
	s_cmp_lt_i32 s27, s26
	s_delay_alu instid0(VALU_DEP_1) | instskip(NEXT) | instid1(VALU_DEP_2)
	v_mad_u32_u24 v16, 0x50, v13, v0
	v_mov_b32_e32 v2, v1
	v_mov_b32_e32 v3, v1
	;; [unrolled: 1-line block ×3, first 2 shown]
	ds_store_b128 v16, v[1:4] offset:960
	s_waitcnt lgkmcnt(0)
	buffer_gl0_inv
	s_cbranch_scc1 .LBB62_7
; %bb.5:
	v_lshl_add_u32 v19, v12, 2, v13
	v_or_b32_e32 v14, v12, v13
	s_load_b32 s28, s[0:1], 0x0
	v_add_nc_u32_e32 v15, 0x3c0, v16
	s_and_not1_b32 vcc_lo, exec_lo, s2
	s_cbranch_vccz .LBB62_8
	s_branch .LBB62_49
.LBB62_6:
	s_cbranch_execnz .LBB62_106
	s_branch .LBB62_111
.LBB62_7:
                                        ; implicit-def: $vgpr19
                                        ; implicit-def: $vgpr14
	s_load_b32 s28, s[0:1], 0x0
	v_add_nc_u32_e32 v15, 0x3c0, v16
.LBB62_8:
	v_dual_mov_b32 v27, 0 :: v_dual_lshlrev_b32 v20, 2, v12
	s_movk_i32 s1, 0x50
	s_movk_i32 s0, 0x140
	v_mad_u32_u24 v21, v13, s1, 0x280
	s_delay_alu instid0(VALU_DEP_2)
	v_add_nc_u32_e32 v19, v20, v13
	v_mad_u32_u24 v22, 0x50, v13, s0
	v_or_b32_e32 v14, v12, v13
	s_waitcnt lgkmcnt(0)
	s_cmp_eq_u32 s28, 0
	v_mad_u32_u24 v25, v12, s1, 0x280
	s_cselect_b32 vcc_lo, -1, 0
	v_dual_cndmask_b32 v26, v19, v17 :: v_dual_add_nc_u32 v23, v21, v0
	v_add_nc_u32_e32 v24, v22, v0
	v_cmp_ne_u32_e64 s0, 0, v14
	s_cmp_lg_u32 s28, 0
	s_mov_b32 s2, s27
	s_cselect_b32 s29, -1, 0
	s_branch .LBB62_12
.LBB62_9:                               ;   in Loop: Header=BB62_12 Depth=1
	s_or_b32 exec_lo, exec_lo, s20
	v_mov_b32_e32 v6, 0
	v_dual_mov_b32 v7, 0x3ff00000 :: v_dual_mov_b32 v8, 0
	v_mov_b32_e32 v9, 0
.LBB62_10:                              ;   in Loop: Header=BB62_12 Depth=1
	s_or_b32 exec_lo, exec_lo, s1
	s_delay_alu instid0(VALU_DEP_1)
	v_mul_f64 v[10:11], v[8:9], v[8:9]
	ds_load_b128 v[28:31], v21
	ds_load_b128 v[32:35], v22 offset:48
	ds_load_b128 v[36:39], v27 offset:240
	;; [unrolled: 1-line block ×4, first 2 shown]
	s_add_i32 s2, s2, 1
	s_delay_alu instid0(SALU_CYCLE_1)
	s_cmp_ge_i32 s2, s26
	s_cselect_b32 s23, -1, 0
	s_waitcnt lgkmcnt(2)
	v_fma_f64 v[34:35], v[38:39], v[28:29], v[34:35]
	v_fma_f64 v[28:29], v[36:37], v[28:29], v[32:33]
	v_fma_f64 v[10:11], v[6:7], v[6:7], v[10:11]
	s_delay_alu instid0(VALU_DEP_3) | instskip(NEXT) | instid1(VALU_DEP_3)
	v_fma_f64 v[32:33], v[36:37], -v[30:31], v[34:35]
	v_fma_f64 v[28:29], v[38:39], v[30:31], v[28:29]
	s_delay_alu instid0(VALU_DEP_3) | instskip(SKIP_1) | instid1(VALU_DEP_3)
	v_div_scale_f64 v[48:49], null, v[10:11], v[10:11], 1.0
	s_waitcnt lgkmcnt(0)
	v_fma_f64 v[30:31], v[42:43], v[44:45], v[32:33]
	s_delay_alu instid0(VALU_DEP_3) | instskip(SKIP_1) | instid1(VALU_DEP_4)
	v_fma_f64 v[28:29], v[40:41], v[44:45], v[28:29]
	v_div_scale_f64 v[44:45], vcc_lo, 1.0, v[10:11], 1.0
	v_rcp_f64_e32 v[50:51], v[48:49]
	s_delay_alu instid0(VALU_DEP_3) | instskip(NEXT) | instid1(VALU_DEP_3)
	v_fma_f64 v[38:39], v[40:41], -v[46:47], v[30:31]
	v_fma_f64 v[42:43], v[42:43], v[46:47], v[28:29]
	s_waitcnt_depctr 0xfff
	v_fma_f64 v[34:35], -v[48:49], v[50:51], 1.0
	s_delay_alu instid0(VALU_DEP_1)
	v_fma_f64 v[36:37], v[50:51], v[34:35], v[50:51]
	ds_load_b128 v[28:31], v21 offset:32
	ds_load_b128 v[32:35], v27 offset:272
	s_waitcnt lgkmcnt(0)
	v_fma_f64 v[38:39], v[34:35], v[28:29], v[38:39]
	v_fma_f64 v[28:29], v[32:33], v[28:29], v[42:43]
	v_fma_f64 v[40:41], -v[48:49], v[36:37], 1.0
	s_delay_alu instid0(VALU_DEP_3) | instskip(NEXT) | instid1(VALU_DEP_3)
	v_fma_f64 v[32:33], v[32:33], -v[30:31], v[38:39]
	v_fma_f64 v[28:29], v[34:35], v[30:31], v[28:29]
	s_delay_alu instid0(VALU_DEP_3) | instskip(NEXT) | instid1(VALU_DEP_3)
	v_fma_f64 v[36:37], v[36:37], v[40:41], v[36:37]
	v_add_f64 v[2:3], v[2:3], -v[32:33]
	s_delay_alu instid0(VALU_DEP_3) | instskip(NEXT) | instid1(VALU_DEP_3)
	v_add_f64 v[0:1], v[0:1], -v[28:29]
	v_mul_f64 v[38:39], v[44:45], v[36:37]
	s_delay_alu instid0(VALU_DEP_3) | instskip(NEXT) | instid1(VALU_DEP_3)
	v_mul_f64 v[28:29], v[8:9], v[2:3]
	v_mul_f64 v[8:9], v[8:9], -v[0:1]
	s_delay_alu instid0(VALU_DEP_3) | instskip(NEXT) | instid1(VALU_DEP_3)
	v_fma_f64 v[30:31], -v[48:49], v[38:39], v[44:45]
	v_fma_f64 v[0:1], v[0:1], v[6:7], v[28:29]
	s_delay_alu instid0(VALU_DEP_3) | instskip(NEXT) | instid1(VALU_DEP_3)
	v_fma_f64 v[2:3], v[2:3], v[6:7], v[8:9]
	v_div_fmas_f64 v[30:31], v[30:31], v[36:37], v[38:39]
	s_delay_alu instid0(VALU_DEP_1) | instskip(NEXT) | instid1(VALU_DEP_1)
	v_div_fixup_f64 v[10:11], v[30:31], v[10:11], 1.0
	v_mul_f64 v[0:1], v[10:11], v[0:1]
	s_delay_alu instid0(VALU_DEP_4)
	v_mul_f64 v[2:3], v[10:11], v[2:3]
	ds_store_b128 v21, v[0:3] offset:48
	s_waitcnt lgkmcnt(0)
	s_waitcnt_vscnt null, 0x0
	buffer_gl0_inv
	ds_load_b128 v[6:9], v25 offset:48
	ds_load_b128 v[28:31], v15
	s_waitcnt lgkmcnt(0)
	v_fma_f64 v[10:11], v[0:1], v[6:7], v[28:29]
	v_fma_f64 v[28:29], v[2:3], v[6:7], v[30:31]
	s_delay_alu instid0(VALU_DEP_2) | instskip(NEXT) | instid1(VALU_DEP_2)
	v_fma_f64 v[6:7], v[2:3], v[8:9], v[10:11]
	v_fma_f64 v[8:9], v[0:1], -v[8:9], v[28:29]
	ds_store_b128 v15, v[6:9]
	s_waitcnt lgkmcnt(0)
	buffer_gl0_inv
	ds_load_2addr_b64 v[0:3], v23 offset1:1
	s_waitcnt lgkmcnt(0)
	global_store_b128 v[4:5], v[0:3], off
	s_waitcnt_vscnt null, 0x0
	buffer_gl1_inv
	buffer_gl0_inv
.LBB62_11:                              ;   in Loop: Header=BB62_12 Depth=1
	s_and_b32 vcc_lo, exec_lo, s23
	s_cbranch_vccnz .LBB62_49
.LBB62_12:                              ; =>This Loop Header: Depth=1
                                        ;     Child Loop BB62_15 Depth 2
                                        ;     Child Loop BB62_26 Depth 2
	s_ashr_i32 s3, s2, 31
	s_delay_alu instid0(SALU_CYCLE_1) | instskip(NEXT) | instid1(SALU_CYCLE_1)
	s_lshl_b64 s[20:21], s[2:3], 2
	s_add_u32 s20, s14, s20
	s_addc_u32 s21, s15, s21
	s_load_b32 s3, s[20:21], 0x0
	s_waitcnt lgkmcnt(0)
	s_sub_i32 s22, s3, s17
	s_delay_alu instid0(SALU_CYCLE_1) | instskip(NEXT) | instid1(SALU_CYCLE_1)
	s_ashr_i32 s23, s22, 31
	s_lshl_b64 s[20:21], s[22:23], 2
	s_mov_b32 s23, -1
	s_add_u32 s24, s4, s20
	s_addc_u32 s25, s5, s21
	s_load_b32 s1, s[24:25], 0x0
	s_waitcnt lgkmcnt(0)
	s_cmp_eq_u32 s1, -1
	s_cbranch_scc1 .LBB62_11
; %bb.13:                               ;   in Loop: Header=BB62_12 Depth=1
	v_lshl_add_u32 v0, s2, 4, v26
	s_add_u32 s24, s12, s20
	s_addc_u32 s25, s13, s21
	ds_load_b32 v6, v27 offset:1536
	s_load_b32 s23, s[24:25], 0x0
	v_ashrrev_i32_e32 v1, 31, v0
	s_delay_alu instid0(VALU_DEP_1) | instskip(NEXT) | instid1(VALU_DEP_1)
	v_lshlrev_b64 v[0:1], 4, v[0:1]
	v_add_co_u32 v4, vcc_lo, s18, v0
	s_delay_alu instid0(VALU_DEP_2) | instskip(SKIP_4) | instid1(SALU_CYCLE_1)
	v_add_co_ci_u32_e32 v5, vcc_lo, s19, v1, vcc_lo
	s_waitcnt lgkmcnt(0)
	v_cmp_ge_i32_e32 vcc_lo, s22, v6
	global_load_b128 v[0:3], v[4:5], off
	s_sub_i32 s24, s23, s17
	s_cmp_le_i32 s24, s1
	s_cselect_b32 s23, -1, 0
	s_delay_alu instid0(SALU_CYCLE_1) | instskip(NEXT) | instid1(SALU_CYCLE_1)
	s_and_b32 s23, s23, vcc_lo
	s_and_not1_b32 vcc_lo, exec_lo, s23
	s_mov_b32 s23, 0
	s_waitcnt vmcnt(0)
	ds_store_2addr_b64 v23, v[0:1], v[2:3] offset1:1
	s_cbranch_vccnz .LBB62_25
; %bb.14:                               ;   in Loop: Header=BB62_12 Depth=1
	s_mov_b32 s30, 0
	s_mov_b32 s31, 0
.LBB62_15:                              ;   Parent Loop BB62_12 Depth=1
                                        ; =>  This Inner Loop Header: Depth=2
	s_ashr_i32 s25, s24, 31
                                        ; implicit-def: $sgpr33
	s_delay_alu instid0(SALU_CYCLE_1) | instskip(NEXT) | instid1(SALU_CYCLE_1)
	s_lshl_b64 s[34:35], s[24:25], 2
	s_add_u32 s34, s14, s34
	s_addc_u32 s35, s15, s35
	s_lshl_b32 s23, s31, 2
	s_delay_alu instid0(SALU_CYCLE_1)
	v_mov_b32_e32 v0, s23
	s_load_b32 s23, s[34:35], 0x0
	s_mov_b32 s35, -1
                                        ; implicit-def: $sgpr34
	ds_load_b32 v0, v0 offset:1536
	s_waitcnt lgkmcnt(0)
	s_sub_i32 s36, s23, s17
                                        ; implicit-def: $sgpr23
	s_delay_alu instid0(SALU_CYCLE_1)
	v_cmp_ge_i32_e32 vcc_lo, s36, v0
	v_readfirstlane_b32 s25, v0
	s_cbranch_vccz .LBB62_21
; %bb.16:                               ;   in Loop: Header=BB62_15 Depth=2
	s_delay_alu instid0(VALU_DEP_1)
	s_cmp_le_i32 s36, s25
                                        ; implicit-def: $sgpr23
                                        ; implicit-def: $sgpr34
                                        ; implicit-def: $sgpr33
	s_cbranch_scc0 .LBB62_18
; %bb.17:                               ;   in Loop: Header=BB62_15 Depth=2
	s_add_i32 s23, s31, s27
	s_lshl_b32 s33, s30, 2
	s_lshl_b32 s23, s23, 4
	;; [unrolled: 1-line block ×3, first 2 shown]
	s_delay_alu instid0(SALU_CYCLE_1)
	v_dual_mov_b32 v0, s23 :: v_dual_mov_b32 v1, s34
	v_add_nc_u32_e64 v2, 0x400, s33
	s_add_i32 s33, s31, 1
	s_add_i32 s34, s24, 1
	;; [unrolled: 1-line block ×3, first 2 shown]
	s_mov_b32 s35, 0
	ds_store_2addr_b32 v2, v1, v0 offset0:64 offset1:96
.LBB62_18:                              ;   in Loop: Header=BB62_15 Depth=2
	s_and_not1_b32 vcc_lo, exec_lo, s35
	s_cbranch_vccnz .LBB62_20
; %bb.19:                               ;   in Loop: Header=BB62_15 Depth=2
	s_add_i32 s33, s31, 1
	s_mov_b32 s23, s30
	s_mov_b32 s34, s24
.LBB62_20:                              ;   in Loop: Header=BB62_15 Depth=2
	s_mov_b32 s35, 0
.LBB62_21:                              ;   in Loop: Header=BB62_15 Depth=2
	s_delay_alu instid0(SALU_CYCLE_1)
	s_and_not1_b32 vcc_lo, exec_lo, s35
	s_cbranch_vccnz .LBB62_23
; %bb.22:                               ;   in Loop: Header=BB62_15 Depth=2
	s_add_i32 s34, s24, 1
	s_mov_b32 s33, s31
	s_mov_b32 s23, s30
.LBB62_23:                              ;   in Loop: Header=BB62_15 Depth=2
	s_cmp_le_i32 s34, s1
	s_cselect_b32 s24, -1, 0
	s_cmp_le_i32 s25, s22
	s_cselect_b32 s25, -1, 0
	s_delay_alu instid0(SALU_CYCLE_1) | instskip(NEXT) | instid1(SALU_CYCLE_1)
	s_and_b32 s24, s24, s25
	s_and_b32 vcc_lo, exec_lo, s24
	s_cbranch_vccz .LBB62_25
; %bb.24:                               ;   in Loop: Header=BB62_15 Depth=2
	s_mov_b32 s30, s23
	s_mov_b32 s24, s34
	;; [unrolled: 1-line block ×3, first 2 shown]
	s_branch .LBB62_15
.LBB62_25:                              ;   in Loop: Header=BB62_12 Depth=1
	s_add_u32 s20, s6, s20
	s_addc_u32 s21, s7, s21
	s_waitcnt lgkmcnt(0)
	buffer_gl0_inv
.LBB62_26:                              ;   Parent Loop BB62_12 Depth=1
                                        ; =>  This Inner Loop Header: Depth=2
	global_load_b32 v0, v27, s[20:21] glc
	s_waitcnt vmcnt(0)
	v_cmp_eq_u32_e32 vcc_lo, 0, v0
	s_cbranch_vccnz .LBB62_26
; %bb.27:                               ;   in Loop: Header=BB62_12 Depth=1
	v_lshl_add_u32 v0, s1, 4, v26
	buffer_gl1_inv
	buffer_gl0_inv
	v_mov_b32_e32 v2, 0
	v_mov_b32_e32 v3, 0
	s_cmp_lt_i32 s23, 2
	v_ashrrev_i32_e32 v1, 31, v0
	s_delay_alu instid0(VALU_DEP_1) | instskip(NEXT) | instid1(VALU_DEP_1)
	v_lshlrev_b64 v[0:1], 4, v[0:1]
	v_add_co_u32 v0, vcc_lo, s18, v0
	s_delay_alu instid0(VALU_DEP_2)
	v_add_co_ci_u32_e32 v1, vcc_lo, s19, v1, vcc_lo
	global_load_b128 v[6:9], v[0:1], off
	v_dual_mov_b32 v0, v2 :: v_dual_mov_b32 v1, v3
	s_waitcnt vmcnt(0)
	ds_store_2addr_b64 v16, v[6:7], v[8:9] offset1:1
	s_waitcnt lgkmcnt(0)
	buffer_gl0_inv
	s_cbranch_scc1 .LBB62_34
; %bb.28:                               ;   in Loop: Header=BB62_12 Depth=1
	v_mov_b32_e32 v6, 0
	v_mov_b32_e32 v7, 0
	s_add_i32 s1, s23, -1
	s_movk_i32 s20, 0x500
	s_delay_alu instid0(VALU_DEP_1)
	v_dual_mov_b32 v9, v7 :: v_dual_mov_b32 v8, v6
	v_mov_b32_e32 v0, s20
	s_and_b32 vcc_lo, exec_lo, s29
	ds_load_2addr_b32 v[10:11], v0 offset1:32
	s_cbranch_vccz .LBB62_30
.LBB62_29:                              ;   in Loop: Header=BB62_12 Depth=1
	s_waitcnt lgkmcnt(0)
	v_add_nc_u32_e32 v48, v10, v12
	v_add_nc_u32_e32 v50, v11, v13
	s_delay_alu instid0(VALU_DEP_2) | instskip(NEXT) | instid1(VALU_DEP_2)
	v_ashrrev_i32_e32 v49, 31, v48
	v_ashrrev_i32_e32 v51, 31, v50
	v_add_nc_u32_e32 v32, 4, v48
	v_add_nc_u32_e32 v34, 4, v50
	;; [unrolled: 1-line block ×3, first 2 shown]
	v_lshlrev_b64 v[0:1], 4, v[48:49]
	v_lshlrev_b64 v[2:3], 4, v[50:51]
	v_ashrrev_i32_e32 v33, 31, v32
	v_ashrrev_i32_e32 v35, 31, v34
	v_add_nc_u32_e32 v42, 8, v50
	v_ashrrev_i32_e32 v41, 31, v40
	v_add_co_u32 v0, vcc_lo, s18, v0
	v_add_co_ci_u32_e32 v1, vcc_lo, s19, v1, vcc_lo
	v_add_co_u32 v28, vcc_lo, s18, v2
	v_add_co_ci_u32_e32 v29, vcc_lo, s19, v3, vcc_lo
	v_lshlrev_b64 v[32:33], 4, v[32:33]
	s_clause 0x1
	global_load_b128 v[0:3], v[0:1], off
	global_load_b128 v[28:31], v[28:29], off
	v_lshlrev_b64 v[34:35], 4, v[34:35]
	v_ashrrev_i32_e32 v43, 31, v42
	v_lshlrev_b64 v[40:41], 4, v[40:41]
	v_add_co_u32 v32, vcc_lo, s18, v32
	v_add_co_ci_u32_e32 v33, vcc_lo, s19, v33, vcc_lo
	v_add_co_u32 v36, vcc_lo, s18, v34
	v_add_co_ci_u32_e32 v37, vcc_lo, s19, v35, vcc_lo
	s_clause 0x1
	global_load_b128 v[32:35], v[32:33], off
	global_load_b128 v[36:39], v[36:37], off
	v_lshlrev_b64 v[42:43], 4, v[42:43]
	v_add_co_u32 v40, vcc_lo, s18, v40
	v_add_co_ci_u32_e32 v41, vcc_lo, s19, v41, vcc_lo
	v_add_nc_u32_e32 v48, 12, v48
	s_delay_alu instid0(VALU_DEP_4)
	v_add_co_u32 v44, vcc_lo, s18, v42
	v_add_co_ci_u32_e32 v45, vcc_lo, s19, v43, vcc_lo
	s_clause 0x1
	global_load_b128 v[40:43], v[40:41], off
	global_load_b128 v[44:47], v[44:45], off
	v_add_nc_u32_e32 v50, 12, v50
	v_ashrrev_i32_e32 v49, 31, v48
	s_delay_alu instid0(VALU_DEP_2) | instskip(NEXT) | instid1(VALU_DEP_2)
	v_ashrrev_i32_e32 v51, 31, v50
	v_lshlrev_b64 v[48:49], 4, v[48:49]
	s_delay_alu instid0(VALU_DEP_2) | instskip(NEXT) | instid1(VALU_DEP_2)
	v_lshlrev_b64 v[50:51], 4, v[50:51]
	v_add_co_u32 v48, vcc_lo, s18, v48
	s_delay_alu instid0(VALU_DEP_3) | instskip(NEXT) | instid1(VALU_DEP_3)
	v_add_co_ci_u32_e32 v49, vcc_lo, s19, v49, vcc_lo
	v_add_co_u32 v52, vcc_lo, s18, v50
	s_delay_alu instid0(VALU_DEP_4)
	v_add_co_ci_u32_e32 v53, vcc_lo, s19, v51, vcc_lo
	s_clause 0x1
	global_load_b128 v[48:51], v[48:49], off
	global_load_b128 v[52:55], v[52:53], off
	s_waitcnt vmcnt(6)
	v_fma_f64 v[56:57], v[0:1], v[28:29], v[8:9]
	v_fma_f64 v[28:29], v[2:3], v[28:29], v[6:7]
	s_delay_alu instid0(VALU_DEP_2) | instskip(NEXT) | instid1(VALU_DEP_2)
	v_fma_f64 v[2:3], v[2:3], v[30:31], v[56:57]
	v_fma_f64 v[0:1], v[0:1], -v[30:31], v[28:29]
	s_waitcnt vmcnt(4)
	s_delay_alu instid0(VALU_DEP_2) | instskip(NEXT) | instid1(VALU_DEP_2)
	v_fma_f64 v[2:3], v[32:33], v[36:37], v[2:3]
	v_fma_f64 v[0:1], v[34:35], v[36:37], v[0:1]
	s_delay_alu instid0(VALU_DEP_2) | instskip(NEXT) | instid1(VALU_DEP_2)
	v_fma_f64 v[2:3], v[34:35], v[38:39], v[2:3]
	v_fma_f64 v[0:1], v[32:33], -v[38:39], v[0:1]
	s_waitcnt vmcnt(2)
	s_delay_alu instid0(VALU_DEP_2) | instskip(NEXT) | instid1(VALU_DEP_2)
	;; [unrolled: 7-line block ×3, first 2 shown]
	v_fma_f64 v[2:3], v[48:49], v[52:53], v[2:3]
	v_fma_f64 v[28:29], v[50:51], v[52:53], v[0:1]
	s_delay_alu instid0(VALU_DEP_2) | instskip(NEXT) | instid1(VALU_DEP_2)
	v_fma_f64 v[0:1], v[50:51], v[54:55], v[2:3]
	v_fma_f64 v[2:3], v[48:49], -v[54:55], v[28:29]
	s_cbranch_execz .LBB62_31
	s_branch .LBB62_32
.LBB62_30:                              ;   in Loop: Header=BB62_12 Depth=1
                                        ; implicit-def: $vgpr2_vgpr3
.LBB62_31:                              ;   in Loop: Header=BB62_12 Depth=1
	s_waitcnt lgkmcnt(0)
	v_add_nc_u32_e32 v0, v10, v20
	v_add_nc_u32_e32 v2, v11, v18
	s_delay_alu instid0(VALU_DEP_2) | instskip(NEXT) | instid1(VALU_DEP_2)
	v_ashrrev_i32_e32 v1, 31, v0
	v_ashrrev_i32_e32 v3, 31, v2
	s_delay_alu instid0(VALU_DEP_2) | instskip(NEXT) | instid1(VALU_DEP_2)
	v_lshlrev_b64 v[0:1], 4, v[0:1]
	v_lshlrev_b64 v[2:3], 4, v[2:3]
	s_delay_alu instid0(VALU_DEP_2) | instskip(NEXT) | instid1(VALU_DEP_3)
	v_add_co_u32 v10, vcc_lo, s18, v0
	v_add_co_ci_u32_e32 v11, vcc_lo, s19, v1, vcc_lo
	s_delay_alu instid0(VALU_DEP_3) | instskip(NEXT) | instid1(VALU_DEP_4)
	v_add_co_u32 v52, vcc_lo, s18, v2
	v_add_co_ci_u32_e32 v53, vcc_lo, s19, v3, vcc_lo
	s_clause 0x7
	global_load_b128 v[0:3], v[10:11], off
	global_load_b128 v[28:31], v[52:53], off
	global_load_b128 v[32:35], v[10:11], off offset:16
	global_load_b128 v[36:39], v[52:53], off offset:16
	;; [unrolled: 1-line block ×6, first 2 shown]
	s_waitcnt vmcnt(6)
	v_fma_f64 v[8:9], v[0:1], v[28:29], v[8:9]
	v_fma_f64 v[6:7], v[2:3], v[28:29], v[6:7]
	s_delay_alu instid0(VALU_DEP_2) | instskip(NEXT) | instid1(VALU_DEP_2)
	v_fma_f64 v[2:3], v[2:3], v[30:31], v[8:9]
	v_fma_f64 v[0:1], v[0:1], -v[30:31], v[6:7]
	s_waitcnt vmcnt(4)
	s_delay_alu instid0(VALU_DEP_2) | instskip(NEXT) | instid1(VALU_DEP_2)
	v_fma_f64 v[2:3], v[32:33], v[36:37], v[2:3]
	v_fma_f64 v[0:1], v[34:35], v[36:37], v[0:1]
	s_delay_alu instid0(VALU_DEP_2) | instskip(NEXT) | instid1(VALU_DEP_2)
	v_fma_f64 v[2:3], v[34:35], v[38:39], v[2:3]
	v_fma_f64 v[0:1], v[32:33], -v[38:39], v[0:1]
	s_waitcnt vmcnt(2)
	s_delay_alu instid0(VALU_DEP_2) | instskip(NEXT) | instid1(VALU_DEP_2)
	;; [unrolled: 7-line block ×3, first 2 shown]
	v_fma_f64 v[2:3], v[48:49], v[52:53], v[2:3]
	v_fma_f64 v[6:7], v[50:51], v[52:53], v[0:1]
	s_delay_alu instid0(VALU_DEP_2) | instskip(NEXT) | instid1(VALU_DEP_2)
	v_fma_f64 v[0:1], v[50:51], v[54:55], v[2:3]
	v_fma_f64 v[2:3], v[48:49], -v[54:55], v[6:7]
.LBB62_32:                              ;   in Loop: Header=BB62_12 Depth=1
	s_add_i32 s1, s1, -1
	s_add_i32 s20, s20, 4
	s_cmp_eq_u32 s1, 0
	s_cbranch_scc1 .LBB62_34
; %bb.33:                               ;   in Loop: Header=BB62_12 Depth=1
	s_delay_alu instid0(VALU_DEP_1) | instskip(NEXT) | instid1(VALU_DEP_3)
	v_dual_mov_b32 v7, v3 :: v_dual_mov_b32 v6, v2
	v_dual_mov_b32 v9, v1 :: v_dual_mov_b32 v8, v0
	v_mov_b32_e32 v0, s20
	s_and_b32 vcc_lo, exec_lo, s29
	s_waitcnt lgkmcnt(0)
	ds_load_2addr_b32 v[10:11], v0 offset1:32
	s_cbranch_vccz .LBB62_30
	s_branch .LBB62_29
.LBB62_34:                              ;   in Loop: Header=BB62_12 Depth=1
	ds_store_b128 v24, v[0:3]
	s_waitcnt lgkmcnt(0)
	buffer_gl0_inv
	ds_load_b128 v[6:9], v27
	ds_load_b128 v[0:3], v21
	s_waitcnt lgkmcnt(1)
	v_cmp_neq_f64_e32 vcc_lo, 0, v[6:7]
	v_cmp_neq_f64_e64 s1, 0, v[8:9]
	s_delay_alu instid0(VALU_DEP_1) | instskip(SKIP_4) | instid1(SALU_CYCLE_1)
	s_or_b32 vcc_lo, vcc_lo, s1
	v_cndmask_b32_e32 v7, 0x3ff00000, v7, vcc_lo
	v_dual_cndmask_b32 v6, 0, v6 :: v_dual_cndmask_b32 v9, 0, v9
	v_cndmask_b32_e32 v8, 0, v8, vcc_lo
	s_or_b32 s1, vcc_lo, s0
	s_xor_b32 s20, s1, -1
	s_delay_alu instid0(SALU_CYCLE_1)
	s_and_saveexec_b32 s1, s20
	s_cbranch_execz .LBB62_38
; %bb.35:                               ;   in Loop: Header=BB62_12 Depth=1
	v_mbcnt_lo_u32_b32 v6, exec_lo, 0
	s_mov_b32 s20, exec_lo
	s_delay_alu instid0(VALU_DEP_1)
	v_cmpx_eq_u32_e32 0, v6
	s_cbranch_execz .LBB62_37
; %bb.36:                               ;   in Loop: Header=BB62_12 Depth=1
	v_mov_b32_e32 v6, s3
	global_atomic_min_i32 v27, v6, s[10:11]
.LBB62_37:                              ;   in Loop: Header=BB62_12 Depth=1
	s_or_b32 exec_lo, exec_lo, s20
	v_mov_b32_e32 v6, 0
	v_dual_mov_b32 v7, 0x3ff00000 :: v_dual_mov_b32 v8, 0
	v_mov_b32_e32 v9, 0
.LBB62_38:                              ;   in Loop: Header=BB62_12 Depth=1
	s_or_b32 exec_lo, exec_lo, s1
	s_delay_alu instid0(VALU_DEP_1) | instskip(NEXT) | instid1(VALU_DEP_1)
	v_mul_f64 v[10:11], v[8:9], v[8:9]
	v_fma_f64 v[10:11], v[6:7], v[6:7], v[10:11]
	s_delay_alu instid0(VALU_DEP_1) | instskip(SKIP_1) | instid1(VALU_DEP_2)
	v_div_scale_f64 v[32:33], null, v[10:11], v[10:11], 1.0
	v_div_scale_f64 v[34:35], vcc_lo, 1.0, v[10:11], 1.0
	v_rcp_f64_e32 v[28:29], v[32:33]
	s_waitcnt_depctr 0xfff
	v_fma_f64 v[30:31], -v[32:33], v[28:29], 1.0
	s_delay_alu instid0(VALU_DEP_1) | instskip(NEXT) | instid1(VALU_DEP_1)
	v_fma_f64 v[28:29], v[28:29], v[30:31], v[28:29]
	v_fma_f64 v[30:31], -v[32:33], v[28:29], 1.0
	s_delay_alu instid0(VALU_DEP_1)
	v_fma_f64 v[36:37], v[28:29], v[30:31], v[28:29]
	ds_load_b128 v[28:31], v22
	s_waitcnt lgkmcnt(0)
	v_add_f64 v[2:3], v[2:3], -v[30:31]
	v_add_f64 v[0:1], v[0:1], -v[28:29]
	v_mul_f64 v[38:39], v[34:35], v[36:37]
	s_delay_alu instid0(VALU_DEP_3) | instskip(NEXT) | instid1(VALU_DEP_3)
	v_mul_f64 v[28:29], v[8:9], v[2:3]
	v_mul_f64 v[8:9], v[8:9], -v[0:1]
	s_delay_alu instid0(VALU_DEP_3) | instskip(NEXT) | instid1(VALU_DEP_3)
	v_fma_f64 v[30:31], -v[32:33], v[38:39], v[34:35]
	v_fma_f64 v[0:1], v[0:1], v[6:7], v[28:29]
	s_delay_alu instid0(VALU_DEP_3) | instskip(NEXT) | instid1(VALU_DEP_3)
	v_fma_f64 v[2:3], v[2:3], v[6:7], v[8:9]
	v_div_fmas_f64 v[30:31], v[30:31], v[36:37], v[38:39]
	s_delay_alu instid0(VALU_DEP_1) | instskip(NEXT) | instid1(VALU_DEP_1)
	v_div_fixup_f64 v[10:11], v[30:31], v[10:11], 1.0
	v_mul_f64 v[0:1], v[10:11], v[0:1]
	s_delay_alu instid0(VALU_DEP_4)
	v_mul_f64 v[2:3], v[10:11], v[2:3]
	ds_store_b128 v21, v[0:3]
	s_waitcnt lgkmcnt(0)
	s_waitcnt_vscnt null, 0x0
	buffer_gl0_inv
	ds_load_b128 v[6:9], v25
	ds_load_b128 v[28:31], v15
	s_waitcnt lgkmcnt(0)
	v_fma_f64 v[10:11], v[0:1], v[6:7], v[28:29]
	v_fma_f64 v[28:29], v[2:3], v[6:7], v[30:31]
	s_delay_alu instid0(VALU_DEP_2) | instskip(NEXT) | instid1(VALU_DEP_2)
	v_fma_f64 v[6:7], v[2:3], v[8:9], v[10:11]
	v_fma_f64 v[8:9], v[0:1], -v[8:9], v[28:29]
	ds_store_b128 v15, v[6:9]
	s_waitcnt lgkmcnt(0)
	buffer_gl0_inv
	ds_load_b128 v[6:9], v27 offset:96
	ds_load_b128 v[0:3], v21 offset:16
	s_waitcnt lgkmcnt(1)
	v_cmp_neq_f64_e32 vcc_lo, 0, v[6:7]
	v_cmp_neq_f64_e64 s1, 0, v[8:9]
	s_delay_alu instid0(VALU_DEP_1) | instskip(SKIP_4) | instid1(SALU_CYCLE_1)
	s_or_b32 vcc_lo, vcc_lo, s1
	v_cndmask_b32_e32 v7, 0x3ff00000, v7, vcc_lo
	v_dual_cndmask_b32 v6, 0, v6 :: v_dual_cndmask_b32 v9, 0, v9
	v_cndmask_b32_e32 v8, 0, v8, vcc_lo
	s_or_b32 s1, vcc_lo, s0
	s_xor_b32 s20, s1, -1
	s_delay_alu instid0(SALU_CYCLE_1)
	s_and_saveexec_b32 s1, s20
	s_cbranch_execz .LBB62_42
; %bb.39:                               ;   in Loop: Header=BB62_12 Depth=1
	v_mbcnt_lo_u32_b32 v6, exec_lo, 0
	s_mov_b32 s20, exec_lo
	s_delay_alu instid0(VALU_DEP_1)
	v_cmpx_eq_u32_e32 0, v6
	s_cbranch_execz .LBB62_41
; %bb.40:                               ;   in Loop: Header=BB62_12 Depth=1
	v_mov_b32_e32 v6, s3
	global_atomic_min_i32 v27, v6, s[10:11]
.LBB62_41:                              ;   in Loop: Header=BB62_12 Depth=1
	s_or_b32 exec_lo, exec_lo, s20
	v_mov_b32_e32 v6, 0
	v_dual_mov_b32 v7, 0x3ff00000 :: v_dual_mov_b32 v8, 0
	v_mov_b32_e32 v9, 0
.LBB62_42:                              ;   in Loop: Header=BB62_12 Depth=1
	s_or_b32 exec_lo, exec_lo, s1
	s_delay_alu instid0(VALU_DEP_1) | instskip(NEXT) | instid1(VALU_DEP_1)
	v_mul_f64 v[10:11], v[8:9], v[8:9]
	v_fma_f64 v[10:11], v[6:7], v[6:7], v[10:11]
	s_delay_alu instid0(VALU_DEP_1) | instskip(SKIP_1) | instid1(VALU_DEP_2)
	v_div_scale_f64 v[40:41], null, v[10:11], v[10:11], 1.0
	v_div_scale_f64 v[46:47], vcc_lo, 1.0, v[10:11], 1.0
	v_rcp_f64_e32 v[28:29], v[40:41]
	s_waitcnt_depctr 0xfff
	v_fma_f64 v[30:31], -v[40:41], v[28:29], 1.0
	s_delay_alu instid0(VALU_DEP_1)
	v_fma_f64 v[42:43], v[28:29], v[30:31], v[28:29]
	ds_load_b128 v[28:31], v27 offset:80
	ds_load_b128 v[32:35], v21
	ds_load_b128 v[36:39], v22 offset:16
	s_waitcnt lgkmcnt(0)
	v_fma_f64 v[38:39], v[30:31], v[32:33], v[38:39]
	v_fma_f64 v[32:33], v[28:29], v[32:33], v[36:37]
	v_fma_f64 v[44:45], -v[40:41], v[42:43], 1.0
	s_delay_alu instid0(VALU_DEP_3) | instskip(NEXT) | instid1(VALU_DEP_3)
	v_fma_f64 v[28:29], v[28:29], -v[34:35], v[38:39]
	v_fma_f64 v[30:31], v[30:31], v[34:35], v[32:33]
	s_delay_alu instid0(VALU_DEP_3) | instskip(NEXT) | instid1(VALU_DEP_3)
	v_fma_f64 v[42:43], v[42:43], v[44:45], v[42:43]
	v_add_f64 v[2:3], v[2:3], -v[28:29]
	s_delay_alu instid0(VALU_DEP_3) | instskip(NEXT) | instid1(VALU_DEP_3)
	v_add_f64 v[0:1], v[0:1], -v[30:31]
	v_mul_f64 v[36:37], v[46:47], v[42:43]
	s_delay_alu instid0(VALU_DEP_3) | instskip(NEXT) | instid1(VALU_DEP_3)
	v_mul_f64 v[30:31], v[8:9], v[2:3]
	v_mul_f64 v[8:9], v[8:9], -v[0:1]
	s_delay_alu instid0(VALU_DEP_3) | instskip(NEXT) | instid1(VALU_DEP_3)
	v_fma_f64 v[28:29], -v[40:41], v[36:37], v[46:47]
	v_fma_f64 v[0:1], v[0:1], v[6:7], v[30:31]
	s_delay_alu instid0(VALU_DEP_3) | instskip(NEXT) | instid1(VALU_DEP_3)
	v_fma_f64 v[2:3], v[2:3], v[6:7], v[8:9]
	v_div_fmas_f64 v[28:29], v[28:29], v[42:43], v[36:37]
	s_delay_alu instid0(VALU_DEP_1) | instskip(NEXT) | instid1(VALU_DEP_1)
	v_div_fixup_f64 v[10:11], v[28:29], v[10:11], 1.0
	v_mul_f64 v[0:1], v[10:11], v[0:1]
	s_delay_alu instid0(VALU_DEP_4)
	v_mul_f64 v[2:3], v[10:11], v[2:3]
	ds_store_b128 v21, v[0:3] offset:16
	s_waitcnt lgkmcnt(0)
	s_waitcnt_vscnt null, 0x0
	buffer_gl0_inv
	ds_load_b128 v[6:9], v25 offset:16
	ds_load_b128 v[28:31], v15
	s_waitcnt lgkmcnt(0)
	v_fma_f64 v[10:11], v[0:1], v[6:7], v[28:29]
	v_fma_f64 v[28:29], v[2:3], v[6:7], v[30:31]
	s_delay_alu instid0(VALU_DEP_2) | instskip(NEXT) | instid1(VALU_DEP_2)
	v_fma_f64 v[6:7], v[2:3], v[8:9], v[10:11]
	v_fma_f64 v[8:9], v[0:1], -v[8:9], v[28:29]
	ds_store_b128 v15, v[6:9]
	s_waitcnt lgkmcnt(0)
	buffer_gl0_inv
	ds_load_b128 v[6:9], v27 offset:192
	ds_load_b128 v[0:3], v21 offset:32
	s_waitcnt lgkmcnt(1)
	v_cmp_neq_f64_e32 vcc_lo, 0, v[6:7]
	v_cmp_neq_f64_e64 s1, 0, v[8:9]
	s_delay_alu instid0(VALU_DEP_1) | instskip(SKIP_4) | instid1(SALU_CYCLE_1)
	s_or_b32 vcc_lo, vcc_lo, s1
	v_cndmask_b32_e32 v7, 0x3ff00000, v7, vcc_lo
	v_dual_cndmask_b32 v6, 0, v6 :: v_dual_cndmask_b32 v9, 0, v9
	v_cndmask_b32_e32 v8, 0, v8, vcc_lo
	s_or_b32 s1, vcc_lo, s0
	s_xor_b32 s20, s1, -1
	s_delay_alu instid0(SALU_CYCLE_1)
	s_and_saveexec_b32 s1, s20
	s_cbranch_execz .LBB62_46
; %bb.43:                               ;   in Loop: Header=BB62_12 Depth=1
	v_mbcnt_lo_u32_b32 v6, exec_lo, 0
	s_mov_b32 s20, exec_lo
	s_delay_alu instid0(VALU_DEP_1)
	v_cmpx_eq_u32_e32 0, v6
	s_cbranch_execz .LBB62_45
; %bb.44:                               ;   in Loop: Header=BB62_12 Depth=1
	v_mov_b32_e32 v6, s3
	global_atomic_min_i32 v27, v6, s[10:11]
.LBB62_45:                              ;   in Loop: Header=BB62_12 Depth=1
	s_or_b32 exec_lo, exec_lo, s20
	v_mov_b32_e32 v6, 0
	v_dual_mov_b32 v7, 0x3ff00000 :: v_dual_mov_b32 v8, 0
	v_mov_b32_e32 v9, 0
.LBB62_46:                              ;   in Loop: Header=BB62_12 Depth=1
	s_or_b32 exec_lo, exec_lo, s1
	s_delay_alu instid0(VALU_DEP_1)
	v_mul_f64 v[10:11], v[8:9], v[8:9]
	ds_load_b128 v[28:31], v27 offset:160
	ds_load_b128 v[32:35], v22 offset:32
	ds_load_b128 v[36:39], v21
	ds_load_b128 v[40:43], v21 offset:16
	s_waitcnt lgkmcnt(1)
	v_fma_f64 v[34:35], v[30:31], v[36:37], v[34:35]
	v_fma_f64 v[32:33], v[28:29], v[36:37], v[32:33]
	;; [unrolled: 1-line block ×3, first 2 shown]
	s_delay_alu instid0(VALU_DEP_3) | instskip(NEXT) | instid1(VALU_DEP_3)
	v_fma_f64 v[34:35], v[28:29], -v[38:39], v[34:35]
	v_fma_f64 v[32:33], v[30:31], v[38:39], v[32:33]
	ds_load_b128 v[28:31], v27 offset:176
	v_div_scale_f64 v[44:45], null, v[10:11], v[10:11], 1.0
	v_div_scale_f64 v[38:39], vcc_lo, 1.0, v[10:11], 1.0
	s_waitcnt lgkmcnt(0)
	v_fma_f64 v[34:35], v[30:31], v[40:41], v[34:35]
	v_fma_f64 v[32:33], v[28:29], v[40:41], v[32:33]
	s_delay_alu instid0(VALU_DEP_4) | instskip(NEXT) | instid1(VALU_DEP_2)
	v_rcp_f64_e32 v[46:47], v[44:45]
	v_fma_f64 v[28:29], v[28:29], -v[42:43], v[34:35]
	s_delay_alu instid0(VALU_DEP_2) | instskip(SKIP_4) | instid1(VALU_DEP_3)
	v_fma_f64 v[30:31], v[30:31], v[42:43], v[32:33]
	s_waitcnt_depctr 0xfff
	v_fma_f64 v[48:49], -v[44:45], v[46:47], 1.0
	v_add_f64 v[2:3], v[2:3], -v[28:29]
	v_add_f64 v[0:1], v[0:1], -v[30:31]
	v_fma_f64 v[46:47], v[46:47], v[48:49], v[46:47]
	s_delay_alu instid0(VALU_DEP_3) | instskip(NEXT) | instid1(VALU_DEP_3)
	v_mul_f64 v[30:31], v[8:9], v[2:3]
	v_mul_f64 v[8:9], v[8:9], -v[0:1]
	s_delay_alu instid0(VALU_DEP_3) | instskip(NEXT) | instid1(VALU_DEP_3)
	v_fma_f64 v[36:37], -v[44:45], v[46:47], 1.0
	v_fma_f64 v[0:1], v[0:1], v[6:7], v[30:31]
	s_delay_alu instid0(VALU_DEP_3) | instskip(NEXT) | instid1(VALU_DEP_3)
	v_fma_f64 v[2:3], v[2:3], v[6:7], v[8:9]
	v_fma_f64 v[36:37], v[46:47], v[36:37], v[46:47]
	s_delay_alu instid0(VALU_DEP_1) | instskip(NEXT) | instid1(VALU_DEP_1)
	v_mul_f64 v[34:35], v[38:39], v[36:37]
	v_fma_f64 v[28:29], -v[44:45], v[34:35], v[38:39]
	s_delay_alu instid0(VALU_DEP_1) | instskip(NEXT) | instid1(VALU_DEP_1)
	v_div_fmas_f64 v[28:29], v[28:29], v[36:37], v[34:35]
	v_div_fixup_f64 v[10:11], v[28:29], v[10:11], 1.0
	s_delay_alu instid0(VALU_DEP_1)
	v_mul_f64 v[0:1], v[10:11], v[0:1]
	v_mul_f64 v[2:3], v[10:11], v[2:3]
	ds_store_b128 v21, v[0:3] offset:32
	s_waitcnt lgkmcnt(0)
	s_waitcnt_vscnt null, 0x0
	buffer_gl0_inv
	ds_load_b128 v[6:9], v25 offset:32
	ds_load_b128 v[28:31], v15
	s_waitcnt lgkmcnt(0)
	v_fma_f64 v[10:11], v[0:1], v[6:7], v[28:29]
	v_fma_f64 v[28:29], v[2:3], v[6:7], v[30:31]
	s_delay_alu instid0(VALU_DEP_2) | instskip(NEXT) | instid1(VALU_DEP_2)
	v_fma_f64 v[6:7], v[2:3], v[8:9], v[10:11]
	v_fma_f64 v[8:9], v[0:1], -v[8:9], v[28:29]
	ds_store_b128 v15, v[6:9]
	s_waitcnt lgkmcnt(0)
	buffer_gl0_inv
	ds_load_b128 v[6:9], v27 offset:288
	ds_load_b128 v[0:3], v21 offset:48
	s_waitcnt lgkmcnt(1)
	v_cmp_neq_f64_e32 vcc_lo, 0, v[6:7]
	v_cmp_neq_f64_e64 s1, 0, v[8:9]
	s_delay_alu instid0(VALU_DEP_1) | instskip(SKIP_4) | instid1(SALU_CYCLE_1)
	s_or_b32 vcc_lo, vcc_lo, s1
	v_cndmask_b32_e32 v7, 0x3ff00000, v7, vcc_lo
	v_dual_cndmask_b32 v6, 0, v6 :: v_dual_cndmask_b32 v9, 0, v9
	v_cndmask_b32_e32 v8, 0, v8, vcc_lo
	s_or_b32 s1, vcc_lo, s0
	s_xor_b32 s20, s1, -1
	s_delay_alu instid0(SALU_CYCLE_1)
	s_and_saveexec_b32 s1, s20
	s_cbranch_execz .LBB62_10
; %bb.47:                               ;   in Loop: Header=BB62_12 Depth=1
	v_mbcnt_lo_u32_b32 v6, exec_lo, 0
	s_mov_b32 s20, exec_lo
	s_delay_alu instid0(VALU_DEP_1)
	v_cmpx_eq_u32_e32 0, v6
	s_cbranch_execz .LBB62_9
; %bb.48:                               ;   in Loop: Header=BB62_12 Depth=1
	v_mov_b32_e32 v6, s3
	global_atomic_min_i32 v27, v6, s[10:11]
	s_branch .LBB62_9
.LBB62_49:
	s_waitcnt lgkmcnt(0)
	s_cmp_eq_u32 s28, 0
	v_cmp_ne_u32_e64 s1, 0, v13
	s_cselect_b32 vcc_lo, -1, 0
	s_mov_b32 s2, exec_lo
	v_cndmask_b32_e32 v0, v19, v17, vcc_lo
	s_delay_alu instid0(VALU_DEP_1) | instskip(NEXT) | instid1(VALU_DEP_1)
	v_lshl_add_u32 v0, s26, 4, v0
	v_ashrrev_i32_e32 v1, 31, v0
	s_delay_alu instid0(VALU_DEP_1) | instskip(NEXT) | instid1(VALU_DEP_1)
	v_lshlrev_b64 v[0:1], 4, v[0:1]
	v_add_co_u32 v0, vcc_lo, s18, v0
	s_delay_alu instid0(VALU_DEP_2)
	v_add_co_ci_u32_e32 v1, vcc_lo, s19, v1, vcc_lo
	global_load_b128 v[2:5], v[0:1], off
	s_waitcnt vmcnt(0)
	ds_store_2addr_b64 v16, v[2:3], v[4:5] offset0:80 offset1:81
	s_waitcnt lgkmcnt(0)
	buffer_gl0_inv
	v_cmpx_eq_u32_e32 0, v13
	s_cbranch_execz .LBB62_57
; %bb.50:
	v_mov_b32_e32 v6, 0
	ds_load_b128 v[2:5], v6 offset:960
	ds_load_b128 v[6:9], v6 offset:640
	s_waitcnt lgkmcnt(0)
	v_add_f64 v[2:3], v[6:7], -v[2:3]
	v_add_f64 v[6:7], v[8:9], -v[4:5]
	s_delay_alu instid0(VALU_DEP_2) | instskip(NEXT) | instid1(VALU_DEP_2)
	v_cmp_gt_f64_e32 vcc_lo, 0, v[2:3]
	v_cmp_gt_f64_e64 s0, 0, v[6:7]
	v_xor_b32_e32 v4, 0x80000000, v3
	v_xor_b32_e32 v5, 0x80000000, v7
	s_delay_alu instid0(VALU_DEP_2) | instskip(NEXT) | instid1(VALU_DEP_2)
	v_cndmask_b32_e32 v3, v3, v4, vcc_lo
	v_cndmask_b32_e64 v5, v7, v5, s0
	v_cndmask_b32_e32 v2, v2, v2, vcc_lo
	v_cndmask_b32_e64 v4, v6, v6, s0
	s_delay_alu instid0(VALU_DEP_1)
	v_cmp_ngt_f64_e32 vcc_lo, v[2:3], v[4:5]
	s_cbranch_vccz .LBB62_54
; %bb.51:
	v_cmp_eq_f64_e32 vcc_lo, 0, v[6:7]
	v_mov_b32_e32 v6, 0
	v_mov_b32_e32 v7, 0
	s_cbranch_vccnz .LBB62_53
; %bb.52:
	v_div_scale_f64 v[6:7], null, v[4:5], v[4:5], v[2:3]
	v_div_scale_f64 v[17:18], vcc_lo, v[2:3], v[4:5], v[2:3]
	s_delay_alu instid0(VALU_DEP_2) | instskip(SKIP_2) | instid1(VALU_DEP_1)
	v_rcp_f64_e32 v[8:9], v[6:7]
	s_waitcnt_depctr 0xfff
	v_fma_f64 v[10:11], -v[6:7], v[8:9], 1.0
	v_fma_f64 v[8:9], v[8:9], v[10:11], v[8:9]
	s_delay_alu instid0(VALU_DEP_1) | instskip(NEXT) | instid1(VALU_DEP_1)
	v_fma_f64 v[10:11], -v[6:7], v[8:9], 1.0
	v_fma_f64 v[8:9], v[8:9], v[10:11], v[8:9]
	s_delay_alu instid0(VALU_DEP_1) | instskip(NEXT) | instid1(VALU_DEP_1)
	v_mul_f64 v[10:11], v[17:18], v[8:9]
	v_fma_f64 v[6:7], -v[6:7], v[10:11], v[17:18]
	s_delay_alu instid0(VALU_DEP_1) | instskip(NEXT) | instid1(VALU_DEP_1)
	v_div_fmas_f64 v[6:7], v[6:7], v[8:9], v[10:11]
	v_div_fixup_f64 v[6:7], v[6:7], v[4:5], v[2:3]
	s_delay_alu instid0(VALU_DEP_1) | instskip(NEXT) | instid1(VALU_DEP_1)
	v_fma_f64 v[6:7], v[6:7], v[6:7], 1.0
	v_cmp_gt_f64_e32 vcc_lo, 0x10000000, v[6:7]
	v_cndmask_b32_e64 v8, 0, 1, vcc_lo
	s_and_b32 s0, vcc_lo, exec_lo
	s_cselect_b32 s0, 0xffffff80, 0
	s_delay_alu instid0(VALU_DEP_1) | instskip(NEXT) | instid1(VALU_DEP_1)
	v_lshlrev_b32_e32 v8, 8, v8
	v_ldexp_f64 v[6:7], v[6:7], v8
	s_delay_alu instid0(VALU_DEP_1) | instskip(SKIP_4) | instid1(VALU_DEP_1)
	v_rsq_f64_e32 v[8:9], v[6:7]
	v_cmp_class_f64_e64 vcc_lo, v[6:7], 0x260
	s_waitcnt_depctr 0xfff
	v_mul_f64 v[10:11], v[6:7], v[8:9]
	v_mul_f64 v[8:9], v[8:9], 0.5
	v_fma_f64 v[17:18], -v[8:9], v[10:11], 0.5
	s_delay_alu instid0(VALU_DEP_1) | instskip(SKIP_1) | instid1(VALU_DEP_2)
	v_fma_f64 v[10:11], v[10:11], v[17:18], v[10:11]
	v_fma_f64 v[8:9], v[8:9], v[17:18], v[8:9]
	v_fma_f64 v[17:18], -v[10:11], v[10:11], v[6:7]
	s_delay_alu instid0(VALU_DEP_1) | instskip(NEXT) | instid1(VALU_DEP_1)
	v_fma_f64 v[10:11], v[17:18], v[8:9], v[10:11]
	v_fma_f64 v[17:18], -v[10:11], v[10:11], v[6:7]
	s_delay_alu instid0(VALU_DEP_1) | instskip(NEXT) | instid1(VALU_DEP_1)
	v_fma_f64 v[8:9], v[17:18], v[8:9], v[10:11]
	v_ldexp_f64 v[8:9], v[8:9], s0
	s_delay_alu instid0(VALU_DEP_1) | instskip(NEXT) | instid1(VALU_DEP_1)
	v_dual_cndmask_b32 v7, v9, v7 :: v_dual_cndmask_b32 v6, v8, v6
	v_mul_f64 v[6:7], v[4:5], v[6:7]
.LBB62_53:
	s_cbranch_execz .LBB62_55
	s_branch .LBB62_56
.LBB62_54:
                                        ; implicit-def: $vgpr6_vgpr7
.LBB62_55:
	v_div_scale_f64 v[6:7], null, v[2:3], v[2:3], v[4:5]
	v_div_scale_f64 v[17:18], vcc_lo, v[4:5], v[2:3], v[4:5]
	s_delay_alu instid0(VALU_DEP_2) | instskip(SKIP_2) | instid1(VALU_DEP_1)
	v_rcp_f64_e32 v[8:9], v[6:7]
	s_waitcnt_depctr 0xfff
	v_fma_f64 v[10:11], -v[6:7], v[8:9], 1.0
	v_fma_f64 v[8:9], v[8:9], v[10:11], v[8:9]
	s_delay_alu instid0(VALU_DEP_1) | instskip(NEXT) | instid1(VALU_DEP_1)
	v_fma_f64 v[10:11], -v[6:7], v[8:9], 1.0
	v_fma_f64 v[8:9], v[8:9], v[10:11], v[8:9]
	s_delay_alu instid0(VALU_DEP_1) | instskip(NEXT) | instid1(VALU_DEP_1)
	v_mul_f64 v[10:11], v[17:18], v[8:9]
	v_fma_f64 v[6:7], -v[6:7], v[10:11], v[17:18]
	s_delay_alu instid0(VALU_DEP_1) | instskip(NEXT) | instid1(VALU_DEP_1)
	v_div_fmas_f64 v[6:7], v[6:7], v[8:9], v[10:11]
	v_div_fixup_f64 v[4:5], v[6:7], v[2:3], v[4:5]
	s_delay_alu instid0(VALU_DEP_1) | instskip(NEXT) | instid1(VALU_DEP_1)
	v_fma_f64 v[4:5], v[4:5], v[4:5], 1.0
	v_cmp_gt_f64_e32 vcc_lo, 0x10000000, v[4:5]
	v_cndmask_b32_e64 v6, 0, 1, vcc_lo
	s_and_b32 s0, vcc_lo, exec_lo
	s_cselect_b32 s0, 0xffffff80, 0
	s_delay_alu instid0(VALU_DEP_1) | instskip(NEXT) | instid1(VALU_DEP_1)
	v_lshlrev_b32_e32 v6, 8, v6
	v_ldexp_f64 v[4:5], v[4:5], v6
	s_delay_alu instid0(VALU_DEP_1) | instskip(SKIP_4) | instid1(VALU_DEP_1)
	v_rsq_f64_e32 v[6:7], v[4:5]
	v_cmp_class_f64_e64 vcc_lo, v[4:5], 0x260
	s_waitcnt_depctr 0xfff
	v_mul_f64 v[8:9], v[4:5], v[6:7]
	v_mul_f64 v[6:7], v[6:7], 0.5
	v_fma_f64 v[10:11], -v[6:7], v[8:9], 0.5
	s_delay_alu instid0(VALU_DEP_1) | instskip(SKIP_1) | instid1(VALU_DEP_2)
	v_fma_f64 v[8:9], v[8:9], v[10:11], v[8:9]
	v_fma_f64 v[6:7], v[6:7], v[10:11], v[6:7]
	v_fma_f64 v[10:11], -v[8:9], v[8:9], v[4:5]
	s_delay_alu instid0(VALU_DEP_1) | instskip(NEXT) | instid1(VALU_DEP_1)
	v_fma_f64 v[8:9], v[10:11], v[6:7], v[8:9]
	v_fma_f64 v[10:11], -v[8:9], v[8:9], v[4:5]
	s_delay_alu instid0(VALU_DEP_1) | instskip(NEXT) | instid1(VALU_DEP_1)
	v_fma_f64 v[6:7], v[10:11], v[6:7], v[8:9]
	v_ldexp_f64 v[6:7], v[6:7], s0
	s_delay_alu instid0(VALU_DEP_1) | instskip(NEXT) | instid1(VALU_DEP_1)
	v_dual_cndmask_b32 v5, v7, v5 :: v_dual_cndmask_b32 v4, v6, v4
	v_mul_f64 v[6:7], v[2:3], v[4:5]
.LBB62_56:
	s_delay_alu instid0(VALU_DEP_1) | instskip(SKIP_3) | instid1(VALU_DEP_1)
	v_cmp_gt_f64_e32 vcc_lo, 0x10000000, v[6:7]
	v_cndmask_b32_e64 v2, 0, 1, vcc_lo
	s_and_b32 s0, vcc_lo, exec_lo
	s_cselect_b32 s0, 0xffffff80, 0
	v_lshlrev_b32_e32 v2, 8, v2
	s_delay_alu instid0(VALU_DEP_1) | instskip(NEXT) | instid1(VALU_DEP_1)
	v_ldexp_f64 v[2:3], v[6:7], v2
	v_rsq_f64_e32 v[4:5], v[2:3]
	v_cmp_class_f64_e64 vcc_lo, v[2:3], 0x260
	s_waitcnt_depctr 0xfff
	v_mul_f64 v[6:7], v[2:3], v[4:5]
	v_mul_f64 v[4:5], v[4:5], 0.5
	s_delay_alu instid0(VALU_DEP_1) | instskip(NEXT) | instid1(VALU_DEP_1)
	v_fma_f64 v[8:9], -v[4:5], v[6:7], 0.5
	v_fma_f64 v[6:7], v[6:7], v[8:9], v[6:7]
	v_fma_f64 v[4:5], v[4:5], v[8:9], v[4:5]
	s_delay_alu instid0(VALU_DEP_2) | instskip(NEXT) | instid1(VALU_DEP_1)
	v_fma_f64 v[8:9], -v[6:7], v[6:7], v[2:3]
	v_fma_f64 v[6:7], v[8:9], v[4:5], v[6:7]
	s_delay_alu instid0(VALU_DEP_1) | instskip(NEXT) | instid1(VALU_DEP_1)
	v_fma_f64 v[8:9], -v[6:7], v[6:7], v[2:3]
	v_fma_f64 v[4:5], v[8:9], v[4:5], v[6:7]
	s_delay_alu instid0(VALU_DEP_1) | instskip(NEXT) | instid1(VALU_DEP_1)
	v_ldexp_f64 v[5:6], v[4:5], s0
	v_dual_mov_b32 v4, 0 :: v_dual_cndmask_b32 v3, v6, v3
	s_delay_alu instid0(VALU_DEP_1)
	v_dual_cndmask_b32 v2, v5, v2 :: v_dual_mov_b32 v5, v4
	ds_store_b128 v4, v[2:5] offset:640
.LBB62_57:
	s_or_b32 exec_lo, exec_lo, s2
	v_mov_b32_e32 v2, 0
	s_waitcnt lgkmcnt(0)
	buffer_gl0_inv
	v_cmp_ne_u32_e64 s0, 0, v14
	ds_load_b128 v[2:5], v2 offset:640
	s_waitcnt lgkmcnt(0)
	v_cmp_neq_f64_e32 vcc_lo, 0, v[2:3]
	v_cmp_neq_f64_e64 s2, 0, v[4:5]
	s_delay_alu instid0(VALU_DEP_1)
	s_or_b32 vcc_lo, vcc_lo, s2
	v_dual_cndmask_b32 v5, 0, v5 :: v_dual_add_nc_u32 v8, 0x280, v16
	v_cndmask_b32_e32 v3, 0x3ff00000, v3, vcc_lo
	v_cndmask_b32_e32 v2, 0, v2, vcc_lo
	;; [unrolled: 1-line block ×3, first 2 shown]
	s_or_b32 s3, vcc_lo, s0
	s_add_i32 s2, s16, s17
	s_xor_b32 s4, s3, -1
	s_delay_alu instid0(SALU_CYCLE_1)
	s_and_saveexec_b32 s3, s4
	s_cbranch_execz .LBB62_61
; %bb.58:
	v_mbcnt_lo_u32_b32 v2, exec_lo, 0
	s_mov_b32 s4, exec_lo
	s_delay_alu instid0(VALU_DEP_1)
	v_cmpx_eq_u32_e32 0, v2
	s_cbranch_execz .LBB62_60
; %bb.59:
	v_dual_mov_b32 v2, 0 :: v_dual_mov_b32 v3, s2
	global_atomic_min_i32 v2, v3, s[10:11]
.LBB62_60:
	s_or_b32 exec_lo, exec_lo, s4
	v_mov_b32_e32 v2, 0
	v_dual_mov_b32 v3, 0x3ff00000 :: v_dual_mov_b32 v4, 0
	v_mov_b32_e32 v5, 0
.LBB62_61:
	s_or_b32 exec_lo, exec_lo, s3
	s_and_saveexec_b32 s3, s1
	s_cbranch_execz .LBB62_63
; %bb.62:
	s_delay_alu instid0(VALU_DEP_1) | instskip(SKIP_1) | instid1(VALU_DEP_2)
	v_mul_f64 v[6:7], v[4:5], v[4:5]
	v_mul_u32_u24_e32 v11, 0x50, v13
	v_fma_f64 v[6:7], v[2:3], v[2:3], v[6:7]
	s_delay_alu instid0(VALU_DEP_1) | instskip(SKIP_1) | instid1(VALU_DEP_2)
	v_div_scale_f64 v[9:10], null, v[6:7], v[6:7], 1.0
	v_div_scale_f64 v[24:25], vcc_lo, 1.0, v[6:7], 1.0
	v_rcp_f64_e32 v[16:17], v[9:10]
	s_waitcnt_depctr 0xfff
	v_fma_f64 v[18:19], -v[9:10], v[16:17], 1.0
	s_delay_alu instid0(VALU_DEP_1) | instskip(NEXT) | instid1(VALU_DEP_1)
	v_fma_f64 v[16:17], v[16:17], v[18:19], v[16:17]
	v_fma_f64 v[18:19], -v[9:10], v[16:17], 1.0
	s_delay_alu instid0(VALU_DEP_1)
	v_fma_f64 v[26:27], v[16:17], v[18:19], v[16:17]
	ds_load_b128 v[16:19], v11 offset:640
	ds_load_b128 v[20:23], v11 offset:960
	s_waitcnt lgkmcnt(0)
	v_add_f64 v[18:19], v[18:19], -v[22:23]
	v_add_f64 v[16:17], v[16:17], -v[20:21]
	v_mul_f64 v[28:29], v[24:25], v[26:27]
	s_delay_alu instid0(VALU_DEP_3) | instskip(NEXT) | instid1(VALU_DEP_3)
	v_mul_f64 v[20:21], v[4:5], v[18:19]
	v_mul_f64 v[4:5], v[4:5], -v[16:17]
	s_delay_alu instid0(VALU_DEP_3) | instskip(NEXT) | instid1(VALU_DEP_3)
	v_fma_f64 v[9:10], -v[9:10], v[28:29], v[24:25]
	v_fma_f64 v[16:17], v[16:17], v[2:3], v[20:21]
	s_delay_alu instid0(VALU_DEP_3) | instskip(NEXT) | instid1(VALU_DEP_3)
	v_fma_f64 v[4:5], v[18:19], v[2:3], v[4:5]
	v_div_fmas_f64 v[9:10], v[9:10], v[26:27], v[28:29]
	s_delay_alu instid0(VALU_DEP_1) | instskip(NEXT) | instid1(VALU_DEP_1)
	v_div_fixup_f64 v[6:7], v[9:10], v[6:7], 1.0
	v_mul_f64 v[2:3], v[6:7], v[16:17]
	s_delay_alu instid0(VALU_DEP_4)
	v_mul_f64 v[4:5], v[6:7], v[4:5]
	v_mul_u32_u24_e32 v6, 0x50, v12
	ds_store_b128 v11, v[2:5] offset:640
	s_waitcnt lgkmcnt(0)
	s_waitcnt_vscnt null, 0x0
	buffer_gl0_inv
	ds_load_b128 v[16:19], v6 offset:640
	ds_load_b128 v[20:23], v15
	s_waitcnt lgkmcnt(0)
	v_fma_f64 v[6:7], v[2:3], v[16:17], v[20:21]
	v_fma_f64 v[9:10], v[4:5], v[16:17], v[22:23]
	s_delay_alu instid0(VALU_DEP_2) | instskip(NEXT) | instid1(VALU_DEP_2)
	v_fma_f64 v[4:5], v[4:5], v[18:19], v[6:7]
	v_fma_f64 v[6:7], v[2:3], -v[18:19], v[9:10]
	ds_store_b128 v15, v[4:7]
.LBB62_63:
	s_or_b32 exec_lo, exec_lo, s3
	s_delay_alu instid0(SALU_CYCLE_1)
	s_mov_b32 s3, exec_lo
	s_waitcnt lgkmcnt(0)
	s_waitcnt_vscnt null, 0x0
	buffer_gl0_inv
	v_cmpx_eq_u32_e32 1, v13
	s_cbranch_execz .LBB62_71
; %bb.64:
	v_mov_b32_e32 v6, 0
	ds_load_b128 v[2:5], v6 offset:1056
	ds_load_b128 v[16:19], v6 offset:736
	s_waitcnt lgkmcnt(0)
	v_add_f64 v[2:3], v[16:17], -v[2:3]
	v_add_f64 v[6:7], v[18:19], -v[4:5]
	s_delay_alu instid0(VALU_DEP_2) | instskip(NEXT) | instid1(VALU_DEP_2)
	v_cmp_gt_f64_e32 vcc_lo, 0, v[2:3]
	v_cmp_gt_f64_e64 s1, 0, v[6:7]
	v_xor_b32_e32 v4, 0x80000000, v3
	v_xor_b32_e32 v5, 0x80000000, v7
	s_delay_alu instid0(VALU_DEP_2) | instskip(NEXT) | instid1(VALU_DEP_2)
	v_cndmask_b32_e32 v3, v3, v4, vcc_lo
	v_cndmask_b32_e64 v5, v7, v5, s1
	v_cndmask_b32_e32 v2, v2, v2, vcc_lo
	v_cndmask_b32_e64 v4, v6, v6, s1
	s_delay_alu instid0(VALU_DEP_1)
	v_cmp_gt_f64_e32 vcc_lo, v[2:3], v[4:5]
	s_cbranch_vccnz .LBB62_68
; %bb.65:
	v_cmp_eq_f64_e32 vcc_lo, 0, v[6:7]
	v_mov_b32_e32 v6, 0
	v_mov_b32_e32 v7, 0
	s_cbranch_vccnz .LBB62_67
; %bb.66:
	v_div_scale_f64 v[6:7], null, v[4:5], v[4:5], v[2:3]
	v_div_scale_f64 v[18:19], vcc_lo, v[2:3], v[4:5], v[2:3]
	s_delay_alu instid0(VALU_DEP_2) | instskip(SKIP_2) | instid1(VALU_DEP_1)
	v_rcp_f64_e32 v[9:10], v[6:7]
	s_waitcnt_depctr 0xfff
	v_fma_f64 v[16:17], -v[6:7], v[9:10], 1.0
	v_fma_f64 v[9:10], v[9:10], v[16:17], v[9:10]
	s_delay_alu instid0(VALU_DEP_1) | instskip(NEXT) | instid1(VALU_DEP_1)
	v_fma_f64 v[16:17], -v[6:7], v[9:10], 1.0
	v_fma_f64 v[9:10], v[9:10], v[16:17], v[9:10]
	s_delay_alu instid0(VALU_DEP_1) | instskip(NEXT) | instid1(VALU_DEP_1)
	v_mul_f64 v[16:17], v[18:19], v[9:10]
	v_fma_f64 v[6:7], -v[6:7], v[16:17], v[18:19]
	s_delay_alu instid0(VALU_DEP_1) | instskip(NEXT) | instid1(VALU_DEP_1)
	v_div_fmas_f64 v[6:7], v[6:7], v[9:10], v[16:17]
	v_div_fixup_f64 v[6:7], v[6:7], v[4:5], v[2:3]
	s_delay_alu instid0(VALU_DEP_1) | instskip(NEXT) | instid1(VALU_DEP_1)
	v_fma_f64 v[6:7], v[6:7], v[6:7], 1.0
	v_cmp_gt_f64_e32 vcc_lo, 0x10000000, v[6:7]
	v_cndmask_b32_e64 v9, 0, 1, vcc_lo
	s_and_b32 s1, vcc_lo, exec_lo
	s_cselect_b32 s1, 0xffffff80, 0
	s_delay_alu instid0(VALU_DEP_1) | instskip(NEXT) | instid1(VALU_DEP_1)
	v_lshlrev_b32_e32 v9, 8, v9
	v_ldexp_f64 v[6:7], v[6:7], v9
	s_delay_alu instid0(VALU_DEP_1) | instskip(SKIP_4) | instid1(VALU_DEP_1)
	v_rsq_f64_e32 v[9:10], v[6:7]
	v_cmp_class_f64_e64 vcc_lo, v[6:7], 0x260
	s_waitcnt_depctr 0xfff
	v_mul_f64 v[16:17], v[6:7], v[9:10]
	v_mul_f64 v[9:10], v[9:10], 0.5
	v_fma_f64 v[18:19], -v[9:10], v[16:17], 0.5
	s_delay_alu instid0(VALU_DEP_1) | instskip(SKIP_1) | instid1(VALU_DEP_2)
	v_fma_f64 v[16:17], v[16:17], v[18:19], v[16:17]
	v_fma_f64 v[9:10], v[9:10], v[18:19], v[9:10]
	v_fma_f64 v[18:19], -v[16:17], v[16:17], v[6:7]
	s_delay_alu instid0(VALU_DEP_1) | instskip(NEXT) | instid1(VALU_DEP_1)
	v_fma_f64 v[16:17], v[18:19], v[9:10], v[16:17]
	v_fma_f64 v[18:19], -v[16:17], v[16:17], v[6:7]
	s_delay_alu instid0(VALU_DEP_1) | instskip(NEXT) | instid1(VALU_DEP_1)
	v_fma_f64 v[9:10], v[18:19], v[9:10], v[16:17]
	v_ldexp_f64 v[9:10], v[9:10], s1
	s_delay_alu instid0(VALU_DEP_1) | instskip(NEXT) | instid1(VALU_DEP_1)
	v_dual_cndmask_b32 v7, v10, v7 :: v_dual_cndmask_b32 v6, v9, v6
	v_mul_f64 v[6:7], v[4:5], v[6:7]
.LBB62_67:
	s_cbranch_execz .LBB62_69
	s_branch .LBB62_70
.LBB62_68:
                                        ; implicit-def: $vgpr6_vgpr7
.LBB62_69:
	v_div_scale_f64 v[6:7], null, v[2:3], v[2:3], v[4:5]
	v_div_scale_f64 v[18:19], vcc_lo, v[4:5], v[2:3], v[4:5]
	s_delay_alu instid0(VALU_DEP_2) | instskip(SKIP_2) | instid1(VALU_DEP_1)
	v_rcp_f64_e32 v[9:10], v[6:7]
	s_waitcnt_depctr 0xfff
	v_fma_f64 v[16:17], -v[6:7], v[9:10], 1.0
	v_fma_f64 v[9:10], v[9:10], v[16:17], v[9:10]
	s_delay_alu instid0(VALU_DEP_1) | instskip(NEXT) | instid1(VALU_DEP_1)
	v_fma_f64 v[16:17], -v[6:7], v[9:10], 1.0
	v_fma_f64 v[9:10], v[9:10], v[16:17], v[9:10]
	s_delay_alu instid0(VALU_DEP_1) | instskip(NEXT) | instid1(VALU_DEP_1)
	v_mul_f64 v[16:17], v[18:19], v[9:10]
	v_fma_f64 v[6:7], -v[6:7], v[16:17], v[18:19]
	s_delay_alu instid0(VALU_DEP_1) | instskip(NEXT) | instid1(VALU_DEP_1)
	v_div_fmas_f64 v[6:7], v[6:7], v[9:10], v[16:17]
	v_div_fixup_f64 v[4:5], v[6:7], v[2:3], v[4:5]
	s_delay_alu instid0(VALU_DEP_1) | instskip(NEXT) | instid1(VALU_DEP_1)
	v_fma_f64 v[4:5], v[4:5], v[4:5], 1.0
	v_cmp_gt_f64_e32 vcc_lo, 0x10000000, v[4:5]
	v_cndmask_b32_e64 v6, 0, 1, vcc_lo
	s_and_b32 s1, vcc_lo, exec_lo
	s_cselect_b32 s1, 0xffffff80, 0
	s_delay_alu instid0(VALU_DEP_1) | instskip(NEXT) | instid1(VALU_DEP_1)
	v_lshlrev_b32_e32 v6, 8, v6
	v_ldexp_f64 v[4:5], v[4:5], v6
	s_delay_alu instid0(VALU_DEP_1) | instskip(SKIP_4) | instid1(VALU_DEP_1)
	v_rsq_f64_e32 v[6:7], v[4:5]
	v_cmp_class_f64_e64 vcc_lo, v[4:5], 0x260
	s_waitcnt_depctr 0xfff
	v_mul_f64 v[9:10], v[4:5], v[6:7]
	v_mul_f64 v[6:7], v[6:7], 0.5
	v_fma_f64 v[16:17], -v[6:7], v[9:10], 0.5
	s_delay_alu instid0(VALU_DEP_1) | instskip(SKIP_1) | instid1(VALU_DEP_2)
	v_fma_f64 v[9:10], v[9:10], v[16:17], v[9:10]
	v_fma_f64 v[6:7], v[6:7], v[16:17], v[6:7]
	v_fma_f64 v[16:17], -v[9:10], v[9:10], v[4:5]
	s_delay_alu instid0(VALU_DEP_1) | instskip(NEXT) | instid1(VALU_DEP_1)
	v_fma_f64 v[9:10], v[16:17], v[6:7], v[9:10]
	v_fma_f64 v[16:17], -v[9:10], v[9:10], v[4:5]
	s_delay_alu instid0(VALU_DEP_1) | instskip(NEXT) | instid1(VALU_DEP_1)
	v_fma_f64 v[6:7], v[16:17], v[6:7], v[9:10]
	v_ldexp_f64 v[6:7], v[6:7], s1
	s_delay_alu instid0(VALU_DEP_1) | instskip(NEXT) | instid1(VALU_DEP_1)
	v_dual_cndmask_b32 v5, v7, v5 :: v_dual_cndmask_b32 v4, v6, v4
	v_mul_f64 v[6:7], v[2:3], v[4:5]
.LBB62_70:
	s_delay_alu instid0(VALU_DEP_1) | instskip(SKIP_3) | instid1(VALU_DEP_1)
	v_cmp_gt_f64_e32 vcc_lo, 0x10000000, v[6:7]
	v_cndmask_b32_e64 v2, 0, 1, vcc_lo
	s_and_b32 s1, vcc_lo, exec_lo
	s_cselect_b32 s1, 0xffffff80, 0
	v_lshlrev_b32_e32 v2, 8, v2
	s_delay_alu instid0(VALU_DEP_1) | instskip(NEXT) | instid1(VALU_DEP_1)
	v_ldexp_f64 v[2:3], v[6:7], v2
	v_rsq_f64_e32 v[4:5], v[2:3]
	v_cmp_class_f64_e64 vcc_lo, v[2:3], 0x260
	s_waitcnt_depctr 0xfff
	v_mul_f64 v[6:7], v[2:3], v[4:5]
	v_mul_f64 v[4:5], v[4:5], 0.5
	s_delay_alu instid0(VALU_DEP_1) | instskip(NEXT) | instid1(VALU_DEP_1)
	v_fma_f64 v[9:10], -v[4:5], v[6:7], 0.5
	v_fma_f64 v[6:7], v[6:7], v[9:10], v[6:7]
	v_fma_f64 v[4:5], v[4:5], v[9:10], v[4:5]
	s_delay_alu instid0(VALU_DEP_2) | instskip(NEXT) | instid1(VALU_DEP_1)
	v_fma_f64 v[9:10], -v[6:7], v[6:7], v[2:3]
	v_fma_f64 v[6:7], v[9:10], v[4:5], v[6:7]
	s_delay_alu instid0(VALU_DEP_1) | instskip(NEXT) | instid1(VALU_DEP_1)
	v_fma_f64 v[9:10], -v[6:7], v[6:7], v[2:3]
	v_fma_f64 v[4:5], v[9:10], v[4:5], v[6:7]
	s_delay_alu instid0(VALU_DEP_1) | instskip(NEXT) | instid1(VALU_DEP_1)
	v_ldexp_f64 v[5:6], v[4:5], s1
	v_dual_mov_b32 v4, 0 :: v_dual_cndmask_b32 v3, v6, v3
	s_delay_alu instid0(VALU_DEP_1)
	v_dual_cndmask_b32 v2, v5, v2 :: v_dual_mov_b32 v5, v4
	ds_store_b128 v4, v[2:5] offset:736
.LBB62_71:
	s_or_b32 exec_lo, exec_lo, s3
	v_mov_b32_e32 v2, 0
	s_waitcnt lgkmcnt(0)
	buffer_gl0_inv
	ds_load_b128 v[2:5], v2 offset:736
	s_waitcnt lgkmcnt(0)
	v_cmp_neq_f64_e32 vcc_lo, 0, v[2:3]
	v_cmp_neq_f64_e64 s1, 0, v[4:5]
	s_delay_alu instid0(VALU_DEP_1) | instskip(SKIP_4) | instid1(SALU_CYCLE_1)
	s_or_b32 vcc_lo, vcc_lo, s1
	v_cndmask_b32_e32 v3, 0x3ff00000, v3, vcc_lo
	v_dual_cndmask_b32 v2, 0, v2 :: v_dual_cndmask_b32 v5, 0, v5
	v_cndmask_b32_e32 v4, 0, v4, vcc_lo
	s_or_b32 s1, vcc_lo, s0
	s_xor_b32 s3, s1, -1
	s_delay_alu instid0(SALU_CYCLE_1)
	s_and_saveexec_b32 s1, s3
	s_cbranch_execz .LBB62_75
; %bb.72:
	v_mbcnt_lo_u32_b32 v2, exec_lo, 0
	s_mov_b32 s3, exec_lo
	s_delay_alu instid0(VALU_DEP_1)
	v_cmpx_eq_u32_e32 0, v2
	s_cbranch_execz .LBB62_74
; %bb.73:
	v_dual_mov_b32 v2, 0 :: v_dual_mov_b32 v3, s2
	global_atomic_min_i32 v2, v3, s[10:11]
.LBB62_74:
	s_or_b32 exec_lo, exec_lo, s3
	v_mov_b32_e32 v2, 0
	v_dual_mov_b32 v3, 0x3ff00000 :: v_dual_mov_b32 v4, 0
	v_mov_b32_e32 v5, 0
.LBB62_75:
	s_or_b32 exec_lo, exec_lo, s1
	s_delay_alu instid0(SALU_CYCLE_1)
	s_mov_b32 s1, exec_lo
	v_cmpx_lt_u32_e32 1, v13
	s_cbranch_execz .LBB62_77
; %bb.76:
	v_mul_f64 v[6:7], v[4:5], v[4:5]
	v_mul_u32_u24_e32 v11, 0x50, v13
	s_delay_alu instid0(VALU_DEP_2) | instskip(NEXT) | instid1(VALU_DEP_1)
	v_fma_f64 v[6:7], v[2:3], v[2:3], v[6:7]
	v_div_scale_f64 v[9:10], null, v[6:7], v[6:7], 1.0
	v_div_scale_f64 v[24:25], vcc_lo, 1.0, v[6:7], 1.0
	s_delay_alu instid0(VALU_DEP_2) | instskip(SKIP_2) | instid1(VALU_DEP_1)
	v_rcp_f64_e32 v[16:17], v[9:10]
	s_waitcnt_depctr 0xfff
	v_fma_f64 v[18:19], -v[9:10], v[16:17], 1.0
	v_fma_f64 v[16:17], v[16:17], v[18:19], v[16:17]
	s_delay_alu instid0(VALU_DEP_1) | instskip(NEXT) | instid1(VALU_DEP_1)
	v_fma_f64 v[18:19], -v[9:10], v[16:17], 1.0
	v_fma_f64 v[26:27], v[16:17], v[18:19], v[16:17]
	ds_load_b128 v[16:19], v11 offset:656
	ds_load_b128 v[20:23], v11 offset:976
	s_waitcnt lgkmcnt(0)
	v_add_f64 v[18:19], v[18:19], -v[22:23]
	v_add_f64 v[16:17], v[16:17], -v[20:21]
	v_mul_f64 v[28:29], v[24:25], v[26:27]
	s_delay_alu instid0(VALU_DEP_3) | instskip(NEXT) | instid1(VALU_DEP_3)
	v_mul_f64 v[20:21], v[4:5], v[18:19]
	v_mul_f64 v[4:5], v[4:5], -v[16:17]
	s_delay_alu instid0(VALU_DEP_3) | instskip(NEXT) | instid1(VALU_DEP_3)
	v_fma_f64 v[9:10], -v[9:10], v[28:29], v[24:25]
	v_fma_f64 v[16:17], v[16:17], v[2:3], v[20:21]
	s_delay_alu instid0(VALU_DEP_3) | instskip(NEXT) | instid1(VALU_DEP_3)
	v_fma_f64 v[4:5], v[18:19], v[2:3], v[4:5]
	v_div_fmas_f64 v[9:10], v[9:10], v[26:27], v[28:29]
	s_delay_alu instid0(VALU_DEP_1) | instskip(NEXT) | instid1(VALU_DEP_1)
	v_div_fixup_f64 v[6:7], v[9:10], v[6:7], 1.0
	v_mul_f64 v[2:3], v[6:7], v[16:17]
	s_delay_alu instid0(VALU_DEP_4)
	v_mul_f64 v[4:5], v[6:7], v[4:5]
	v_mul_u32_u24_e32 v6, 0x50, v12
	ds_store_b128 v11, v[2:5] offset:656
	s_waitcnt lgkmcnt(0)
	s_waitcnt_vscnt null, 0x0
	buffer_gl0_inv
	ds_load_b128 v[16:19], v6 offset:656
	ds_load_b128 v[20:23], v15
	s_waitcnt lgkmcnt(0)
	v_fma_f64 v[6:7], v[2:3], v[16:17], v[20:21]
	v_fma_f64 v[9:10], v[4:5], v[16:17], v[22:23]
	s_delay_alu instid0(VALU_DEP_2) | instskip(NEXT) | instid1(VALU_DEP_2)
	v_fma_f64 v[4:5], v[4:5], v[18:19], v[6:7]
	v_fma_f64 v[6:7], v[2:3], -v[18:19], v[9:10]
	ds_store_b128 v15, v[4:7]
.LBB62_77:
	s_or_b32 exec_lo, exec_lo, s1
	s_delay_alu instid0(SALU_CYCLE_1)
	s_mov_b32 s3, exec_lo
	s_waitcnt lgkmcnt(0)
	s_waitcnt_vscnt null, 0x0
	buffer_gl0_inv
	v_cmpx_eq_u32_e32 2, v13
	s_cbranch_execz .LBB62_85
; %bb.78:
	v_mov_b32_e32 v6, 0
	ds_load_b128 v[2:5], v6 offset:1152
	ds_load_b128 v[16:19], v6 offset:832
	s_waitcnt lgkmcnt(0)
	v_add_f64 v[2:3], v[16:17], -v[2:3]
	v_add_f64 v[6:7], v[18:19], -v[4:5]
	s_delay_alu instid0(VALU_DEP_2) | instskip(NEXT) | instid1(VALU_DEP_2)
	v_cmp_gt_f64_e32 vcc_lo, 0, v[2:3]
	v_cmp_gt_f64_e64 s1, 0, v[6:7]
	v_xor_b32_e32 v4, 0x80000000, v3
	v_xor_b32_e32 v5, 0x80000000, v7
	s_delay_alu instid0(VALU_DEP_2) | instskip(NEXT) | instid1(VALU_DEP_2)
	v_cndmask_b32_e32 v3, v3, v4, vcc_lo
	v_cndmask_b32_e64 v5, v7, v5, s1
	v_cndmask_b32_e32 v2, v2, v2, vcc_lo
	v_cndmask_b32_e64 v4, v6, v6, s1
	s_delay_alu instid0(VALU_DEP_1)
	v_cmp_gt_f64_e32 vcc_lo, v[2:3], v[4:5]
	s_cbranch_vccnz .LBB62_82
; %bb.79:
	v_cmp_eq_f64_e32 vcc_lo, 0, v[6:7]
	v_mov_b32_e32 v6, 0
	v_mov_b32_e32 v7, 0
	s_cbranch_vccnz .LBB62_81
; %bb.80:
	v_div_scale_f64 v[6:7], null, v[4:5], v[4:5], v[2:3]
	v_div_scale_f64 v[18:19], vcc_lo, v[2:3], v[4:5], v[2:3]
	s_delay_alu instid0(VALU_DEP_2) | instskip(SKIP_2) | instid1(VALU_DEP_1)
	v_rcp_f64_e32 v[9:10], v[6:7]
	s_waitcnt_depctr 0xfff
	v_fma_f64 v[16:17], -v[6:7], v[9:10], 1.0
	v_fma_f64 v[9:10], v[9:10], v[16:17], v[9:10]
	s_delay_alu instid0(VALU_DEP_1) | instskip(NEXT) | instid1(VALU_DEP_1)
	v_fma_f64 v[16:17], -v[6:7], v[9:10], 1.0
	v_fma_f64 v[9:10], v[9:10], v[16:17], v[9:10]
	s_delay_alu instid0(VALU_DEP_1) | instskip(NEXT) | instid1(VALU_DEP_1)
	v_mul_f64 v[16:17], v[18:19], v[9:10]
	v_fma_f64 v[6:7], -v[6:7], v[16:17], v[18:19]
	s_delay_alu instid0(VALU_DEP_1) | instskip(NEXT) | instid1(VALU_DEP_1)
	v_div_fmas_f64 v[6:7], v[6:7], v[9:10], v[16:17]
	v_div_fixup_f64 v[6:7], v[6:7], v[4:5], v[2:3]
	s_delay_alu instid0(VALU_DEP_1) | instskip(NEXT) | instid1(VALU_DEP_1)
	v_fma_f64 v[6:7], v[6:7], v[6:7], 1.0
	v_cmp_gt_f64_e32 vcc_lo, 0x10000000, v[6:7]
	v_cndmask_b32_e64 v9, 0, 1, vcc_lo
	s_and_b32 s1, vcc_lo, exec_lo
	s_cselect_b32 s1, 0xffffff80, 0
	s_delay_alu instid0(VALU_DEP_1) | instskip(NEXT) | instid1(VALU_DEP_1)
	v_lshlrev_b32_e32 v9, 8, v9
	v_ldexp_f64 v[6:7], v[6:7], v9
	s_delay_alu instid0(VALU_DEP_1) | instskip(SKIP_4) | instid1(VALU_DEP_1)
	v_rsq_f64_e32 v[9:10], v[6:7]
	v_cmp_class_f64_e64 vcc_lo, v[6:7], 0x260
	s_waitcnt_depctr 0xfff
	v_mul_f64 v[16:17], v[6:7], v[9:10]
	v_mul_f64 v[9:10], v[9:10], 0.5
	v_fma_f64 v[18:19], -v[9:10], v[16:17], 0.5
	s_delay_alu instid0(VALU_DEP_1) | instskip(SKIP_1) | instid1(VALU_DEP_2)
	v_fma_f64 v[16:17], v[16:17], v[18:19], v[16:17]
	v_fma_f64 v[9:10], v[9:10], v[18:19], v[9:10]
	v_fma_f64 v[18:19], -v[16:17], v[16:17], v[6:7]
	s_delay_alu instid0(VALU_DEP_1) | instskip(NEXT) | instid1(VALU_DEP_1)
	v_fma_f64 v[16:17], v[18:19], v[9:10], v[16:17]
	v_fma_f64 v[18:19], -v[16:17], v[16:17], v[6:7]
	s_delay_alu instid0(VALU_DEP_1) | instskip(NEXT) | instid1(VALU_DEP_1)
	v_fma_f64 v[9:10], v[18:19], v[9:10], v[16:17]
	v_ldexp_f64 v[9:10], v[9:10], s1
	s_delay_alu instid0(VALU_DEP_1) | instskip(NEXT) | instid1(VALU_DEP_1)
	v_dual_cndmask_b32 v7, v10, v7 :: v_dual_cndmask_b32 v6, v9, v6
	v_mul_f64 v[6:7], v[4:5], v[6:7]
.LBB62_81:
	s_cbranch_execz .LBB62_83
	s_branch .LBB62_84
.LBB62_82:
                                        ; implicit-def: $vgpr6_vgpr7
.LBB62_83:
	v_div_scale_f64 v[6:7], null, v[2:3], v[2:3], v[4:5]
	v_div_scale_f64 v[18:19], vcc_lo, v[4:5], v[2:3], v[4:5]
	s_delay_alu instid0(VALU_DEP_2) | instskip(SKIP_2) | instid1(VALU_DEP_1)
	v_rcp_f64_e32 v[9:10], v[6:7]
	s_waitcnt_depctr 0xfff
	v_fma_f64 v[16:17], -v[6:7], v[9:10], 1.0
	v_fma_f64 v[9:10], v[9:10], v[16:17], v[9:10]
	s_delay_alu instid0(VALU_DEP_1) | instskip(NEXT) | instid1(VALU_DEP_1)
	v_fma_f64 v[16:17], -v[6:7], v[9:10], 1.0
	v_fma_f64 v[9:10], v[9:10], v[16:17], v[9:10]
	s_delay_alu instid0(VALU_DEP_1) | instskip(NEXT) | instid1(VALU_DEP_1)
	v_mul_f64 v[16:17], v[18:19], v[9:10]
	v_fma_f64 v[6:7], -v[6:7], v[16:17], v[18:19]
	s_delay_alu instid0(VALU_DEP_1) | instskip(NEXT) | instid1(VALU_DEP_1)
	v_div_fmas_f64 v[6:7], v[6:7], v[9:10], v[16:17]
	v_div_fixup_f64 v[4:5], v[6:7], v[2:3], v[4:5]
	s_delay_alu instid0(VALU_DEP_1) | instskip(NEXT) | instid1(VALU_DEP_1)
	v_fma_f64 v[4:5], v[4:5], v[4:5], 1.0
	v_cmp_gt_f64_e32 vcc_lo, 0x10000000, v[4:5]
	v_cndmask_b32_e64 v6, 0, 1, vcc_lo
	s_and_b32 s1, vcc_lo, exec_lo
	s_cselect_b32 s1, 0xffffff80, 0
	s_delay_alu instid0(VALU_DEP_1) | instskip(NEXT) | instid1(VALU_DEP_1)
	v_lshlrev_b32_e32 v6, 8, v6
	v_ldexp_f64 v[4:5], v[4:5], v6
	s_delay_alu instid0(VALU_DEP_1) | instskip(SKIP_4) | instid1(VALU_DEP_1)
	v_rsq_f64_e32 v[6:7], v[4:5]
	v_cmp_class_f64_e64 vcc_lo, v[4:5], 0x260
	s_waitcnt_depctr 0xfff
	v_mul_f64 v[9:10], v[4:5], v[6:7]
	v_mul_f64 v[6:7], v[6:7], 0.5
	v_fma_f64 v[16:17], -v[6:7], v[9:10], 0.5
	s_delay_alu instid0(VALU_DEP_1) | instskip(SKIP_1) | instid1(VALU_DEP_2)
	v_fma_f64 v[9:10], v[9:10], v[16:17], v[9:10]
	v_fma_f64 v[6:7], v[6:7], v[16:17], v[6:7]
	v_fma_f64 v[16:17], -v[9:10], v[9:10], v[4:5]
	s_delay_alu instid0(VALU_DEP_1) | instskip(NEXT) | instid1(VALU_DEP_1)
	v_fma_f64 v[9:10], v[16:17], v[6:7], v[9:10]
	v_fma_f64 v[16:17], -v[9:10], v[9:10], v[4:5]
	s_delay_alu instid0(VALU_DEP_1) | instskip(NEXT) | instid1(VALU_DEP_1)
	v_fma_f64 v[6:7], v[16:17], v[6:7], v[9:10]
	v_ldexp_f64 v[6:7], v[6:7], s1
	s_delay_alu instid0(VALU_DEP_1) | instskip(NEXT) | instid1(VALU_DEP_1)
	v_dual_cndmask_b32 v5, v7, v5 :: v_dual_cndmask_b32 v4, v6, v4
	v_mul_f64 v[6:7], v[2:3], v[4:5]
.LBB62_84:
	s_delay_alu instid0(VALU_DEP_1) | instskip(SKIP_3) | instid1(VALU_DEP_1)
	v_cmp_gt_f64_e32 vcc_lo, 0x10000000, v[6:7]
	v_cndmask_b32_e64 v2, 0, 1, vcc_lo
	s_and_b32 s1, vcc_lo, exec_lo
	s_cselect_b32 s1, 0xffffff80, 0
	v_lshlrev_b32_e32 v2, 8, v2
	s_delay_alu instid0(VALU_DEP_1) | instskip(NEXT) | instid1(VALU_DEP_1)
	v_ldexp_f64 v[2:3], v[6:7], v2
	v_rsq_f64_e32 v[4:5], v[2:3]
	v_cmp_class_f64_e64 vcc_lo, v[2:3], 0x260
	s_waitcnt_depctr 0xfff
	v_mul_f64 v[6:7], v[2:3], v[4:5]
	v_mul_f64 v[4:5], v[4:5], 0.5
	s_delay_alu instid0(VALU_DEP_1) | instskip(NEXT) | instid1(VALU_DEP_1)
	v_fma_f64 v[9:10], -v[4:5], v[6:7], 0.5
	v_fma_f64 v[6:7], v[6:7], v[9:10], v[6:7]
	v_fma_f64 v[4:5], v[4:5], v[9:10], v[4:5]
	s_delay_alu instid0(VALU_DEP_2) | instskip(NEXT) | instid1(VALU_DEP_1)
	v_fma_f64 v[9:10], -v[6:7], v[6:7], v[2:3]
	v_fma_f64 v[6:7], v[9:10], v[4:5], v[6:7]
	s_delay_alu instid0(VALU_DEP_1) | instskip(NEXT) | instid1(VALU_DEP_1)
	v_fma_f64 v[9:10], -v[6:7], v[6:7], v[2:3]
	v_fma_f64 v[4:5], v[9:10], v[4:5], v[6:7]
	s_delay_alu instid0(VALU_DEP_1) | instskip(NEXT) | instid1(VALU_DEP_1)
	v_ldexp_f64 v[5:6], v[4:5], s1
	v_dual_mov_b32 v4, 0 :: v_dual_cndmask_b32 v3, v6, v3
	s_delay_alu instid0(VALU_DEP_1)
	v_dual_cndmask_b32 v2, v5, v2 :: v_dual_mov_b32 v5, v4
	ds_store_b128 v4, v[2:5] offset:832
.LBB62_85:
	s_or_b32 exec_lo, exec_lo, s3
	v_mov_b32_e32 v2, 0
	s_waitcnt lgkmcnt(0)
	buffer_gl0_inv
	ds_load_b128 v[2:5], v2 offset:832
	s_waitcnt lgkmcnt(0)
	v_cmp_neq_f64_e32 vcc_lo, 0, v[2:3]
	v_cmp_neq_f64_e64 s1, 0, v[4:5]
	s_delay_alu instid0(VALU_DEP_1) | instskip(SKIP_4) | instid1(SALU_CYCLE_1)
	s_or_b32 vcc_lo, vcc_lo, s1
	v_cndmask_b32_e32 v3, 0x3ff00000, v3, vcc_lo
	v_dual_cndmask_b32 v2, 0, v2 :: v_dual_cndmask_b32 v5, 0, v5
	v_cndmask_b32_e32 v4, 0, v4, vcc_lo
	s_or_b32 s1, vcc_lo, s0
	s_xor_b32 s3, s1, -1
	s_delay_alu instid0(SALU_CYCLE_1)
	s_and_saveexec_b32 s1, s3
	s_cbranch_execz .LBB62_89
; %bb.86:
	v_mbcnt_lo_u32_b32 v2, exec_lo, 0
	s_mov_b32 s3, exec_lo
	s_delay_alu instid0(VALU_DEP_1)
	v_cmpx_eq_u32_e32 0, v2
	s_cbranch_execz .LBB62_88
; %bb.87:
	v_dual_mov_b32 v2, 0 :: v_dual_mov_b32 v3, s2
	global_atomic_min_i32 v2, v3, s[10:11]
.LBB62_88:
	s_or_b32 exec_lo, exec_lo, s3
	v_mov_b32_e32 v2, 0
	v_dual_mov_b32 v3, 0x3ff00000 :: v_dual_mov_b32 v4, 0
	v_mov_b32_e32 v5, 0
.LBB62_89:
	s_or_b32 exec_lo, exec_lo, s1
	s_delay_alu instid0(SALU_CYCLE_1)
	s_mov_b32 s1, exec_lo
	v_cmpx_lt_u32_e32 2, v13
	s_cbranch_execz .LBB62_91
; %bb.90:
	v_mul_f64 v[6:7], v[4:5], v[4:5]
	v_mul_u32_u24_e32 v11, 0x50, v13
	s_delay_alu instid0(VALU_DEP_2) | instskip(NEXT) | instid1(VALU_DEP_1)
	v_fma_f64 v[6:7], v[2:3], v[2:3], v[6:7]
	v_div_scale_f64 v[9:10], null, v[6:7], v[6:7], 1.0
	v_div_scale_f64 v[24:25], vcc_lo, 1.0, v[6:7], 1.0
	s_delay_alu instid0(VALU_DEP_2) | instskip(SKIP_2) | instid1(VALU_DEP_1)
	v_rcp_f64_e32 v[16:17], v[9:10]
	s_waitcnt_depctr 0xfff
	v_fma_f64 v[18:19], -v[9:10], v[16:17], 1.0
	v_fma_f64 v[16:17], v[16:17], v[18:19], v[16:17]
	s_delay_alu instid0(VALU_DEP_1) | instskip(NEXT) | instid1(VALU_DEP_1)
	v_fma_f64 v[18:19], -v[9:10], v[16:17], 1.0
	v_fma_f64 v[26:27], v[16:17], v[18:19], v[16:17]
	ds_load_b128 v[16:19], v11 offset:672
	ds_load_b128 v[20:23], v11 offset:992
	s_waitcnt lgkmcnt(0)
	v_add_f64 v[18:19], v[18:19], -v[22:23]
	v_add_f64 v[16:17], v[16:17], -v[20:21]
	v_mul_f64 v[28:29], v[24:25], v[26:27]
	s_delay_alu instid0(VALU_DEP_3) | instskip(NEXT) | instid1(VALU_DEP_3)
	v_mul_f64 v[20:21], v[4:5], v[18:19]
	v_mul_f64 v[4:5], v[4:5], -v[16:17]
	s_delay_alu instid0(VALU_DEP_3) | instskip(NEXT) | instid1(VALU_DEP_3)
	v_fma_f64 v[9:10], -v[9:10], v[28:29], v[24:25]
	v_fma_f64 v[16:17], v[16:17], v[2:3], v[20:21]
	s_delay_alu instid0(VALU_DEP_3) | instskip(NEXT) | instid1(VALU_DEP_3)
	v_fma_f64 v[4:5], v[18:19], v[2:3], v[4:5]
	v_div_fmas_f64 v[9:10], v[9:10], v[26:27], v[28:29]
	s_delay_alu instid0(VALU_DEP_1) | instskip(NEXT) | instid1(VALU_DEP_1)
	v_div_fixup_f64 v[6:7], v[9:10], v[6:7], 1.0
	v_mul_f64 v[2:3], v[6:7], v[16:17]
	s_delay_alu instid0(VALU_DEP_4)
	v_mul_f64 v[4:5], v[6:7], v[4:5]
	v_mul_u32_u24_e32 v6, 0x50, v12
	ds_store_b128 v11, v[2:5] offset:672
	s_waitcnt lgkmcnt(0)
	s_waitcnt_vscnt null, 0x0
	buffer_gl0_inv
	ds_load_b128 v[16:19], v6 offset:672
	ds_load_b128 v[20:23], v15
	s_waitcnt lgkmcnt(0)
	v_fma_f64 v[6:7], v[2:3], v[16:17], v[20:21]
	v_fma_f64 v[9:10], v[4:5], v[16:17], v[22:23]
	s_delay_alu instid0(VALU_DEP_2) | instskip(NEXT) | instid1(VALU_DEP_2)
	v_fma_f64 v[4:5], v[4:5], v[18:19], v[6:7]
	v_fma_f64 v[6:7], v[2:3], -v[18:19], v[9:10]
	ds_store_b128 v15, v[4:7]
.LBB62_91:
	s_or_b32 exec_lo, exec_lo, s1
	s_delay_alu instid0(SALU_CYCLE_1)
	s_mov_b32 s3, exec_lo
	s_waitcnt lgkmcnt(0)
	s_waitcnt_vscnt null, 0x0
	buffer_gl0_inv
	v_cmpx_eq_u32_e32 3, v13
	s_cbranch_execz .LBB62_99
; %bb.92:
	v_mov_b32_e32 v6, 0
	ds_load_b128 v[2:5], v6 offset:1248
	ds_load_b128 v[16:19], v6 offset:928
	s_waitcnt lgkmcnt(0)
	v_add_f64 v[2:3], v[16:17], -v[2:3]
	v_add_f64 v[6:7], v[18:19], -v[4:5]
	s_delay_alu instid0(VALU_DEP_2) | instskip(NEXT) | instid1(VALU_DEP_2)
	v_cmp_gt_f64_e32 vcc_lo, 0, v[2:3]
	v_cmp_gt_f64_e64 s1, 0, v[6:7]
	v_xor_b32_e32 v4, 0x80000000, v3
	v_xor_b32_e32 v5, 0x80000000, v7
	s_delay_alu instid0(VALU_DEP_2) | instskip(NEXT) | instid1(VALU_DEP_2)
	v_cndmask_b32_e32 v3, v3, v4, vcc_lo
	v_cndmask_b32_e64 v5, v7, v5, s1
	v_cndmask_b32_e32 v2, v2, v2, vcc_lo
	v_cndmask_b32_e64 v4, v6, v6, s1
	s_delay_alu instid0(VALU_DEP_1)
	v_cmp_gt_f64_e32 vcc_lo, v[2:3], v[4:5]
	s_cbranch_vccnz .LBB62_96
; %bb.93:
	v_cmp_eq_f64_e32 vcc_lo, 0, v[6:7]
	v_mov_b32_e32 v6, 0
	v_mov_b32_e32 v7, 0
	s_cbranch_vccnz .LBB62_95
; %bb.94:
	v_div_scale_f64 v[6:7], null, v[4:5], v[4:5], v[2:3]
	v_div_scale_f64 v[18:19], vcc_lo, v[2:3], v[4:5], v[2:3]
	s_delay_alu instid0(VALU_DEP_2) | instskip(SKIP_2) | instid1(VALU_DEP_1)
	v_rcp_f64_e32 v[9:10], v[6:7]
	s_waitcnt_depctr 0xfff
	v_fma_f64 v[16:17], -v[6:7], v[9:10], 1.0
	v_fma_f64 v[9:10], v[9:10], v[16:17], v[9:10]
	s_delay_alu instid0(VALU_DEP_1) | instskip(NEXT) | instid1(VALU_DEP_1)
	v_fma_f64 v[16:17], -v[6:7], v[9:10], 1.0
	v_fma_f64 v[9:10], v[9:10], v[16:17], v[9:10]
	s_delay_alu instid0(VALU_DEP_1) | instskip(NEXT) | instid1(VALU_DEP_1)
	v_mul_f64 v[16:17], v[18:19], v[9:10]
	v_fma_f64 v[6:7], -v[6:7], v[16:17], v[18:19]
	s_delay_alu instid0(VALU_DEP_1) | instskip(NEXT) | instid1(VALU_DEP_1)
	v_div_fmas_f64 v[6:7], v[6:7], v[9:10], v[16:17]
	v_div_fixup_f64 v[6:7], v[6:7], v[4:5], v[2:3]
	s_delay_alu instid0(VALU_DEP_1) | instskip(NEXT) | instid1(VALU_DEP_1)
	v_fma_f64 v[6:7], v[6:7], v[6:7], 1.0
	v_cmp_gt_f64_e32 vcc_lo, 0x10000000, v[6:7]
	v_cndmask_b32_e64 v9, 0, 1, vcc_lo
	s_and_b32 s1, vcc_lo, exec_lo
	s_cselect_b32 s1, 0xffffff80, 0
	s_delay_alu instid0(VALU_DEP_1) | instskip(NEXT) | instid1(VALU_DEP_1)
	v_lshlrev_b32_e32 v9, 8, v9
	v_ldexp_f64 v[6:7], v[6:7], v9
	s_delay_alu instid0(VALU_DEP_1) | instskip(SKIP_4) | instid1(VALU_DEP_1)
	v_rsq_f64_e32 v[9:10], v[6:7]
	v_cmp_class_f64_e64 vcc_lo, v[6:7], 0x260
	s_waitcnt_depctr 0xfff
	v_mul_f64 v[16:17], v[6:7], v[9:10]
	v_mul_f64 v[9:10], v[9:10], 0.5
	v_fma_f64 v[18:19], -v[9:10], v[16:17], 0.5
	s_delay_alu instid0(VALU_DEP_1) | instskip(SKIP_1) | instid1(VALU_DEP_2)
	v_fma_f64 v[16:17], v[16:17], v[18:19], v[16:17]
	v_fma_f64 v[9:10], v[9:10], v[18:19], v[9:10]
	v_fma_f64 v[18:19], -v[16:17], v[16:17], v[6:7]
	s_delay_alu instid0(VALU_DEP_1) | instskip(NEXT) | instid1(VALU_DEP_1)
	v_fma_f64 v[16:17], v[18:19], v[9:10], v[16:17]
	v_fma_f64 v[18:19], -v[16:17], v[16:17], v[6:7]
	s_delay_alu instid0(VALU_DEP_1) | instskip(NEXT) | instid1(VALU_DEP_1)
	v_fma_f64 v[9:10], v[18:19], v[9:10], v[16:17]
	v_ldexp_f64 v[9:10], v[9:10], s1
	s_delay_alu instid0(VALU_DEP_1) | instskip(NEXT) | instid1(VALU_DEP_1)
	v_dual_cndmask_b32 v7, v10, v7 :: v_dual_cndmask_b32 v6, v9, v6
	v_mul_f64 v[6:7], v[4:5], v[6:7]
.LBB62_95:
	s_cbranch_execz .LBB62_97
	s_branch .LBB62_98
.LBB62_96:
                                        ; implicit-def: $vgpr6_vgpr7
.LBB62_97:
	v_div_scale_f64 v[6:7], null, v[2:3], v[2:3], v[4:5]
	v_div_scale_f64 v[18:19], vcc_lo, v[4:5], v[2:3], v[4:5]
	s_delay_alu instid0(VALU_DEP_2) | instskip(SKIP_2) | instid1(VALU_DEP_1)
	v_rcp_f64_e32 v[9:10], v[6:7]
	s_waitcnt_depctr 0xfff
	v_fma_f64 v[16:17], -v[6:7], v[9:10], 1.0
	v_fma_f64 v[9:10], v[9:10], v[16:17], v[9:10]
	s_delay_alu instid0(VALU_DEP_1) | instskip(NEXT) | instid1(VALU_DEP_1)
	v_fma_f64 v[16:17], -v[6:7], v[9:10], 1.0
	v_fma_f64 v[9:10], v[9:10], v[16:17], v[9:10]
	s_delay_alu instid0(VALU_DEP_1) | instskip(NEXT) | instid1(VALU_DEP_1)
	v_mul_f64 v[16:17], v[18:19], v[9:10]
	v_fma_f64 v[6:7], -v[6:7], v[16:17], v[18:19]
	s_delay_alu instid0(VALU_DEP_1) | instskip(NEXT) | instid1(VALU_DEP_1)
	v_div_fmas_f64 v[6:7], v[6:7], v[9:10], v[16:17]
	v_div_fixup_f64 v[4:5], v[6:7], v[2:3], v[4:5]
	s_delay_alu instid0(VALU_DEP_1) | instskip(NEXT) | instid1(VALU_DEP_1)
	v_fma_f64 v[4:5], v[4:5], v[4:5], 1.0
	v_cmp_gt_f64_e32 vcc_lo, 0x10000000, v[4:5]
	v_cndmask_b32_e64 v6, 0, 1, vcc_lo
	s_and_b32 s1, vcc_lo, exec_lo
	s_cselect_b32 s1, 0xffffff80, 0
	s_delay_alu instid0(VALU_DEP_1) | instskip(NEXT) | instid1(VALU_DEP_1)
	v_lshlrev_b32_e32 v6, 8, v6
	v_ldexp_f64 v[4:5], v[4:5], v6
	s_delay_alu instid0(VALU_DEP_1) | instskip(SKIP_4) | instid1(VALU_DEP_1)
	v_rsq_f64_e32 v[6:7], v[4:5]
	v_cmp_class_f64_e64 vcc_lo, v[4:5], 0x260
	s_waitcnt_depctr 0xfff
	v_mul_f64 v[9:10], v[4:5], v[6:7]
	v_mul_f64 v[6:7], v[6:7], 0.5
	v_fma_f64 v[16:17], -v[6:7], v[9:10], 0.5
	s_delay_alu instid0(VALU_DEP_1) | instskip(SKIP_1) | instid1(VALU_DEP_2)
	v_fma_f64 v[9:10], v[9:10], v[16:17], v[9:10]
	v_fma_f64 v[6:7], v[6:7], v[16:17], v[6:7]
	v_fma_f64 v[16:17], -v[9:10], v[9:10], v[4:5]
	s_delay_alu instid0(VALU_DEP_1) | instskip(NEXT) | instid1(VALU_DEP_1)
	v_fma_f64 v[9:10], v[16:17], v[6:7], v[9:10]
	v_fma_f64 v[16:17], -v[9:10], v[9:10], v[4:5]
	s_delay_alu instid0(VALU_DEP_1) | instskip(NEXT) | instid1(VALU_DEP_1)
	v_fma_f64 v[6:7], v[16:17], v[6:7], v[9:10]
	v_ldexp_f64 v[6:7], v[6:7], s1
	s_delay_alu instid0(VALU_DEP_1) | instskip(NEXT) | instid1(VALU_DEP_1)
	v_dual_cndmask_b32 v5, v7, v5 :: v_dual_cndmask_b32 v4, v6, v4
	v_mul_f64 v[6:7], v[2:3], v[4:5]
.LBB62_98:
	s_delay_alu instid0(VALU_DEP_1) | instskip(SKIP_3) | instid1(VALU_DEP_1)
	v_cmp_gt_f64_e32 vcc_lo, 0x10000000, v[6:7]
	v_cndmask_b32_e64 v2, 0, 1, vcc_lo
	s_and_b32 s1, vcc_lo, exec_lo
	s_cselect_b32 s1, 0xffffff80, 0
	v_lshlrev_b32_e32 v2, 8, v2
	s_delay_alu instid0(VALU_DEP_1) | instskip(NEXT) | instid1(VALU_DEP_1)
	v_ldexp_f64 v[2:3], v[6:7], v2
	v_rsq_f64_e32 v[4:5], v[2:3]
	v_cmp_class_f64_e64 vcc_lo, v[2:3], 0x260
	s_waitcnt_depctr 0xfff
	v_mul_f64 v[6:7], v[2:3], v[4:5]
	v_mul_f64 v[4:5], v[4:5], 0.5
	s_delay_alu instid0(VALU_DEP_1) | instskip(NEXT) | instid1(VALU_DEP_1)
	v_fma_f64 v[9:10], -v[4:5], v[6:7], 0.5
	v_fma_f64 v[6:7], v[6:7], v[9:10], v[6:7]
	v_fma_f64 v[4:5], v[4:5], v[9:10], v[4:5]
	s_delay_alu instid0(VALU_DEP_2) | instskip(NEXT) | instid1(VALU_DEP_1)
	v_fma_f64 v[9:10], -v[6:7], v[6:7], v[2:3]
	v_fma_f64 v[6:7], v[9:10], v[4:5], v[6:7]
	s_delay_alu instid0(VALU_DEP_1) | instskip(NEXT) | instid1(VALU_DEP_1)
	v_fma_f64 v[9:10], -v[6:7], v[6:7], v[2:3]
	v_fma_f64 v[4:5], v[9:10], v[4:5], v[6:7]
	s_delay_alu instid0(VALU_DEP_1) | instskip(NEXT) | instid1(VALU_DEP_1)
	v_ldexp_f64 v[5:6], v[4:5], s1
	v_dual_mov_b32 v4, 0 :: v_dual_cndmask_b32 v3, v6, v3
	s_delay_alu instid0(VALU_DEP_1)
	v_dual_cndmask_b32 v2, v5, v2 :: v_dual_mov_b32 v5, v4
	ds_store_b128 v4, v[2:5] offset:928
.LBB62_99:
	s_or_b32 exec_lo, exec_lo, s3
	v_mov_b32_e32 v2, 0
	s_waitcnt lgkmcnt(0)
	buffer_gl0_inv
	ds_load_b128 v[2:5], v2 offset:928
	s_waitcnt lgkmcnt(0)
	v_cmp_neq_f64_e32 vcc_lo, 0, v[2:3]
	v_cmp_neq_f64_e64 s1, 0, v[4:5]
	s_delay_alu instid0(VALU_DEP_1) | instskip(SKIP_4) | instid1(SALU_CYCLE_1)
	s_or_b32 vcc_lo, vcc_lo, s1
	v_cndmask_b32_e32 v3, 0x3ff00000, v3, vcc_lo
	v_dual_cndmask_b32 v2, 0, v2 :: v_dual_cndmask_b32 v5, 0, v5
	v_cndmask_b32_e32 v4, 0, v4, vcc_lo
	s_or_b32 s0, vcc_lo, s0
	s_xor_b32 s1, s0, -1
	s_delay_alu instid0(SALU_CYCLE_1)
	s_and_saveexec_b32 s0, s1
	s_cbranch_execz .LBB62_103
; %bb.100:
	v_mbcnt_lo_u32_b32 v2, exec_lo, 0
	s_mov_b32 s1, exec_lo
	s_delay_alu instid0(VALU_DEP_1)
	v_cmpx_eq_u32_e32 0, v2
	s_cbranch_execz .LBB62_102
; %bb.101:
	v_dual_mov_b32 v2, 0 :: v_dual_mov_b32 v3, s2
	global_atomic_min_i32 v2, v3, s[10:11]
.LBB62_102:
	s_or_b32 exec_lo, exec_lo, s1
	v_mov_b32_e32 v2, 0
	v_dual_mov_b32 v3, 0x3ff00000 :: v_dual_mov_b32 v4, 0
	v_mov_b32_e32 v5, 0
.LBB62_103:
	s_or_b32 exec_lo, exec_lo, s0
	s_delay_alu instid0(SALU_CYCLE_1)
	s_mov_b32 s0, exec_lo
	v_cmpx_lt_u32_e32 3, v13
	s_cbranch_execz .LBB62_105
; %bb.104:
	v_mul_f64 v[6:7], v[4:5], v[4:5]
	v_mul_u32_u24_e32 v11, 0x50, v13
	s_delay_alu instid0(VALU_DEP_2) | instskip(NEXT) | instid1(VALU_DEP_1)
	v_fma_f64 v[6:7], v[2:3], v[2:3], v[6:7]
	v_div_scale_f64 v[9:10], null, v[6:7], v[6:7], 1.0
	v_div_scale_f64 v[24:25], vcc_lo, 1.0, v[6:7], 1.0
	s_delay_alu instid0(VALU_DEP_2) | instskip(SKIP_2) | instid1(VALU_DEP_1)
	v_rcp_f64_e32 v[16:17], v[9:10]
	s_waitcnt_depctr 0xfff
	v_fma_f64 v[18:19], -v[9:10], v[16:17], 1.0
	v_fma_f64 v[16:17], v[16:17], v[18:19], v[16:17]
	s_delay_alu instid0(VALU_DEP_1) | instskip(NEXT) | instid1(VALU_DEP_1)
	v_fma_f64 v[18:19], -v[9:10], v[16:17], 1.0
	v_fma_f64 v[26:27], v[16:17], v[18:19], v[16:17]
	ds_load_b128 v[16:19], v11 offset:688
	ds_load_b128 v[20:23], v11 offset:1008
	s_waitcnt lgkmcnt(0)
	v_add_f64 v[18:19], v[18:19], -v[22:23]
	v_add_f64 v[16:17], v[16:17], -v[20:21]
	v_mul_f64 v[28:29], v[24:25], v[26:27]
	s_delay_alu instid0(VALU_DEP_3) | instskip(NEXT) | instid1(VALU_DEP_3)
	v_mul_f64 v[20:21], v[4:5], v[18:19]
	v_mul_f64 v[4:5], v[4:5], -v[16:17]
	s_delay_alu instid0(VALU_DEP_3) | instskip(NEXT) | instid1(VALU_DEP_3)
	v_fma_f64 v[9:10], -v[9:10], v[28:29], v[24:25]
	v_fma_f64 v[16:17], v[16:17], v[2:3], v[20:21]
	s_delay_alu instid0(VALU_DEP_3) | instskip(NEXT) | instid1(VALU_DEP_3)
	v_fma_f64 v[4:5], v[18:19], v[2:3], v[4:5]
	v_div_fmas_f64 v[9:10], v[9:10], v[26:27], v[28:29]
	s_delay_alu instid0(VALU_DEP_1) | instskip(NEXT) | instid1(VALU_DEP_1)
	v_div_fixup_f64 v[6:7], v[9:10], v[6:7], 1.0
	v_mul_f64 v[2:3], v[6:7], v[16:17]
	s_delay_alu instid0(VALU_DEP_4)
	v_mul_f64 v[4:5], v[6:7], v[4:5]
	v_mul_u32_u24_e32 v6, 0x50, v12
	ds_store_b128 v11, v[2:5] offset:688
	s_waitcnt lgkmcnt(0)
	s_waitcnt_vscnt null, 0x0
	buffer_gl0_inv
	ds_load_b128 v[16:19], v6 offset:688
	ds_load_b128 v[20:23], v15
	s_waitcnt lgkmcnt(0)
	v_fma_f64 v[6:7], v[2:3], v[16:17], v[20:21]
	v_fma_f64 v[9:10], v[4:5], v[16:17], v[22:23]
	s_delay_alu instid0(VALU_DEP_2) | instskip(NEXT) | instid1(VALU_DEP_2)
	v_fma_f64 v[4:5], v[4:5], v[18:19], v[6:7]
	v_fma_f64 v[6:7], v[2:3], -v[18:19], v[9:10]
	ds_store_b128 v15, v[4:7]
.LBB62_105:
	s_or_b32 exec_lo, exec_lo, s0
	s_waitcnt lgkmcnt(0)
	s_waitcnt_vscnt null, 0x0
	buffer_gl0_inv
	ds_load_2addr_b64 v[2:5], v8 offset1:1
	v_cmp_eq_u32_e64 s3, 0, v14
	s_waitcnt lgkmcnt(0)
	global_store_b128 v[0:1], v[2:5], off
	s_branch .LBB62_111
.LBB62_106:
	v_or_b32_e32 v0, v12, v13
	s_mov_b32 s0, exec_lo
	s_delay_alu instid0(VALU_DEP_1)
	v_cmpx_eq_u32_e32 0, v0
	s_cbranch_execz .LBB62_110
; %bb.107:
	v_mbcnt_lo_u32_b32 v0, exec_lo, 0
	s_mov_b32 s1, exec_lo
	s_delay_alu instid0(VALU_DEP_1)
	v_cmpx_eq_u32_e32 0, v0
	s_cbranch_execz .LBB62_109
; %bb.108:
	s_add_i32 s2, s16, s17
	s_delay_alu instid0(SALU_CYCLE_1)
	v_dual_mov_b32 v0, 0 :: v_dual_mov_b32 v1, s2
	global_atomic_min_i32 v0, v1, s[10:11]
.LBB62_109:
	s_or_b32 exec_lo, exec_lo, s1
	s_delay_alu instid0(SALU_CYCLE_1)
	s_or_b32 s3, s3, exec_lo
.LBB62_110:
	s_or_b32 exec_lo, exec_lo, s0
.LBB62_111:
	s_and_saveexec_b32 s0, s3
	s_cbranch_execnz .LBB62_113
; %bb.112:
	s_nop 0
	s_sendmsg sendmsg(MSG_DEALLOC_VGPRS)
	s_endpgm
.LBB62_113:
	v_dual_mov_b32 v0, 0 :: v_dual_mov_b32 v1, 1
	s_add_u32 s0, s6, s8
	s_addc_u32 s1, s7, s9
	s_waitcnt_vscnt null, 0x0
	global_store_b32 v0, v1, s[0:1]
	s_nop 0
	s_sendmsg sendmsg(MSG_DEALLOC_VGPRS)
	s_endpgm
	.section	.rodata,"a",@progbits
	.p2align	6, 0x0
	.amdhsa_kernel _ZN9rocsparseL26bsric0_2_8_unrolled_kernelILi16ELi32ELi4E21rocsparse_complex_numIdEEEv20rocsparse_direction_iiPKiS5_PT2_S5_PiS5_S8_21rocsparse_index_base_
		.amdhsa_group_segment_fixed_size 1664
		.amdhsa_private_segment_fixed_size 0
		.amdhsa_kernarg_size 76
		.amdhsa_user_sgpr_count 15
		.amdhsa_user_sgpr_dispatch_ptr 0
		.amdhsa_user_sgpr_queue_ptr 0
		.amdhsa_user_sgpr_kernarg_segment_ptr 1
		.amdhsa_user_sgpr_dispatch_id 0
		.amdhsa_user_sgpr_private_segment_size 0
		.amdhsa_wavefront_size32 1
		.amdhsa_uses_dynamic_stack 0
		.amdhsa_enable_private_segment 0
		.amdhsa_system_sgpr_workgroup_id_x 1
		.amdhsa_system_sgpr_workgroup_id_y 0
		.amdhsa_system_sgpr_workgroup_id_z 0
		.amdhsa_system_sgpr_workgroup_info 0
		.amdhsa_system_vgpr_workitem_id 1
		.amdhsa_next_free_vgpr 58
		.amdhsa_next_free_sgpr 37
		.amdhsa_reserve_vcc 1
		.amdhsa_float_round_mode_32 0
		.amdhsa_float_round_mode_16_64 0
		.amdhsa_float_denorm_mode_32 3
		.amdhsa_float_denorm_mode_16_64 3
		.amdhsa_dx10_clamp 1
		.amdhsa_ieee_mode 1
		.amdhsa_fp16_overflow 0
		.amdhsa_workgroup_processor_mode 1
		.amdhsa_memory_ordered 1
		.amdhsa_forward_progress 0
		.amdhsa_shared_vgpr_count 0
		.amdhsa_exception_fp_ieee_invalid_op 0
		.amdhsa_exception_fp_denorm_src 0
		.amdhsa_exception_fp_ieee_div_zero 0
		.amdhsa_exception_fp_ieee_overflow 0
		.amdhsa_exception_fp_ieee_underflow 0
		.amdhsa_exception_fp_ieee_inexact 0
		.amdhsa_exception_int_div_zero 0
	.end_amdhsa_kernel
	.section	.text._ZN9rocsparseL26bsric0_2_8_unrolled_kernelILi16ELi32ELi4E21rocsparse_complex_numIdEEEv20rocsparse_direction_iiPKiS5_PT2_S5_PiS5_S8_21rocsparse_index_base_,"axG",@progbits,_ZN9rocsparseL26bsric0_2_8_unrolled_kernelILi16ELi32ELi4E21rocsparse_complex_numIdEEEv20rocsparse_direction_iiPKiS5_PT2_S5_PiS5_S8_21rocsparse_index_base_,comdat
.Lfunc_end62:
	.size	_ZN9rocsparseL26bsric0_2_8_unrolled_kernelILi16ELi32ELi4E21rocsparse_complex_numIdEEEv20rocsparse_direction_iiPKiS5_PT2_S5_PiS5_S8_21rocsparse_index_base_, .Lfunc_end62-_ZN9rocsparseL26bsric0_2_8_unrolled_kernelILi16ELi32ELi4E21rocsparse_complex_numIdEEEv20rocsparse_direction_iiPKiS5_PT2_S5_PiS5_S8_21rocsparse_index_base_
                                        ; -- End function
	.section	.AMDGPU.csdata,"",@progbits
; Kernel info:
; codeLenInByte = 10488
; NumSgprs: 39
; NumVgprs: 58
; ScratchSize: 0
; MemoryBound: 1
; FloatMode: 240
; IeeeMode: 1
; LDSByteSize: 1664 bytes/workgroup (compile time only)
; SGPRBlocks: 4
; VGPRBlocks: 7
; NumSGPRsForWavesPerEU: 39
; NumVGPRsForWavesPerEU: 58
; Occupancy: 16
; WaveLimiterHint : 1
; COMPUTE_PGM_RSRC2:SCRATCH_EN: 0
; COMPUTE_PGM_RSRC2:USER_SGPR: 15
; COMPUTE_PGM_RSRC2:TRAP_HANDLER: 0
; COMPUTE_PGM_RSRC2:TGID_X_EN: 1
; COMPUTE_PGM_RSRC2:TGID_Y_EN: 0
; COMPUTE_PGM_RSRC2:TGID_Z_EN: 0
; COMPUTE_PGM_RSRC2:TIDIG_COMP_CNT: 1
	.section	.text._ZN9rocsparseL26bsric0_2_8_unrolled_kernelILi25ELi32ELi5E21rocsparse_complex_numIdEEEv20rocsparse_direction_iiPKiS5_PT2_S5_PiS5_S8_21rocsparse_index_base_,"axG",@progbits,_ZN9rocsparseL26bsric0_2_8_unrolled_kernelILi25ELi32ELi5E21rocsparse_complex_numIdEEEv20rocsparse_direction_iiPKiS5_PT2_S5_PiS5_S8_21rocsparse_index_base_,comdat
	.globl	_ZN9rocsparseL26bsric0_2_8_unrolled_kernelILi25ELi32ELi5E21rocsparse_complex_numIdEEEv20rocsparse_direction_iiPKiS5_PT2_S5_PiS5_S8_21rocsparse_index_base_ ; -- Begin function _ZN9rocsparseL26bsric0_2_8_unrolled_kernelILi25ELi32ELi5E21rocsparse_complex_numIdEEEv20rocsparse_direction_iiPKiS5_PT2_S5_PiS5_S8_21rocsparse_index_base_
	.p2align	8
	.type	_ZN9rocsparseL26bsric0_2_8_unrolled_kernelILi25ELi32ELi5E21rocsparse_complex_numIdEEEv20rocsparse_direction_iiPKiS5_PT2_S5_PiS5_S8_21rocsparse_index_base_,@function
_ZN9rocsparseL26bsric0_2_8_unrolled_kernelILi25ELi32ELi5E21rocsparse_complex_numIdEEEv20rocsparse_direction_iiPKiS5_PT2_S5_PiS5_S8_21rocsparse_index_base_: ; @_ZN9rocsparseL26bsric0_2_8_unrolled_kernelILi25ELi32ELi5E21rocsparse_complex_numIdEEEv20rocsparse_direction_iiPKiS5_PT2_S5_PiS5_S8_21rocsparse_index_base_
; %bb.0:
	s_load_b256 s[4:11], s[0:1], 0x28
	s_mov_b32 s2, s15
	s_mov_b32 s3, 0
	v_and_b32_e32 v14, 0x3ff, v0
	s_lshl_b64 s[12:13], s[2:3], 2
	v_bfe_u32 v15, v0, 10, 10
	s_waitcnt lgkmcnt(0)
	s_add_u32 s8, s8, s12
	s_addc_u32 s9, s9, s13
	s_load_b32 s16, s[8:9], 0x0
	s_waitcnt lgkmcnt(0)
	s_ashr_i32 s17, s16, 31
	s_delay_alu instid0(SALU_CYCLE_1) | instskip(NEXT) | instid1(SALU_CYCLE_1)
	s_lshl_b64 s[8:9], s[16:17], 2
	s_add_u32 s12, s4, s8
	s_addc_u32 s13, s5, s9
	s_load_b32 s26, s[12:13], 0x0
	s_load_b32 s17, s[0:1], 0x48
	s_waitcnt lgkmcnt(0)
	s_cmp_lg_u32 s26, -1
	s_cbranch_scc0 .LBB63_57
; %bb.1:
	s_clause 0x1
	s_load_b128 s[12:15], s[0:1], 0x10
	s_load_b64 s[18:19], s[0:1], 0x20
	v_mad_u32_u24 v16, v15, 5, v14
	s_waitcnt lgkmcnt(0)
	s_add_u32 s2, s12, s8
	s_addc_u32 s3, s13, s9
	s_load_b32 s2, s[2:3], 0x0
	s_mov_b32 s3, exec_lo
	s_waitcnt lgkmcnt(0)
	s_sub_i32 s27, s2, s17
	s_delay_alu instid0(SALU_CYCLE_1) | instskip(NEXT) | instid1(VALU_DEP_1)
	v_add_nc_u32_e32 v0, s27, v16
	v_cmpx_ge_i32_e64 s26, v0
	s_cbranch_execz .LBB63_4
; %bb.2:
	v_ashrrev_i32_e32 v1, 31, v0
	v_lshl_add_u32 v3, v16, 2, 0x880
	s_mov_b32 s20, 0
	s_delay_alu instid0(VALU_DEP_2) | instskip(NEXT) | instid1(VALU_DEP_1)
	v_lshlrev_b64 v[1:2], 2, v[0:1]
	v_add_co_u32 v1, vcc_lo, s14, v1
	s_delay_alu instid0(VALU_DEP_2)
	v_add_co_ci_u32_e32 v2, vcc_lo, s15, v2, vcc_lo
	.p2align	6
.LBB63_3:                               ; =>This Inner Loop Header: Depth=1
	global_load_b32 v4, v[1:2], off
	v_add_nc_u32_e32 v0, 25, v0
	v_add_co_u32 v1, vcc_lo, 0x64, v1
	v_add_co_ci_u32_e32 v2, vcc_lo, 0, v2, vcc_lo
	s_delay_alu instid0(VALU_DEP_3) | instskip(NEXT) | instid1(VALU_DEP_1)
	v_cmp_lt_i32_e64 s2, s26, v0
	s_or_b32 s20, s2, s20
	s_waitcnt vmcnt(0)
	v_subrev_nc_u32_e32 v4, s17, v4
	ds_store_b32 v3, v4
	v_add_nc_u32_e32 v3, 0x64, v3
	s_and_not1_b32 exec_lo, exec_lo, s20
	s_cbranch_execnz .LBB63_3
.LBB63_4:
	s_or_b32 exec_lo, exec_lo, s3
	s_load_b32 s28, s[0:1], 0x0
	v_mov_b32_e32 v0, 0
	v_lshlrev_b32_e32 v4, 4, v14
	v_mul_u32_u24_e32 v20, 5, v15
	v_mad_u32_u24 v17, v14, 5, v15
	s_cmp_ge_i32 s27, s26
	v_mov_b32_e32 v1, v0
	v_mad_u32_u24 v19, 0x60, v15, v4
	v_mov_b32_e32 v2, v0
	s_delay_alu instid0(VALU_DEP_2)
	v_dual_mov_b32 v3, v0 :: v_dual_add_nc_u32 v18, 0x5a0, v19
	ds_store_b128 v19, v[0:3] offset:1440
	s_waitcnt lgkmcnt(0)
	buffer_gl0_inv
	s_cbranch_scc1 .LBB63_50
; %bb.5:
	s_movk_i32 s1, 0x3c0
	s_movk_i32 s0, 0x1e0
	v_mad_u32_u24 v1, v14, 5, v15
	v_mad_u32_u24 v21, 0x60, v15, s1
	;; [unrolled: 1-line block ×3, first 2 shown]
	v_or_b32_e32 v2, v14, v15
	s_cmp_eq_u32 s28, 0
	v_mul_u32_u24_e32 v23, 5, v14
	s_cselect_b32 vcc_lo, -1, 0
	v_add_nc_u32_e32 v24, v21, v4
	v_add_nc_u32_e32 v25, v22, v4
	v_cmp_ne_u32_e64 s0, 0, v2
	v_mad_u32_u24 v26, 0x60, v14, s1
	v_cndmask_b32_e32 v5, v1, v16, vcc_lo
	s_cmp_lg_u32 s28, 0
	s_mov_b32 s2, s27
	s_cselect_b32 s29, -1, 0
	s_branch .LBB63_9
.LBB63_6:                               ;   in Loop: Header=BB63_9 Depth=1
	s_or_b32 exec_lo, exec_lo, s20
	v_mov_b32_e32 v8, 0
	v_dual_mov_b32 v9, 0x3ff00000 :: v_dual_mov_b32 v10, 0
	v_mov_b32_e32 v11, 0
.LBB63_7:                               ;   in Loop: Header=BB63_9 Depth=1
	s_or_b32 exec_lo, exec_lo, s1
	s_delay_alu instid0(VALU_DEP_1)
	v_mul_f64 v[12:13], v[10:11], v[10:11]
	ds_load_b128 v[27:30], v0 offset:384
	ds_load_b128 v[31:34], v22 offset:64
	ds_load_b128 v[35:38], v21
	ds_load_b128 v[39:42], v21 offset:16
	s_add_i32 s2, s2, 1
	s_delay_alu instid0(SALU_CYCLE_1)
	s_cmp_ge_i32 s2, s26
	s_cselect_b32 s23, -1, 0
	s_waitcnt lgkmcnt(1)
	v_fma_f64 v[33:34], v[29:30], v[35:36], v[33:34]
	v_fma_f64 v[31:32], v[27:28], v[35:36], v[31:32]
	;; [unrolled: 1-line block ×3, first 2 shown]
	s_delay_alu instid0(VALU_DEP_3) | instskip(NEXT) | instid1(VALU_DEP_3)
	v_fma_f64 v[35:36], v[27:28], -v[37:38], v[33:34]
	v_fma_f64 v[37:38], v[29:30], v[37:38], v[31:32]
	ds_load_b128 v[27:30], v0 offset:400
	ds_load_b128 v[31:34], v0 offset:416
	v_div_scale_f64 v[43:44], null, v[12:13], v[12:13], 1.0
	s_waitcnt lgkmcnt(1)
	v_fma_f64 v[35:36], v[29:30], v[39:40], v[35:36]
	v_fma_f64 v[37:38], v[27:28], v[39:40], v[37:38]
	s_delay_alu instid0(VALU_DEP_3) | instskip(NEXT) | instid1(VALU_DEP_2)
	v_rcp_f64_e32 v[45:46], v[43:44]
	v_fma_f64 v[39:40], v[27:28], -v[41:42], v[35:36]
	s_delay_alu instid0(VALU_DEP_2)
	v_fma_f64 v[41:42], v[29:30], v[41:42], v[37:38]
	ds_load_b128 v[27:30], v21 offset:32
	ds_load_b128 v[35:38], v21 offset:48
	v_fma_f64 v[47:48], -v[43:44], v[45:46], 1.0
	s_waitcnt lgkmcnt(1)
	v_fma_f64 v[39:40], v[33:34], v[27:28], v[39:40]
	v_fma_f64 v[27:28], v[31:32], v[27:28], v[41:42]
	v_div_scale_f64 v[41:42], vcc_lo, 1.0, v[12:13], 1.0
	s_delay_alu instid0(VALU_DEP_4) | instskip(NEXT) | instid1(VALU_DEP_4)
	v_fma_f64 v[45:46], v[45:46], v[47:48], v[45:46]
	v_fma_f64 v[31:32], v[31:32], -v[29:30], v[39:40]
	s_delay_alu instid0(VALU_DEP_4)
	v_fma_f64 v[33:34], v[33:34], v[29:30], v[27:28]
	ds_load_b128 v[27:30], v0 offset:432
	v_fma_f64 v[39:40], -v[43:44], v[45:46], 1.0
	s_waitcnt lgkmcnt(0)
	v_fma_f64 v[31:32], v[29:30], v[35:36], v[31:32]
	v_fma_f64 v[33:34], v[27:28], v[35:36], v[33:34]
	s_delay_alu instid0(VALU_DEP_3) | instskip(NEXT) | instid1(VALU_DEP_3)
	v_fma_f64 v[39:40], v[45:46], v[39:40], v[45:46]
	v_fma_f64 v[27:28], v[27:28], -v[37:38], v[31:32]
	s_delay_alu instid0(VALU_DEP_3) | instskip(NEXT) | instid1(VALU_DEP_3)
	v_fma_f64 v[29:30], v[29:30], v[37:38], v[33:34]
	v_mul_f64 v[31:32], v[41:42], v[39:40]
	s_delay_alu instid0(VALU_DEP_3) | instskip(NEXT) | instid1(VALU_DEP_3)
	v_add_f64 v[3:4], v[3:4], -v[27:28]
	v_add_f64 v[1:2], v[1:2], -v[29:30]
	s_delay_alu instid0(VALU_DEP_3) | instskip(NEXT) | instid1(VALU_DEP_3)
	v_fma_f64 v[27:28], -v[43:44], v[31:32], v[41:42]
	v_mul_f64 v[29:30], v[10:11], v[3:4]
	s_delay_alu instid0(VALU_DEP_3) | instskip(NEXT) | instid1(VALU_DEP_3)
	v_mul_f64 v[10:11], v[10:11], -v[1:2]
	v_div_fmas_f64 v[27:28], v[27:28], v[39:40], v[31:32]
	s_delay_alu instid0(VALU_DEP_3) | instskip(NEXT) | instid1(VALU_DEP_3)
	v_fma_f64 v[1:2], v[1:2], v[8:9], v[29:30]
	v_fma_f64 v[3:4], v[3:4], v[8:9], v[10:11]
	s_delay_alu instid0(VALU_DEP_3) | instskip(NEXT) | instid1(VALU_DEP_1)
	v_div_fixup_f64 v[12:13], v[27:28], v[12:13], 1.0
	v_mul_f64 v[1:2], v[12:13], v[1:2]
	s_delay_alu instid0(VALU_DEP_3)
	v_mul_f64 v[3:4], v[12:13], v[3:4]
	ds_store_b128 v21, v[1:4] offset:64
	s_waitcnt lgkmcnt(0)
	s_waitcnt_vscnt null, 0x0
	buffer_gl0_inv
	ds_load_b128 v[8:11], v26 offset:64
	ds_load_b128 v[27:30], v18
	s_waitcnt lgkmcnt(0)
	v_fma_f64 v[12:13], v[1:2], v[8:9], v[27:28]
	v_fma_f64 v[27:28], v[3:4], v[8:9], v[29:30]
	s_delay_alu instid0(VALU_DEP_2) | instskip(NEXT) | instid1(VALU_DEP_2)
	v_fma_f64 v[8:9], v[3:4], v[10:11], v[12:13]
	v_fma_f64 v[10:11], v[1:2], -v[10:11], v[27:28]
	ds_store_b128 v18, v[8:11]
	s_waitcnt lgkmcnt(0)
	buffer_gl0_inv
	ds_load_2addr_b64 v[1:4], v24 offset1:1
	s_waitcnt lgkmcnt(0)
	global_store_b128 v[6:7], v[1:4], off
	s_waitcnt_vscnt null, 0x0
	buffer_gl1_inv
	buffer_gl0_inv
.LBB63_8:                               ;   in Loop: Header=BB63_9 Depth=1
	s_and_b32 vcc_lo, exec_lo, s23
	s_cbranch_vccnz .LBB63_50
.LBB63_9:                               ; =>This Loop Header: Depth=1
                                        ;     Child Loop BB63_12 Depth 2
                                        ;     Child Loop BB63_23 Depth 2
	s_ashr_i32 s3, s2, 31
	s_delay_alu instid0(SALU_CYCLE_1) | instskip(NEXT) | instid1(SALU_CYCLE_1)
	s_lshl_b64 s[20:21], s[2:3], 2
	s_add_u32 s20, s14, s20
	s_addc_u32 s21, s15, s21
	s_load_b32 s3, s[20:21], 0x0
	s_waitcnt lgkmcnt(0)
	s_sub_i32 s22, s3, s17
	s_delay_alu instid0(SALU_CYCLE_1) | instskip(NEXT) | instid1(SALU_CYCLE_1)
	s_ashr_i32 s23, s22, 31
	s_lshl_b64 s[20:21], s[22:23], 2
	s_mov_b32 s23, -1
	s_add_u32 s24, s4, s20
	s_addc_u32 s25, s5, s21
	s_load_b32 s1, s[24:25], 0x0
	s_waitcnt lgkmcnt(0)
	s_cmp_eq_u32 s1, -1
	s_cbranch_scc1 .LBB63_8
; %bb.10:                               ;   in Loop: Header=BB63_9 Depth=1
	v_mad_u64_u32 v[1:2], null, s2, 25, v[5:6]
	s_add_u32 s24, s12, s20
	s_addc_u32 s25, s13, s21
	ds_load_b32 v8, v0 offset:2176
	s_load_b32 s23, s[24:25], 0x0
	v_ashrrev_i32_e32 v2, 31, v1
	s_delay_alu instid0(VALU_DEP_1) | instskip(NEXT) | instid1(VALU_DEP_1)
	v_lshlrev_b64 v[1:2], 4, v[1:2]
	v_add_co_u32 v6, vcc_lo, s18, v1
	s_delay_alu instid0(VALU_DEP_2)
	v_add_co_ci_u32_e32 v7, vcc_lo, s19, v2, vcc_lo
	s_waitcnt lgkmcnt(0)
	v_cmp_ge_i32_e32 vcc_lo, s22, v8
	s_sub_i32 s24, s23, s17
	global_load_b128 v[1:4], v[6:7], off
	s_cmp_le_i32 s24, s1
	s_cselect_b32 s23, -1, 0
	s_delay_alu instid0(SALU_CYCLE_1) | instskip(NEXT) | instid1(SALU_CYCLE_1)
	s_and_b32 s23, s23, vcc_lo
	s_and_not1_b32 vcc_lo, exec_lo, s23
	s_mov_b32 s23, 0
	s_waitcnt vmcnt(0)
	ds_store_2addr_b64 v24, v[1:2], v[3:4] offset1:1
	s_cbranch_vccnz .LBB63_22
; %bb.11:                               ;   in Loop: Header=BB63_9 Depth=1
	s_mov_b32 s30, 0
	s_mov_b32 s31, 0
.LBB63_12:                              ;   Parent Loop BB63_9 Depth=1
                                        ; =>  This Inner Loop Header: Depth=2
	s_ashr_i32 s25, s24, 31
                                        ; implicit-def: $sgpr33
	s_delay_alu instid0(SALU_CYCLE_1) | instskip(NEXT) | instid1(SALU_CYCLE_1)
	s_lshl_b64 s[34:35], s[24:25], 2
	s_add_u32 s34, s14, s34
	s_addc_u32 s35, s15, s35
	s_lshl_b32 s23, s31, 2
	s_delay_alu instid0(SALU_CYCLE_1)
	v_mov_b32_e32 v1, s23
	s_load_b32 s23, s[34:35], 0x0
	s_mov_b32 s35, -1
                                        ; implicit-def: $sgpr34
	ds_load_b32 v1, v1 offset:2176
	s_waitcnt lgkmcnt(0)
	s_sub_i32 s36, s23, s17
                                        ; implicit-def: $sgpr23
	s_delay_alu instid0(SALU_CYCLE_1)
	v_cmp_ge_i32_e32 vcc_lo, s36, v1
	v_readfirstlane_b32 s25, v1
	s_cbranch_vccz .LBB63_18
; %bb.13:                               ;   in Loop: Header=BB63_12 Depth=2
	s_delay_alu instid0(VALU_DEP_1)
	s_cmp_le_i32 s36, s25
                                        ; implicit-def: $sgpr23
                                        ; implicit-def: $sgpr34
                                        ; implicit-def: $sgpr33
	s_cbranch_scc0 .LBB63_15
; %bb.14:                               ;   in Loop: Header=BB63_12 Depth=2
	s_add_i32 s23, s31, s27
	s_lshl_b32 s33, s30, 2
	s_mul_i32 s23, s23, 25
	s_mul_i32 s34, s24, 25
	s_delay_alu instid0(SALU_CYCLE_1)
	v_dual_mov_b32 v1, s23 :: v_dual_mov_b32 v2, s34
	v_add_nc_u32_e64 v3, 0x600, s33
	s_add_i32 s33, s31, 1
	s_add_i32 s34, s24, 1
	;; [unrolled: 1-line block ×3, first 2 shown]
	s_mov_b32 s35, 0
	ds_store_2addr_b32 v3, v2, v1 offset0:96 offset1:128
.LBB63_15:                              ;   in Loop: Header=BB63_12 Depth=2
	s_and_not1_b32 vcc_lo, exec_lo, s35
	s_cbranch_vccnz .LBB63_17
; %bb.16:                               ;   in Loop: Header=BB63_12 Depth=2
	s_add_i32 s33, s31, 1
	s_mov_b32 s23, s30
	s_mov_b32 s34, s24
.LBB63_17:                              ;   in Loop: Header=BB63_12 Depth=2
	s_mov_b32 s35, 0
.LBB63_18:                              ;   in Loop: Header=BB63_12 Depth=2
	s_delay_alu instid0(SALU_CYCLE_1)
	s_and_not1_b32 vcc_lo, exec_lo, s35
	s_cbranch_vccnz .LBB63_20
; %bb.19:                               ;   in Loop: Header=BB63_12 Depth=2
	s_add_i32 s34, s24, 1
	s_mov_b32 s33, s31
	s_mov_b32 s23, s30
.LBB63_20:                              ;   in Loop: Header=BB63_12 Depth=2
	s_cmp_le_i32 s34, s1
	s_cselect_b32 s24, -1, 0
	s_cmp_le_i32 s25, s22
	s_cselect_b32 s25, -1, 0
	s_delay_alu instid0(SALU_CYCLE_1) | instskip(NEXT) | instid1(SALU_CYCLE_1)
	s_and_b32 s24, s24, s25
	s_and_b32 vcc_lo, exec_lo, s24
	s_cbranch_vccz .LBB63_22
; %bb.21:                               ;   in Loop: Header=BB63_12 Depth=2
	s_mov_b32 s30, s23
	s_mov_b32 s24, s34
	;; [unrolled: 1-line block ×3, first 2 shown]
	s_branch .LBB63_12
.LBB63_22:                              ;   in Loop: Header=BB63_9 Depth=1
	s_add_u32 s20, s6, s20
	s_addc_u32 s21, s7, s21
	s_waitcnt lgkmcnt(0)
	buffer_gl0_inv
.LBB63_23:                              ;   Parent Loop BB63_9 Depth=1
                                        ; =>  This Inner Loop Header: Depth=2
	global_load_b32 v1, v0, s[20:21] glc
	s_waitcnt vmcnt(0)
	v_cmp_eq_u32_e32 vcc_lo, 0, v1
	s_cbranch_vccnz .LBB63_23
; %bb.24:                               ;   in Loop: Header=BB63_9 Depth=1
	v_mad_u64_u32 v[1:2], null, s1, 25, v[5:6]
	buffer_gl1_inv
	buffer_gl0_inv
	v_mov_b32_e32 v3, 0
	v_mov_b32_e32 v4, 0
	s_cmp_lt_i32 s23, 2
	v_ashrrev_i32_e32 v2, 31, v1
	s_delay_alu instid0(VALU_DEP_1) | instskip(NEXT) | instid1(VALU_DEP_1)
	v_lshlrev_b64 v[1:2], 4, v[1:2]
	v_add_co_u32 v1, vcc_lo, s18, v1
	s_delay_alu instid0(VALU_DEP_2)
	v_add_co_ci_u32_e32 v2, vcc_lo, s19, v2, vcc_lo
	global_load_b128 v[8:11], v[1:2], off
	v_dual_mov_b32 v1, v3 :: v_dual_mov_b32 v2, v4
	s_waitcnt vmcnt(0)
	ds_store_2addr_b64 v19, v[8:9], v[10:11] offset1:1
	s_waitcnt lgkmcnt(0)
	buffer_gl0_inv
	s_cbranch_scc1 .LBB63_31
; %bb.25:                               ;   in Loop: Header=BB63_9 Depth=1
	v_mov_b32_e32 v8, 0
	v_mov_b32_e32 v9, 0
	s_add_i32 s1, s23, -1
	s_movk_i32 s20, 0x780
	s_delay_alu instid0(VALU_DEP_1)
	v_dual_mov_b32 v11, v9 :: v_dual_mov_b32 v10, v8
	v_mov_b32_e32 v1, s20
	s_and_b32 vcc_lo, exec_lo, s29
	ds_load_2addr_b32 v[12:13], v1 offset1:32
	s_cbranch_vccz .LBB63_27
.LBB63_26:                              ;   in Loop: Header=BB63_9 Depth=1
	s_waitcnt lgkmcnt(0)
	v_add_nc_u32_e32 v55, v12, v14
	v_add_nc_u32_e32 v57, v13, v15
	s_delay_alu instid0(VALU_DEP_2) | instskip(NEXT) | instid1(VALU_DEP_2)
	v_ashrrev_i32_e32 v56, 31, v55
	v_ashrrev_i32_e32 v58, 31, v57
	v_add_nc_u32_e32 v31, 5, v55
	v_add_nc_u32_e32 v33, 5, v57
	;; [unrolled: 1-line block ×3, first 2 shown]
	v_lshlrev_b64 v[1:2], 4, v[55:56]
	v_lshlrev_b64 v[3:4], 4, v[57:58]
	v_ashrrev_i32_e32 v32, 31, v31
	v_ashrrev_i32_e32 v34, 31, v33
	v_add_nc_u32_e32 v41, 10, v57
	v_ashrrev_i32_e32 v40, 31, v39
	v_add_co_u32 v1, vcc_lo, s18, v1
	v_add_co_ci_u32_e32 v2, vcc_lo, s19, v2, vcc_lo
	v_add_co_u32 v27, vcc_lo, s18, v3
	v_add_co_ci_u32_e32 v28, vcc_lo, s19, v4, vcc_lo
	v_lshlrev_b64 v[31:32], 4, v[31:32]
	s_clause 0x1
	global_load_b128 v[1:4], v[1:2], off
	global_load_b128 v[27:30], v[27:28], off
	v_lshlrev_b64 v[33:34], 4, v[33:34]
	v_ashrrev_i32_e32 v42, 31, v41
	v_lshlrev_b64 v[39:40], 4, v[39:40]
	v_add_co_u32 v31, vcc_lo, s18, v31
	v_add_co_ci_u32_e32 v32, vcc_lo, s19, v32, vcc_lo
	v_add_co_u32 v35, vcc_lo, s18, v33
	v_add_co_ci_u32_e32 v36, vcc_lo, s19, v34, vcc_lo
	s_clause 0x1
	global_load_b128 v[31:34], v[31:32], off
	global_load_b128 v[35:38], v[35:36], off
	v_lshlrev_b64 v[41:42], 4, v[41:42]
	v_add_co_u32 v39, vcc_lo, s18, v39
	v_add_co_ci_u32_e32 v40, vcc_lo, s19, v40, vcc_lo
	v_add_nc_u32_e32 v47, 15, v55
	s_delay_alu instid0(VALU_DEP_4)
	v_add_co_u32 v43, vcc_lo, s18, v41
	v_add_co_ci_u32_e32 v44, vcc_lo, s19, v42, vcc_lo
	s_clause 0x1
	global_load_b128 v[39:42], v[39:40], off
	global_load_b128 v[43:46], v[43:44], off
	v_add_nc_u32_e32 v49, 15, v57
	v_ashrrev_i32_e32 v48, 31, v47
	v_add_nc_u32_e32 v55, 20, v55
	v_add_nc_u32_e32 v57, 20, v57
	s_delay_alu instid0(VALU_DEP_4) | instskip(NEXT) | instid1(VALU_DEP_4)
	v_ashrrev_i32_e32 v50, 31, v49
	v_lshlrev_b64 v[47:48], 4, v[47:48]
	s_delay_alu instid0(VALU_DEP_4) | instskip(NEXT) | instid1(VALU_DEP_4)
	v_ashrrev_i32_e32 v56, 31, v55
	v_ashrrev_i32_e32 v58, 31, v57
	s_delay_alu instid0(VALU_DEP_4) | instskip(NEXT) | instid1(VALU_DEP_4)
	v_lshlrev_b64 v[49:50], 4, v[49:50]
	v_add_co_u32 v47, vcc_lo, s18, v47
	v_add_co_ci_u32_e32 v48, vcc_lo, s19, v48, vcc_lo
	s_delay_alu instid0(VALU_DEP_3) | instskip(NEXT) | instid1(VALU_DEP_4)
	v_add_co_u32 v51, vcc_lo, s18, v49
	v_add_co_ci_u32_e32 v52, vcc_lo, s19, v50, vcc_lo
	s_clause 0x1
	global_load_b128 v[47:50], v[47:48], off
	global_load_b128 v[51:54], v[51:52], off
	v_lshlrev_b64 v[55:56], 4, v[55:56]
	v_lshlrev_b64 v[57:58], 4, v[57:58]
	s_delay_alu instid0(VALU_DEP_2) | instskip(NEXT) | instid1(VALU_DEP_3)
	v_add_co_u32 v55, vcc_lo, s18, v55
	v_add_co_ci_u32_e32 v56, vcc_lo, s19, v56, vcc_lo
	s_delay_alu instid0(VALU_DEP_3) | instskip(NEXT) | instid1(VALU_DEP_4)
	v_add_co_u32 v59, vcc_lo, s18, v57
	v_add_co_ci_u32_e32 v60, vcc_lo, s19, v58, vcc_lo
	s_clause 0x1
	global_load_b128 v[55:58], v[55:56], off
	global_load_b128 v[59:62], v[59:60], off
	s_waitcnt vmcnt(8)
	v_fma_f64 v[63:64], v[1:2], v[27:28], v[10:11]
	v_fma_f64 v[27:28], v[3:4], v[27:28], v[8:9]
	s_delay_alu instid0(VALU_DEP_2) | instskip(NEXT) | instid1(VALU_DEP_2)
	v_fma_f64 v[3:4], v[3:4], v[29:30], v[63:64]
	v_fma_f64 v[1:2], v[1:2], -v[29:30], v[27:28]
	s_waitcnt vmcnt(6)
	s_delay_alu instid0(VALU_DEP_2) | instskip(NEXT) | instid1(VALU_DEP_2)
	v_fma_f64 v[3:4], v[31:32], v[35:36], v[3:4]
	v_fma_f64 v[1:2], v[33:34], v[35:36], v[1:2]
	s_delay_alu instid0(VALU_DEP_2) | instskip(NEXT) | instid1(VALU_DEP_2)
	v_fma_f64 v[3:4], v[33:34], v[37:38], v[3:4]
	v_fma_f64 v[1:2], v[31:32], -v[37:38], v[1:2]
	s_waitcnt vmcnt(4)
	s_delay_alu instid0(VALU_DEP_2) | instskip(NEXT) | instid1(VALU_DEP_2)
	;; [unrolled: 7-line block ×4, first 2 shown]
	v_fma_f64 v[3:4], v[55:56], v[59:60], v[3:4]
	v_fma_f64 v[27:28], v[57:58], v[59:60], v[1:2]
	s_delay_alu instid0(VALU_DEP_2) | instskip(NEXT) | instid1(VALU_DEP_2)
	v_fma_f64 v[1:2], v[57:58], v[61:62], v[3:4]
	v_fma_f64 v[3:4], v[55:56], -v[61:62], v[27:28]
	s_cbranch_execz .LBB63_28
	s_branch .LBB63_29
.LBB63_27:                              ;   in Loop: Header=BB63_9 Depth=1
                                        ; implicit-def: $vgpr3_vgpr4
.LBB63_28:                              ;   in Loop: Header=BB63_9 Depth=1
	s_waitcnt lgkmcnt(0)
	v_add_nc_u32_e32 v1, v12, v23
	v_add_nc_u32_e32 v3, v13, v20
	s_delay_alu instid0(VALU_DEP_2) | instskip(NEXT) | instid1(VALU_DEP_2)
	v_ashrrev_i32_e32 v2, 31, v1
	v_ashrrev_i32_e32 v4, 31, v3
	s_delay_alu instid0(VALU_DEP_2) | instskip(NEXT) | instid1(VALU_DEP_2)
	v_lshlrev_b64 v[1:2], 4, v[1:2]
	v_lshlrev_b64 v[3:4], 4, v[3:4]
	s_delay_alu instid0(VALU_DEP_2) | instskip(NEXT) | instid1(VALU_DEP_3)
	v_add_co_u32 v12, vcc_lo, s18, v1
	v_add_co_ci_u32_e32 v13, vcc_lo, s19, v2, vcc_lo
	s_delay_alu instid0(VALU_DEP_3) | instskip(NEXT) | instid1(VALU_DEP_4)
	v_add_co_u32 v59, vcc_lo, s18, v3
	v_add_co_ci_u32_e32 v60, vcc_lo, s19, v4, vcc_lo
	s_clause 0x9
	global_load_b128 v[1:4], v[12:13], off
	global_load_b128 v[27:30], v[59:60], off
	global_load_b128 v[31:34], v[12:13], off offset:16
	global_load_b128 v[35:38], v[59:60], off offset:16
	;; [unrolled: 1-line block ×8, first 2 shown]
	s_waitcnt vmcnt(8)
	v_fma_f64 v[10:11], v[1:2], v[27:28], v[10:11]
	v_fma_f64 v[8:9], v[3:4], v[27:28], v[8:9]
	s_delay_alu instid0(VALU_DEP_2) | instskip(NEXT) | instid1(VALU_DEP_2)
	v_fma_f64 v[3:4], v[3:4], v[29:30], v[10:11]
	v_fma_f64 v[1:2], v[1:2], -v[29:30], v[8:9]
	s_waitcnt vmcnt(6)
	s_delay_alu instid0(VALU_DEP_2) | instskip(NEXT) | instid1(VALU_DEP_2)
	v_fma_f64 v[3:4], v[31:32], v[35:36], v[3:4]
	v_fma_f64 v[1:2], v[33:34], v[35:36], v[1:2]
	s_delay_alu instid0(VALU_DEP_2) | instskip(NEXT) | instid1(VALU_DEP_2)
	v_fma_f64 v[3:4], v[33:34], v[37:38], v[3:4]
	v_fma_f64 v[1:2], v[31:32], -v[37:38], v[1:2]
	s_waitcnt vmcnt(4)
	s_delay_alu instid0(VALU_DEP_2) | instskip(NEXT) | instid1(VALU_DEP_2)
	;; [unrolled: 7-line block ×4, first 2 shown]
	v_fma_f64 v[3:4], v[55:56], v[59:60], v[3:4]
	v_fma_f64 v[8:9], v[57:58], v[59:60], v[1:2]
	s_delay_alu instid0(VALU_DEP_2) | instskip(NEXT) | instid1(VALU_DEP_2)
	v_fma_f64 v[1:2], v[57:58], v[61:62], v[3:4]
	v_fma_f64 v[3:4], v[55:56], -v[61:62], v[8:9]
.LBB63_29:                              ;   in Loop: Header=BB63_9 Depth=1
	s_add_i32 s1, s1, -1
	s_add_i32 s20, s20, 4
	s_cmp_eq_u32 s1, 0
	s_cbranch_scc1 .LBB63_31
; %bb.30:                               ;   in Loop: Header=BB63_9 Depth=1
	s_delay_alu instid0(VALU_DEP_1) | instskip(NEXT) | instid1(VALU_DEP_3)
	v_dual_mov_b32 v9, v4 :: v_dual_mov_b32 v8, v3
	v_dual_mov_b32 v11, v2 :: v_dual_mov_b32 v10, v1
	v_mov_b32_e32 v1, s20
	s_and_b32 vcc_lo, exec_lo, s29
	s_waitcnt lgkmcnt(0)
	ds_load_2addr_b32 v[12:13], v1 offset1:32
	s_cbranch_vccz .LBB63_27
	s_branch .LBB63_26
.LBB63_31:                              ;   in Loop: Header=BB63_9 Depth=1
	ds_store_b128 v25, v[1:4]
	s_waitcnt lgkmcnt(0)
	buffer_gl0_inv
	ds_load_b128 v[8:11], v0
	ds_load_b128 v[1:4], v21
	s_waitcnt lgkmcnt(1)
	v_cmp_neq_f64_e32 vcc_lo, 0, v[8:9]
	v_cmp_neq_f64_e64 s1, 0, v[10:11]
	s_delay_alu instid0(VALU_DEP_1) | instskip(SKIP_4) | instid1(SALU_CYCLE_1)
	s_or_b32 vcc_lo, vcc_lo, s1
	v_cndmask_b32_e32 v9, 0x3ff00000, v9, vcc_lo
	v_dual_cndmask_b32 v8, 0, v8 :: v_dual_cndmask_b32 v11, 0, v11
	v_cndmask_b32_e32 v10, 0, v10, vcc_lo
	s_or_b32 s1, vcc_lo, s0
	s_xor_b32 s20, s1, -1
	s_delay_alu instid0(SALU_CYCLE_1)
	s_and_saveexec_b32 s1, s20
	s_cbranch_execz .LBB63_35
; %bb.32:                               ;   in Loop: Header=BB63_9 Depth=1
	v_mbcnt_lo_u32_b32 v8, exec_lo, 0
	s_mov_b32 s20, exec_lo
	s_delay_alu instid0(VALU_DEP_1)
	v_cmpx_eq_u32_e32 0, v8
	s_cbranch_execz .LBB63_34
; %bb.33:                               ;   in Loop: Header=BB63_9 Depth=1
	v_mov_b32_e32 v8, s3
	global_atomic_min_i32 v0, v8, s[10:11]
.LBB63_34:                              ;   in Loop: Header=BB63_9 Depth=1
	s_or_b32 exec_lo, exec_lo, s20
	v_mov_b32_e32 v8, 0
	v_dual_mov_b32 v9, 0x3ff00000 :: v_dual_mov_b32 v10, 0
	v_mov_b32_e32 v11, 0
.LBB63_35:                              ;   in Loop: Header=BB63_9 Depth=1
	s_or_b32 exec_lo, exec_lo, s1
	s_delay_alu instid0(VALU_DEP_1) | instskip(NEXT) | instid1(VALU_DEP_1)
	v_mul_f64 v[12:13], v[10:11], v[10:11]
	v_fma_f64 v[12:13], v[8:9], v[8:9], v[12:13]
	s_delay_alu instid0(VALU_DEP_1) | instskip(SKIP_1) | instid1(VALU_DEP_2)
	v_div_scale_f64 v[31:32], null, v[12:13], v[12:13], 1.0
	v_div_scale_f64 v[33:34], vcc_lo, 1.0, v[12:13], 1.0
	v_rcp_f64_e32 v[27:28], v[31:32]
	s_waitcnt_depctr 0xfff
	v_fma_f64 v[29:30], -v[31:32], v[27:28], 1.0
	s_delay_alu instid0(VALU_DEP_1) | instskip(NEXT) | instid1(VALU_DEP_1)
	v_fma_f64 v[27:28], v[27:28], v[29:30], v[27:28]
	v_fma_f64 v[29:30], -v[31:32], v[27:28], 1.0
	s_delay_alu instid0(VALU_DEP_1)
	v_fma_f64 v[35:36], v[27:28], v[29:30], v[27:28]
	ds_load_b128 v[27:30], v22
	s_waitcnt lgkmcnt(0)
	v_add_f64 v[3:4], v[3:4], -v[29:30]
	v_add_f64 v[1:2], v[1:2], -v[27:28]
	v_mul_f64 v[37:38], v[33:34], v[35:36]
	s_delay_alu instid0(VALU_DEP_3) | instskip(NEXT) | instid1(VALU_DEP_3)
	v_mul_f64 v[27:28], v[10:11], v[3:4]
	v_mul_f64 v[10:11], v[10:11], -v[1:2]
	s_delay_alu instid0(VALU_DEP_3) | instskip(NEXT) | instid1(VALU_DEP_3)
	v_fma_f64 v[29:30], -v[31:32], v[37:38], v[33:34]
	v_fma_f64 v[1:2], v[1:2], v[8:9], v[27:28]
	s_delay_alu instid0(VALU_DEP_3) | instskip(NEXT) | instid1(VALU_DEP_3)
	v_fma_f64 v[3:4], v[3:4], v[8:9], v[10:11]
	v_div_fmas_f64 v[29:30], v[29:30], v[35:36], v[37:38]
	s_delay_alu instid0(VALU_DEP_1) | instskip(NEXT) | instid1(VALU_DEP_1)
	v_div_fixup_f64 v[12:13], v[29:30], v[12:13], 1.0
	v_mul_f64 v[1:2], v[12:13], v[1:2]
	s_delay_alu instid0(VALU_DEP_4)
	v_mul_f64 v[3:4], v[12:13], v[3:4]
	ds_store_b128 v21, v[1:4]
	s_waitcnt lgkmcnt(0)
	s_waitcnt_vscnt null, 0x0
	buffer_gl0_inv
	ds_load_b128 v[8:11], v26
	ds_load_b128 v[27:30], v18
	s_waitcnt lgkmcnt(0)
	v_fma_f64 v[12:13], v[1:2], v[8:9], v[27:28]
	v_fma_f64 v[27:28], v[3:4], v[8:9], v[29:30]
	s_delay_alu instid0(VALU_DEP_2) | instskip(NEXT) | instid1(VALU_DEP_2)
	v_fma_f64 v[8:9], v[3:4], v[10:11], v[12:13]
	v_fma_f64 v[10:11], v[1:2], -v[10:11], v[27:28]
	ds_store_b128 v18, v[8:11]
	s_waitcnt lgkmcnt(0)
	buffer_gl0_inv
	ds_load_b128 v[8:11], v0 offset:112
	ds_load_b128 v[1:4], v21 offset:16
	s_waitcnt lgkmcnt(1)
	v_cmp_neq_f64_e32 vcc_lo, 0, v[8:9]
	v_cmp_neq_f64_e64 s1, 0, v[10:11]
	s_delay_alu instid0(VALU_DEP_1) | instskip(SKIP_4) | instid1(SALU_CYCLE_1)
	s_or_b32 vcc_lo, vcc_lo, s1
	v_cndmask_b32_e32 v9, 0x3ff00000, v9, vcc_lo
	v_dual_cndmask_b32 v8, 0, v8 :: v_dual_cndmask_b32 v11, 0, v11
	v_cndmask_b32_e32 v10, 0, v10, vcc_lo
	s_or_b32 s1, vcc_lo, s0
	s_xor_b32 s20, s1, -1
	s_delay_alu instid0(SALU_CYCLE_1)
	s_and_saveexec_b32 s1, s20
	s_cbranch_execz .LBB63_39
; %bb.36:                               ;   in Loop: Header=BB63_9 Depth=1
	v_mbcnt_lo_u32_b32 v8, exec_lo, 0
	s_mov_b32 s20, exec_lo
	s_delay_alu instid0(VALU_DEP_1)
	v_cmpx_eq_u32_e32 0, v8
	s_cbranch_execz .LBB63_38
; %bb.37:                               ;   in Loop: Header=BB63_9 Depth=1
	v_mov_b32_e32 v8, s3
	global_atomic_min_i32 v0, v8, s[10:11]
.LBB63_38:                              ;   in Loop: Header=BB63_9 Depth=1
	s_or_b32 exec_lo, exec_lo, s20
	v_mov_b32_e32 v8, 0
	v_dual_mov_b32 v9, 0x3ff00000 :: v_dual_mov_b32 v10, 0
	v_mov_b32_e32 v11, 0
.LBB63_39:                              ;   in Loop: Header=BB63_9 Depth=1
	s_or_b32 exec_lo, exec_lo, s1
	s_delay_alu instid0(VALU_DEP_1) | instskip(NEXT) | instid1(VALU_DEP_1)
	v_mul_f64 v[12:13], v[10:11], v[10:11]
	v_fma_f64 v[12:13], v[8:9], v[8:9], v[12:13]
	s_delay_alu instid0(VALU_DEP_1) | instskip(SKIP_1) | instid1(VALU_DEP_2)
	v_div_scale_f64 v[39:40], null, v[12:13], v[12:13], 1.0
	v_div_scale_f64 v[45:46], vcc_lo, 1.0, v[12:13], 1.0
	v_rcp_f64_e32 v[27:28], v[39:40]
	s_waitcnt_depctr 0xfff
	v_fma_f64 v[29:30], -v[39:40], v[27:28], 1.0
	s_delay_alu instid0(VALU_DEP_1)
	v_fma_f64 v[41:42], v[27:28], v[29:30], v[27:28]
	ds_load_b128 v[27:30], v0 offset:96
	ds_load_b128 v[31:34], v21
	ds_load_b128 v[35:38], v22 offset:16
	s_waitcnt lgkmcnt(0)
	v_fma_f64 v[37:38], v[29:30], v[31:32], v[37:38]
	v_fma_f64 v[31:32], v[27:28], v[31:32], v[35:36]
	v_fma_f64 v[43:44], -v[39:40], v[41:42], 1.0
	s_delay_alu instid0(VALU_DEP_3) | instskip(NEXT) | instid1(VALU_DEP_3)
	v_fma_f64 v[27:28], v[27:28], -v[33:34], v[37:38]
	v_fma_f64 v[29:30], v[29:30], v[33:34], v[31:32]
	s_delay_alu instid0(VALU_DEP_3) | instskip(NEXT) | instid1(VALU_DEP_3)
	v_fma_f64 v[41:42], v[41:42], v[43:44], v[41:42]
	v_add_f64 v[3:4], v[3:4], -v[27:28]
	s_delay_alu instid0(VALU_DEP_3) | instskip(NEXT) | instid1(VALU_DEP_3)
	v_add_f64 v[1:2], v[1:2], -v[29:30]
	v_mul_f64 v[35:36], v[45:46], v[41:42]
	s_delay_alu instid0(VALU_DEP_3) | instskip(NEXT) | instid1(VALU_DEP_3)
	v_mul_f64 v[29:30], v[10:11], v[3:4]
	v_mul_f64 v[10:11], v[10:11], -v[1:2]
	s_delay_alu instid0(VALU_DEP_3) | instskip(NEXT) | instid1(VALU_DEP_3)
	v_fma_f64 v[27:28], -v[39:40], v[35:36], v[45:46]
	v_fma_f64 v[1:2], v[1:2], v[8:9], v[29:30]
	s_delay_alu instid0(VALU_DEP_3) | instskip(NEXT) | instid1(VALU_DEP_3)
	v_fma_f64 v[3:4], v[3:4], v[8:9], v[10:11]
	v_div_fmas_f64 v[27:28], v[27:28], v[41:42], v[35:36]
	s_delay_alu instid0(VALU_DEP_1) | instskip(NEXT) | instid1(VALU_DEP_1)
	v_div_fixup_f64 v[12:13], v[27:28], v[12:13], 1.0
	v_mul_f64 v[1:2], v[12:13], v[1:2]
	s_delay_alu instid0(VALU_DEP_4)
	v_mul_f64 v[3:4], v[12:13], v[3:4]
	ds_store_b128 v21, v[1:4] offset:16
	s_waitcnt lgkmcnt(0)
	s_waitcnt_vscnt null, 0x0
	buffer_gl0_inv
	ds_load_b128 v[8:11], v26 offset:16
	ds_load_b128 v[27:30], v18
	s_waitcnt lgkmcnt(0)
	v_fma_f64 v[12:13], v[1:2], v[8:9], v[27:28]
	v_fma_f64 v[27:28], v[3:4], v[8:9], v[29:30]
	s_delay_alu instid0(VALU_DEP_2) | instskip(NEXT) | instid1(VALU_DEP_2)
	v_fma_f64 v[8:9], v[3:4], v[10:11], v[12:13]
	v_fma_f64 v[10:11], v[1:2], -v[10:11], v[27:28]
	ds_store_b128 v18, v[8:11]
	s_waitcnt lgkmcnt(0)
	buffer_gl0_inv
	ds_load_b128 v[8:11], v0 offset:224
	ds_load_b128 v[1:4], v21 offset:32
	s_waitcnt lgkmcnt(1)
	v_cmp_neq_f64_e32 vcc_lo, 0, v[8:9]
	v_cmp_neq_f64_e64 s1, 0, v[10:11]
	s_delay_alu instid0(VALU_DEP_1) | instskip(SKIP_4) | instid1(SALU_CYCLE_1)
	s_or_b32 vcc_lo, vcc_lo, s1
	v_cndmask_b32_e32 v9, 0x3ff00000, v9, vcc_lo
	v_dual_cndmask_b32 v8, 0, v8 :: v_dual_cndmask_b32 v11, 0, v11
	v_cndmask_b32_e32 v10, 0, v10, vcc_lo
	s_or_b32 s1, vcc_lo, s0
	s_xor_b32 s20, s1, -1
	s_delay_alu instid0(SALU_CYCLE_1)
	s_and_saveexec_b32 s1, s20
	s_cbranch_execz .LBB63_43
; %bb.40:                               ;   in Loop: Header=BB63_9 Depth=1
	v_mbcnt_lo_u32_b32 v8, exec_lo, 0
	s_mov_b32 s20, exec_lo
	s_delay_alu instid0(VALU_DEP_1)
	v_cmpx_eq_u32_e32 0, v8
	s_cbranch_execz .LBB63_42
; %bb.41:                               ;   in Loop: Header=BB63_9 Depth=1
	v_mov_b32_e32 v8, s3
	global_atomic_min_i32 v0, v8, s[10:11]
.LBB63_42:                              ;   in Loop: Header=BB63_9 Depth=1
	s_or_b32 exec_lo, exec_lo, s20
	v_mov_b32_e32 v8, 0
	v_dual_mov_b32 v9, 0x3ff00000 :: v_dual_mov_b32 v10, 0
	v_mov_b32_e32 v11, 0
.LBB63_43:                              ;   in Loop: Header=BB63_9 Depth=1
	s_or_b32 exec_lo, exec_lo, s1
	s_delay_alu instid0(VALU_DEP_1)
	v_mul_f64 v[12:13], v[10:11], v[10:11]
	ds_load_b128 v[27:30], v0 offset:192
	ds_load_b128 v[31:34], v22 offset:32
	ds_load_b128 v[35:38], v21
	ds_load_b128 v[39:42], v21 offset:16
	s_waitcnt lgkmcnt(1)
	v_fma_f64 v[33:34], v[29:30], v[35:36], v[33:34]
	v_fma_f64 v[31:32], v[27:28], v[35:36], v[31:32]
	;; [unrolled: 1-line block ×3, first 2 shown]
	s_delay_alu instid0(VALU_DEP_3) | instskip(NEXT) | instid1(VALU_DEP_3)
	v_fma_f64 v[33:34], v[27:28], -v[37:38], v[33:34]
	v_fma_f64 v[31:32], v[29:30], v[37:38], v[31:32]
	ds_load_b128 v[27:30], v0 offset:208
	v_div_scale_f64 v[43:44], null, v[12:13], v[12:13], 1.0
	v_div_scale_f64 v[37:38], vcc_lo, 1.0, v[12:13], 1.0
	s_waitcnt lgkmcnt(0)
	v_fma_f64 v[33:34], v[29:30], v[39:40], v[33:34]
	v_fma_f64 v[31:32], v[27:28], v[39:40], v[31:32]
	s_delay_alu instid0(VALU_DEP_4) | instskip(NEXT) | instid1(VALU_DEP_2)
	v_rcp_f64_e32 v[45:46], v[43:44]
	v_fma_f64 v[27:28], v[27:28], -v[41:42], v[33:34]
	s_delay_alu instid0(VALU_DEP_2) | instskip(SKIP_4) | instid1(VALU_DEP_3)
	v_fma_f64 v[29:30], v[29:30], v[41:42], v[31:32]
	s_waitcnt_depctr 0xfff
	v_fma_f64 v[47:48], -v[43:44], v[45:46], 1.0
	v_add_f64 v[3:4], v[3:4], -v[27:28]
	v_add_f64 v[1:2], v[1:2], -v[29:30]
	v_fma_f64 v[45:46], v[45:46], v[47:48], v[45:46]
	s_delay_alu instid0(VALU_DEP_3) | instskip(NEXT) | instid1(VALU_DEP_3)
	v_mul_f64 v[29:30], v[10:11], v[3:4]
	v_mul_f64 v[10:11], v[10:11], -v[1:2]
	s_delay_alu instid0(VALU_DEP_3) | instskip(NEXT) | instid1(VALU_DEP_3)
	v_fma_f64 v[35:36], -v[43:44], v[45:46], 1.0
	v_fma_f64 v[1:2], v[1:2], v[8:9], v[29:30]
	s_delay_alu instid0(VALU_DEP_3) | instskip(NEXT) | instid1(VALU_DEP_3)
	v_fma_f64 v[3:4], v[3:4], v[8:9], v[10:11]
	v_fma_f64 v[35:36], v[45:46], v[35:36], v[45:46]
	s_delay_alu instid0(VALU_DEP_1) | instskip(NEXT) | instid1(VALU_DEP_1)
	v_mul_f64 v[33:34], v[37:38], v[35:36]
	v_fma_f64 v[27:28], -v[43:44], v[33:34], v[37:38]
	s_delay_alu instid0(VALU_DEP_1) | instskip(NEXT) | instid1(VALU_DEP_1)
	v_div_fmas_f64 v[27:28], v[27:28], v[35:36], v[33:34]
	v_div_fixup_f64 v[12:13], v[27:28], v[12:13], 1.0
	s_delay_alu instid0(VALU_DEP_1)
	v_mul_f64 v[1:2], v[12:13], v[1:2]
	v_mul_f64 v[3:4], v[12:13], v[3:4]
	ds_store_b128 v21, v[1:4] offset:32
	s_waitcnt lgkmcnt(0)
	s_waitcnt_vscnt null, 0x0
	buffer_gl0_inv
	ds_load_b128 v[8:11], v26 offset:32
	ds_load_b128 v[27:30], v18
	s_waitcnt lgkmcnt(0)
	v_fma_f64 v[12:13], v[1:2], v[8:9], v[27:28]
	v_fma_f64 v[27:28], v[3:4], v[8:9], v[29:30]
	s_delay_alu instid0(VALU_DEP_2) | instskip(NEXT) | instid1(VALU_DEP_2)
	v_fma_f64 v[8:9], v[3:4], v[10:11], v[12:13]
	v_fma_f64 v[10:11], v[1:2], -v[10:11], v[27:28]
	ds_store_b128 v18, v[8:11]
	s_waitcnt lgkmcnt(0)
	buffer_gl0_inv
	ds_load_b128 v[8:11], v0 offset:336
	ds_load_b128 v[1:4], v21 offset:48
	s_waitcnt lgkmcnt(1)
	v_cmp_neq_f64_e32 vcc_lo, 0, v[8:9]
	v_cmp_neq_f64_e64 s1, 0, v[10:11]
	s_delay_alu instid0(VALU_DEP_1) | instskip(SKIP_4) | instid1(SALU_CYCLE_1)
	s_or_b32 vcc_lo, vcc_lo, s1
	v_cndmask_b32_e32 v9, 0x3ff00000, v9, vcc_lo
	v_dual_cndmask_b32 v8, 0, v8 :: v_dual_cndmask_b32 v11, 0, v11
	v_cndmask_b32_e32 v10, 0, v10, vcc_lo
	s_or_b32 s1, vcc_lo, s0
	s_xor_b32 s20, s1, -1
	s_delay_alu instid0(SALU_CYCLE_1)
	s_and_saveexec_b32 s1, s20
	s_cbranch_execz .LBB63_47
; %bb.44:                               ;   in Loop: Header=BB63_9 Depth=1
	v_mbcnt_lo_u32_b32 v8, exec_lo, 0
	s_mov_b32 s20, exec_lo
	s_delay_alu instid0(VALU_DEP_1)
	v_cmpx_eq_u32_e32 0, v8
	s_cbranch_execz .LBB63_46
; %bb.45:                               ;   in Loop: Header=BB63_9 Depth=1
	v_mov_b32_e32 v8, s3
	global_atomic_min_i32 v0, v8, s[10:11]
.LBB63_46:                              ;   in Loop: Header=BB63_9 Depth=1
	s_or_b32 exec_lo, exec_lo, s20
	v_mov_b32_e32 v8, 0
	v_dual_mov_b32 v9, 0x3ff00000 :: v_dual_mov_b32 v10, 0
	v_mov_b32_e32 v11, 0
.LBB63_47:                              ;   in Loop: Header=BB63_9 Depth=1
	s_or_b32 exec_lo, exec_lo, s1
	s_delay_alu instid0(VALU_DEP_1)
	v_mul_f64 v[12:13], v[10:11], v[10:11]
	ds_load_b128 v[27:30], v21
	ds_load_b128 v[31:34], v22 offset:48
	ds_load_b128 v[35:38], v0 offset:288
	;; [unrolled: 1-line block ×4, first 2 shown]
	s_waitcnt lgkmcnt(2)
	v_fma_f64 v[33:34], v[37:38], v[27:28], v[33:34]
	v_fma_f64 v[27:28], v[35:36], v[27:28], v[31:32]
	;; [unrolled: 1-line block ×3, first 2 shown]
	s_delay_alu instid0(VALU_DEP_3) | instskip(NEXT) | instid1(VALU_DEP_3)
	v_fma_f64 v[31:32], v[35:36], -v[29:30], v[33:34]
	v_fma_f64 v[27:28], v[37:38], v[29:30], v[27:28]
	s_delay_alu instid0(VALU_DEP_3) | instskip(SKIP_1) | instid1(VALU_DEP_3)
	v_div_scale_f64 v[47:48], null, v[12:13], v[12:13], 1.0
	s_waitcnt lgkmcnt(0)
	v_fma_f64 v[29:30], v[41:42], v[43:44], v[31:32]
	s_delay_alu instid0(VALU_DEP_3) | instskip(SKIP_1) | instid1(VALU_DEP_4)
	v_fma_f64 v[27:28], v[39:40], v[43:44], v[27:28]
	v_div_scale_f64 v[43:44], vcc_lo, 1.0, v[12:13], 1.0
	v_rcp_f64_e32 v[49:50], v[47:48]
	s_delay_alu instid0(VALU_DEP_3) | instskip(NEXT) | instid1(VALU_DEP_3)
	v_fma_f64 v[37:38], v[39:40], -v[45:46], v[29:30]
	v_fma_f64 v[41:42], v[41:42], v[45:46], v[27:28]
	s_waitcnt_depctr 0xfff
	v_fma_f64 v[33:34], -v[47:48], v[49:50], 1.0
	s_delay_alu instid0(VALU_DEP_1)
	v_fma_f64 v[35:36], v[49:50], v[33:34], v[49:50]
	ds_load_b128 v[27:30], v21 offset:32
	ds_load_b128 v[31:34], v0 offset:320
	s_waitcnt lgkmcnt(0)
	v_fma_f64 v[37:38], v[33:34], v[27:28], v[37:38]
	v_fma_f64 v[27:28], v[31:32], v[27:28], v[41:42]
	v_fma_f64 v[39:40], -v[47:48], v[35:36], 1.0
	s_delay_alu instid0(VALU_DEP_3) | instskip(NEXT) | instid1(VALU_DEP_3)
	v_fma_f64 v[31:32], v[31:32], -v[29:30], v[37:38]
	v_fma_f64 v[27:28], v[33:34], v[29:30], v[27:28]
	s_delay_alu instid0(VALU_DEP_3) | instskip(NEXT) | instid1(VALU_DEP_3)
	v_fma_f64 v[35:36], v[35:36], v[39:40], v[35:36]
	v_add_f64 v[3:4], v[3:4], -v[31:32]
	s_delay_alu instid0(VALU_DEP_3) | instskip(NEXT) | instid1(VALU_DEP_3)
	v_add_f64 v[1:2], v[1:2], -v[27:28]
	v_mul_f64 v[37:38], v[43:44], v[35:36]
	s_delay_alu instid0(VALU_DEP_3) | instskip(NEXT) | instid1(VALU_DEP_3)
	v_mul_f64 v[27:28], v[10:11], v[3:4]
	v_mul_f64 v[10:11], v[10:11], -v[1:2]
	s_delay_alu instid0(VALU_DEP_3) | instskip(NEXT) | instid1(VALU_DEP_3)
	v_fma_f64 v[29:30], -v[47:48], v[37:38], v[43:44]
	v_fma_f64 v[1:2], v[1:2], v[8:9], v[27:28]
	s_delay_alu instid0(VALU_DEP_3) | instskip(NEXT) | instid1(VALU_DEP_3)
	v_fma_f64 v[3:4], v[3:4], v[8:9], v[10:11]
	v_div_fmas_f64 v[29:30], v[29:30], v[35:36], v[37:38]
	s_delay_alu instid0(VALU_DEP_1) | instskip(NEXT) | instid1(VALU_DEP_1)
	v_div_fixup_f64 v[12:13], v[29:30], v[12:13], 1.0
	v_mul_f64 v[1:2], v[12:13], v[1:2]
	s_delay_alu instid0(VALU_DEP_4)
	v_mul_f64 v[3:4], v[12:13], v[3:4]
	ds_store_b128 v21, v[1:4] offset:48
	s_waitcnt lgkmcnt(0)
	s_waitcnt_vscnt null, 0x0
	buffer_gl0_inv
	ds_load_b128 v[8:11], v26 offset:48
	ds_load_b128 v[27:30], v18
	s_waitcnt lgkmcnt(0)
	v_fma_f64 v[12:13], v[1:2], v[8:9], v[27:28]
	v_fma_f64 v[27:28], v[3:4], v[8:9], v[29:30]
	s_delay_alu instid0(VALU_DEP_2) | instskip(NEXT) | instid1(VALU_DEP_2)
	v_fma_f64 v[8:9], v[3:4], v[10:11], v[12:13]
	v_fma_f64 v[10:11], v[1:2], -v[10:11], v[27:28]
	ds_store_b128 v18, v[8:11]
	s_waitcnt lgkmcnt(0)
	buffer_gl0_inv
	ds_load_b128 v[8:11], v0 offset:448
	ds_load_b128 v[1:4], v21 offset:64
	s_waitcnt lgkmcnt(1)
	v_cmp_neq_f64_e32 vcc_lo, 0, v[8:9]
	v_cmp_neq_f64_e64 s1, 0, v[10:11]
	s_delay_alu instid0(VALU_DEP_1) | instskip(SKIP_4) | instid1(SALU_CYCLE_1)
	s_or_b32 vcc_lo, vcc_lo, s1
	v_cndmask_b32_e32 v9, 0x3ff00000, v9, vcc_lo
	v_dual_cndmask_b32 v8, 0, v8 :: v_dual_cndmask_b32 v11, 0, v11
	v_cndmask_b32_e32 v10, 0, v10, vcc_lo
	s_or_b32 s1, vcc_lo, s0
	s_xor_b32 s20, s1, -1
	s_delay_alu instid0(SALU_CYCLE_1)
	s_and_saveexec_b32 s1, s20
	s_cbranch_execz .LBB63_7
; %bb.48:                               ;   in Loop: Header=BB63_9 Depth=1
	v_mbcnt_lo_u32_b32 v8, exec_lo, 0
	s_mov_b32 s20, exec_lo
	s_delay_alu instid0(VALU_DEP_1)
	v_cmpx_eq_u32_e32 0, v8
	s_cbranch_execz .LBB63_6
; %bb.49:                               ;   in Loop: Header=BB63_9 Depth=1
	v_mov_b32_e32 v8, s3
	global_atomic_min_i32 v0, v8, s[10:11]
	s_branch .LBB63_6
.LBB63_50:
	v_mov_b32_e32 v0, v16
	s_cmp_lg_u32 s28, 0
	s_cselect_b32 s3, -1, 0
	s_cmp_eq_u32 s28, 0
	s_cbranch_scc1 .LBB63_52
; %bb.51:
	v_mad_u32_u24 v0, v14, 5, v15
.LBB63_52:
	s_mul_i32 s26, s26, 25
	v_cmp_ne_u32_e64 s1, 0, v15
	s_delay_alu instid0(VALU_DEP_2) | instskip(SKIP_1) | instid1(VALU_DEP_1)
	v_add_nc_u32_e32 v0, s26, v0
	s_mov_b32 s2, exec_lo
	v_ashrrev_i32_e32 v1, 31, v0
	s_delay_alu instid0(VALU_DEP_1) | instskip(NEXT) | instid1(VALU_DEP_1)
	v_lshlrev_b64 v[0:1], 4, v[0:1]
	v_add_co_u32 v0, vcc_lo, s18, v0
	s_delay_alu instid0(VALU_DEP_2)
	v_add_co_ci_u32_e32 v1, vcc_lo, s19, v1, vcc_lo
	global_load_b128 v[0:3], v[0:1], off
	s_waitcnt vmcnt(0)
	ds_store_2addr_b64 v19, v[0:1], v[2:3] offset0:120 offset1:121
	s_waitcnt lgkmcnt(0)
	buffer_gl0_inv
	v_cmpx_eq_u32_e32 0, v15
	s_cbranch_execz .LBB63_61
; %bb.53:
	v_mov_b32_e32 v4, 0
	ds_load_b128 v[0:3], v4 offset:1440
	ds_load_b128 v[4:7], v4 offset:960
	s_waitcnt lgkmcnt(0)
	v_add_f64 v[0:1], v[4:5], -v[0:1]
	v_add_f64 v[4:5], v[6:7], -v[2:3]
	s_delay_alu instid0(VALU_DEP_2) | instskip(NEXT) | instid1(VALU_DEP_2)
	v_cmp_gt_f64_e32 vcc_lo, 0, v[0:1]
	v_cmp_gt_f64_e64 s0, 0, v[4:5]
	v_xor_b32_e32 v2, 0x80000000, v1
	v_xor_b32_e32 v3, 0x80000000, v5
	s_delay_alu instid0(VALU_DEP_2) | instskip(NEXT) | instid1(VALU_DEP_2)
	v_cndmask_b32_e32 v1, v1, v2, vcc_lo
	v_cndmask_b32_e64 v3, v5, v3, s0
	v_cndmask_b32_e32 v0, v0, v0, vcc_lo
	v_cndmask_b32_e64 v2, v4, v4, s0
	s_delay_alu instid0(VALU_DEP_1)
	v_cmp_ngt_f64_e32 vcc_lo, v[0:1], v[2:3]
	s_cbranch_vccz .LBB63_58
; %bb.54:
	v_cmp_eq_f64_e32 vcc_lo, 0, v[4:5]
	v_mov_b32_e32 v4, 0
	v_mov_b32_e32 v5, 0
	s_cbranch_vccnz .LBB63_56
; %bb.55:
	v_div_scale_f64 v[4:5], null, v[2:3], v[2:3], v[0:1]
	v_div_scale_f64 v[10:11], vcc_lo, v[0:1], v[2:3], v[0:1]
	s_delay_alu instid0(VALU_DEP_2) | instskip(SKIP_2) | instid1(VALU_DEP_1)
	v_rcp_f64_e32 v[6:7], v[4:5]
	s_waitcnt_depctr 0xfff
	v_fma_f64 v[8:9], -v[4:5], v[6:7], 1.0
	v_fma_f64 v[6:7], v[6:7], v[8:9], v[6:7]
	s_delay_alu instid0(VALU_DEP_1) | instskip(NEXT) | instid1(VALU_DEP_1)
	v_fma_f64 v[8:9], -v[4:5], v[6:7], 1.0
	v_fma_f64 v[6:7], v[6:7], v[8:9], v[6:7]
	s_delay_alu instid0(VALU_DEP_1) | instskip(NEXT) | instid1(VALU_DEP_1)
	v_mul_f64 v[8:9], v[10:11], v[6:7]
	v_fma_f64 v[4:5], -v[4:5], v[8:9], v[10:11]
	s_delay_alu instid0(VALU_DEP_1) | instskip(NEXT) | instid1(VALU_DEP_1)
	v_div_fmas_f64 v[4:5], v[4:5], v[6:7], v[8:9]
	v_div_fixup_f64 v[4:5], v[4:5], v[2:3], v[0:1]
	s_delay_alu instid0(VALU_DEP_1) | instskip(NEXT) | instid1(VALU_DEP_1)
	v_fma_f64 v[4:5], v[4:5], v[4:5], 1.0
	v_cmp_gt_f64_e32 vcc_lo, 0x10000000, v[4:5]
	v_cndmask_b32_e64 v6, 0, 1, vcc_lo
	s_and_b32 s0, vcc_lo, exec_lo
	s_cselect_b32 s0, 0xffffff80, 0
	s_delay_alu instid0(VALU_DEP_1) | instskip(NEXT) | instid1(VALU_DEP_1)
	v_lshlrev_b32_e32 v6, 8, v6
	v_ldexp_f64 v[4:5], v[4:5], v6
	s_delay_alu instid0(VALU_DEP_1) | instskip(SKIP_4) | instid1(VALU_DEP_1)
	v_rsq_f64_e32 v[6:7], v[4:5]
	v_cmp_class_f64_e64 vcc_lo, v[4:5], 0x260
	s_waitcnt_depctr 0xfff
	v_mul_f64 v[8:9], v[4:5], v[6:7]
	v_mul_f64 v[6:7], v[6:7], 0.5
	v_fma_f64 v[10:11], -v[6:7], v[8:9], 0.5
	s_delay_alu instid0(VALU_DEP_1) | instskip(SKIP_1) | instid1(VALU_DEP_2)
	v_fma_f64 v[8:9], v[8:9], v[10:11], v[8:9]
	v_fma_f64 v[6:7], v[6:7], v[10:11], v[6:7]
	v_fma_f64 v[10:11], -v[8:9], v[8:9], v[4:5]
	s_delay_alu instid0(VALU_DEP_1) | instskip(NEXT) | instid1(VALU_DEP_1)
	v_fma_f64 v[8:9], v[10:11], v[6:7], v[8:9]
	v_fma_f64 v[10:11], -v[8:9], v[8:9], v[4:5]
	s_delay_alu instid0(VALU_DEP_1) | instskip(NEXT) | instid1(VALU_DEP_1)
	v_fma_f64 v[6:7], v[10:11], v[6:7], v[8:9]
	v_ldexp_f64 v[6:7], v[6:7], s0
	s_delay_alu instid0(VALU_DEP_1) | instskip(NEXT) | instid1(VALU_DEP_1)
	v_dual_cndmask_b32 v5, v7, v5 :: v_dual_cndmask_b32 v4, v6, v4
	v_mul_f64 v[4:5], v[2:3], v[4:5]
.LBB63_56:
	s_cbranch_execz .LBB63_59
	s_branch .LBB63_60
.LBB63_57:
	s_cbranch_execnz .LBB63_126
	s_branch .LBB63_131
.LBB63_58:
                                        ; implicit-def: $vgpr4_vgpr5
.LBB63_59:
	v_div_scale_f64 v[4:5], null, v[0:1], v[0:1], v[2:3]
	v_div_scale_f64 v[10:11], vcc_lo, v[2:3], v[0:1], v[2:3]
	s_delay_alu instid0(VALU_DEP_2) | instskip(SKIP_2) | instid1(VALU_DEP_1)
	v_rcp_f64_e32 v[6:7], v[4:5]
	s_waitcnt_depctr 0xfff
	v_fma_f64 v[8:9], -v[4:5], v[6:7], 1.0
	v_fma_f64 v[6:7], v[6:7], v[8:9], v[6:7]
	s_delay_alu instid0(VALU_DEP_1) | instskip(NEXT) | instid1(VALU_DEP_1)
	v_fma_f64 v[8:9], -v[4:5], v[6:7], 1.0
	v_fma_f64 v[6:7], v[6:7], v[8:9], v[6:7]
	s_delay_alu instid0(VALU_DEP_1) | instskip(NEXT) | instid1(VALU_DEP_1)
	v_mul_f64 v[8:9], v[10:11], v[6:7]
	v_fma_f64 v[4:5], -v[4:5], v[8:9], v[10:11]
	s_delay_alu instid0(VALU_DEP_1) | instskip(NEXT) | instid1(VALU_DEP_1)
	v_div_fmas_f64 v[4:5], v[4:5], v[6:7], v[8:9]
	v_div_fixup_f64 v[2:3], v[4:5], v[0:1], v[2:3]
	s_delay_alu instid0(VALU_DEP_1) | instskip(NEXT) | instid1(VALU_DEP_1)
	v_fma_f64 v[2:3], v[2:3], v[2:3], 1.0
	v_cmp_gt_f64_e32 vcc_lo, 0x10000000, v[2:3]
	v_cndmask_b32_e64 v4, 0, 1, vcc_lo
	s_and_b32 s0, vcc_lo, exec_lo
	s_cselect_b32 s0, 0xffffff80, 0
	s_delay_alu instid0(VALU_DEP_1) | instskip(NEXT) | instid1(VALU_DEP_1)
	v_lshlrev_b32_e32 v4, 8, v4
	v_ldexp_f64 v[2:3], v[2:3], v4
	s_delay_alu instid0(VALU_DEP_1) | instskip(SKIP_4) | instid1(VALU_DEP_1)
	v_rsq_f64_e32 v[4:5], v[2:3]
	v_cmp_class_f64_e64 vcc_lo, v[2:3], 0x260
	s_waitcnt_depctr 0xfff
	v_mul_f64 v[6:7], v[2:3], v[4:5]
	v_mul_f64 v[4:5], v[4:5], 0.5
	v_fma_f64 v[8:9], -v[4:5], v[6:7], 0.5
	s_delay_alu instid0(VALU_DEP_1) | instskip(SKIP_1) | instid1(VALU_DEP_2)
	v_fma_f64 v[6:7], v[6:7], v[8:9], v[6:7]
	v_fma_f64 v[4:5], v[4:5], v[8:9], v[4:5]
	v_fma_f64 v[8:9], -v[6:7], v[6:7], v[2:3]
	s_delay_alu instid0(VALU_DEP_1) | instskip(NEXT) | instid1(VALU_DEP_1)
	v_fma_f64 v[6:7], v[8:9], v[4:5], v[6:7]
	v_fma_f64 v[8:9], -v[6:7], v[6:7], v[2:3]
	s_delay_alu instid0(VALU_DEP_1) | instskip(NEXT) | instid1(VALU_DEP_1)
	v_fma_f64 v[4:5], v[8:9], v[4:5], v[6:7]
	v_ldexp_f64 v[4:5], v[4:5], s0
	s_delay_alu instid0(VALU_DEP_1) | instskip(NEXT) | instid1(VALU_DEP_1)
	v_dual_cndmask_b32 v3, v5, v3 :: v_dual_cndmask_b32 v2, v4, v2
	v_mul_f64 v[4:5], v[0:1], v[2:3]
.LBB63_60:
	s_delay_alu instid0(VALU_DEP_1) | instskip(SKIP_3) | instid1(VALU_DEP_1)
	v_cmp_gt_f64_e32 vcc_lo, 0x10000000, v[4:5]
	v_cndmask_b32_e64 v0, 0, 1, vcc_lo
	s_and_b32 s0, vcc_lo, exec_lo
	s_cselect_b32 s0, 0xffffff80, 0
	v_lshlrev_b32_e32 v0, 8, v0
	s_delay_alu instid0(VALU_DEP_1) | instskip(NEXT) | instid1(VALU_DEP_1)
	v_ldexp_f64 v[0:1], v[4:5], v0
	v_rsq_f64_e32 v[2:3], v[0:1]
	v_cmp_class_f64_e64 vcc_lo, v[0:1], 0x260
	s_waitcnt_depctr 0xfff
	v_mul_f64 v[4:5], v[0:1], v[2:3]
	v_mul_f64 v[2:3], v[2:3], 0.5
	s_delay_alu instid0(VALU_DEP_1) | instskip(NEXT) | instid1(VALU_DEP_1)
	v_fma_f64 v[6:7], -v[2:3], v[4:5], 0.5
	v_fma_f64 v[4:5], v[4:5], v[6:7], v[4:5]
	v_fma_f64 v[2:3], v[2:3], v[6:7], v[2:3]
	s_delay_alu instid0(VALU_DEP_2) | instskip(NEXT) | instid1(VALU_DEP_1)
	v_fma_f64 v[6:7], -v[4:5], v[4:5], v[0:1]
	v_fma_f64 v[4:5], v[6:7], v[2:3], v[4:5]
	s_delay_alu instid0(VALU_DEP_1) | instskip(NEXT) | instid1(VALU_DEP_1)
	v_fma_f64 v[6:7], -v[4:5], v[4:5], v[0:1]
	v_fma_f64 v[2:3], v[6:7], v[2:3], v[4:5]
	s_delay_alu instid0(VALU_DEP_1) | instskip(NEXT) | instid1(VALU_DEP_1)
	v_ldexp_f64 v[3:4], v[2:3], s0
	v_dual_mov_b32 v2, 0 :: v_dual_cndmask_b32 v1, v4, v1
	s_delay_alu instid0(VALU_DEP_1)
	v_dual_cndmask_b32 v0, v3, v0 :: v_dual_mov_b32 v3, v2
	ds_store_b128 v2, v[0:3] offset:960
.LBB63_61:
	s_or_b32 exec_lo, exec_lo, s2
	v_mov_b32_e32 v0, 0
	s_waitcnt lgkmcnt(0)
	buffer_gl0_inv
	v_or_b32_e32 v7, v14, v15
	v_add_nc_u32_e32 v6, 0x3c0, v19
	ds_load_b128 v[0:3], v0 offset:960
	v_cmp_ne_u32_e64 s0, 0, v7
	s_waitcnt lgkmcnt(0)
	v_cmp_neq_f64_e32 vcc_lo, 0, v[0:1]
	v_cmp_neq_f64_e64 s2, 0, v[2:3]
	s_delay_alu instid0(VALU_DEP_1)
	s_or_b32 vcc_lo, vcc_lo, s2
	s_add_i32 s2, s16, s17
	v_cndmask_b32_e32 v1, 0x3ff00000, v1, vcc_lo
	v_dual_cndmask_b32 v0, 0, v0 :: v_dual_cndmask_b32 v3, 0, v3
	v_cndmask_b32_e32 v2, 0, v2, vcc_lo
	s_or_b32 s4, vcc_lo, s0
	s_delay_alu instid0(SALU_CYCLE_1) | instskip(NEXT) | instid1(SALU_CYCLE_1)
	s_xor_b32 s5, s4, -1
	s_and_saveexec_b32 s4, s5
	s_cbranch_execz .LBB63_65
; %bb.62:
	v_mbcnt_lo_u32_b32 v0, exec_lo, 0
	s_mov_b32 s5, exec_lo
	s_delay_alu instid0(VALU_DEP_1)
	v_cmpx_eq_u32_e32 0, v0
	s_cbranch_execz .LBB63_64
; %bb.63:
	v_dual_mov_b32 v0, 0 :: v_dual_mov_b32 v1, s2
	global_atomic_min_i32 v0, v1, s[10:11]
.LBB63_64:
	s_or_b32 exec_lo, exec_lo, s5
	v_mov_b32_e32 v0, 0
	v_dual_mov_b32 v1, 0x3ff00000 :: v_dual_mov_b32 v2, 0
	v_mov_b32_e32 v3, 0
.LBB63_65:
	s_or_b32 exec_lo, exec_lo, s4
	s_and_saveexec_b32 s4, s1
	s_cbranch_execz .LBB63_67
; %bb.66:
	s_delay_alu instid0(VALU_DEP_1) | instskip(SKIP_1) | instid1(VALU_DEP_2)
	v_mul_f64 v[4:5], v[2:3], v[2:3]
	v_mul_u32_u24_e32 v29, 0x60, v15
	v_fma_f64 v[4:5], v[0:1], v[0:1], v[4:5]
	s_delay_alu instid0(VALU_DEP_1) | instskip(SKIP_1) | instid1(VALU_DEP_2)
	v_div_scale_f64 v[12:13], null, v[4:5], v[4:5], 1.0
	v_div_scale_f64 v[23:24], vcc_lo, 1.0, v[4:5], 1.0
	v_rcp_f64_e32 v[8:9], v[12:13]
	s_waitcnt_depctr 0xfff
	v_fma_f64 v[10:11], -v[12:13], v[8:9], 1.0
	s_delay_alu instid0(VALU_DEP_1) | instskip(NEXT) | instid1(VALU_DEP_1)
	v_fma_f64 v[8:9], v[8:9], v[10:11], v[8:9]
	v_fma_f64 v[10:11], -v[12:13], v[8:9], 1.0
	s_delay_alu instid0(VALU_DEP_1)
	v_fma_f64 v[25:26], v[8:9], v[10:11], v[8:9]
	ds_load_b128 v[8:11], v29 offset:960
	ds_load_b128 v[19:22], v29 offset:1440
	s_waitcnt lgkmcnt(0)
	v_add_f64 v[10:11], v[10:11], -v[21:22]
	v_add_f64 v[8:9], v[8:9], -v[19:20]
	v_mul_f64 v[27:28], v[23:24], v[25:26]
	s_delay_alu instid0(VALU_DEP_3) | instskip(NEXT) | instid1(VALU_DEP_3)
	v_mul_f64 v[19:20], v[2:3], v[10:11]
	v_mul_f64 v[2:3], v[2:3], -v[8:9]
	s_delay_alu instid0(VALU_DEP_3) | instskip(NEXT) | instid1(VALU_DEP_3)
	v_fma_f64 v[12:13], -v[12:13], v[27:28], v[23:24]
	v_fma_f64 v[8:9], v[8:9], v[0:1], v[19:20]
	s_delay_alu instid0(VALU_DEP_3) | instskip(NEXT) | instid1(VALU_DEP_3)
	v_fma_f64 v[2:3], v[10:11], v[0:1], v[2:3]
	v_div_fmas_f64 v[12:13], v[12:13], v[25:26], v[27:28]
	s_delay_alu instid0(VALU_DEP_1) | instskip(NEXT) | instid1(VALU_DEP_1)
	v_div_fixup_f64 v[4:5], v[12:13], v[4:5], 1.0
	v_mul_f64 v[0:1], v[4:5], v[8:9]
	s_delay_alu instid0(VALU_DEP_4)
	v_mul_f64 v[2:3], v[4:5], v[2:3]
	v_mul_u32_u24_e32 v4, 0x60, v14
	ds_store_b128 v29, v[0:3] offset:960
	s_waitcnt lgkmcnt(0)
	s_waitcnt_vscnt null, 0x0
	buffer_gl0_inv
	ds_load_b128 v[8:11], v4 offset:960
	ds_load_b128 v[19:22], v18
	s_waitcnt lgkmcnt(0)
	v_fma_f64 v[4:5], v[0:1], v[8:9], v[19:20]
	v_fma_f64 v[8:9], v[2:3], v[8:9], v[21:22]
	s_delay_alu instid0(VALU_DEP_2) | instskip(NEXT) | instid1(VALU_DEP_2)
	v_fma_f64 v[2:3], v[2:3], v[10:11], v[4:5]
	v_fma_f64 v[4:5], v[0:1], -v[10:11], v[8:9]
	ds_store_b128 v18, v[2:5]
.LBB63_67:
	s_or_b32 exec_lo, exec_lo, s4
	s_delay_alu instid0(SALU_CYCLE_1)
	s_mov_b32 s4, exec_lo
	s_waitcnt lgkmcnt(0)
	s_waitcnt_vscnt null, 0x0
	buffer_gl0_inv
	v_cmpx_eq_u32_e32 1, v15
	s_cbranch_execz .LBB63_75
; %bb.68:
	v_mov_b32_e32 v4, 0
	ds_load_b128 v[0:3], v4 offset:1552
	ds_load_b128 v[8:11], v4 offset:1072
	s_waitcnt lgkmcnt(0)
	v_add_f64 v[0:1], v[8:9], -v[0:1]
	v_add_f64 v[4:5], v[10:11], -v[2:3]
	s_delay_alu instid0(VALU_DEP_2) | instskip(NEXT) | instid1(VALU_DEP_2)
	v_cmp_gt_f64_e32 vcc_lo, 0, v[0:1]
	v_cmp_gt_f64_e64 s1, 0, v[4:5]
	v_xor_b32_e32 v2, 0x80000000, v1
	v_xor_b32_e32 v3, 0x80000000, v5
	s_delay_alu instid0(VALU_DEP_2) | instskip(NEXT) | instid1(VALU_DEP_2)
	v_cndmask_b32_e32 v1, v1, v2, vcc_lo
	v_cndmask_b32_e64 v3, v5, v3, s1
	v_cndmask_b32_e32 v0, v0, v0, vcc_lo
	v_cndmask_b32_e64 v2, v4, v4, s1
	s_delay_alu instid0(VALU_DEP_1)
	v_cmp_gt_f64_e32 vcc_lo, v[0:1], v[2:3]
	s_cbranch_vccnz .LBB63_72
; %bb.69:
	v_cmp_eq_f64_e32 vcc_lo, 0, v[4:5]
	v_mov_b32_e32 v4, 0
	v_mov_b32_e32 v5, 0
	s_cbranch_vccnz .LBB63_71
; %bb.70:
	v_div_scale_f64 v[4:5], null, v[2:3], v[2:3], v[0:1]
	v_div_scale_f64 v[12:13], vcc_lo, v[0:1], v[2:3], v[0:1]
	s_delay_alu instid0(VALU_DEP_2) | instskip(SKIP_2) | instid1(VALU_DEP_1)
	v_rcp_f64_e32 v[8:9], v[4:5]
	s_waitcnt_depctr 0xfff
	v_fma_f64 v[10:11], -v[4:5], v[8:9], 1.0
	v_fma_f64 v[8:9], v[8:9], v[10:11], v[8:9]
	s_delay_alu instid0(VALU_DEP_1) | instskip(NEXT) | instid1(VALU_DEP_1)
	v_fma_f64 v[10:11], -v[4:5], v[8:9], 1.0
	v_fma_f64 v[8:9], v[8:9], v[10:11], v[8:9]
	s_delay_alu instid0(VALU_DEP_1) | instskip(NEXT) | instid1(VALU_DEP_1)
	v_mul_f64 v[10:11], v[12:13], v[8:9]
	v_fma_f64 v[4:5], -v[4:5], v[10:11], v[12:13]
	s_delay_alu instid0(VALU_DEP_1) | instskip(NEXT) | instid1(VALU_DEP_1)
	v_div_fmas_f64 v[4:5], v[4:5], v[8:9], v[10:11]
	v_div_fixup_f64 v[4:5], v[4:5], v[2:3], v[0:1]
	s_delay_alu instid0(VALU_DEP_1) | instskip(NEXT) | instid1(VALU_DEP_1)
	v_fma_f64 v[4:5], v[4:5], v[4:5], 1.0
	v_cmp_gt_f64_e32 vcc_lo, 0x10000000, v[4:5]
	v_cndmask_b32_e64 v8, 0, 1, vcc_lo
	s_and_b32 s1, vcc_lo, exec_lo
	s_cselect_b32 s1, 0xffffff80, 0
	s_delay_alu instid0(VALU_DEP_1) | instskip(NEXT) | instid1(VALU_DEP_1)
	v_lshlrev_b32_e32 v8, 8, v8
	v_ldexp_f64 v[4:5], v[4:5], v8
	s_delay_alu instid0(VALU_DEP_1) | instskip(SKIP_4) | instid1(VALU_DEP_1)
	v_rsq_f64_e32 v[8:9], v[4:5]
	v_cmp_class_f64_e64 vcc_lo, v[4:5], 0x260
	s_waitcnt_depctr 0xfff
	v_mul_f64 v[10:11], v[4:5], v[8:9]
	v_mul_f64 v[8:9], v[8:9], 0.5
	v_fma_f64 v[12:13], -v[8:9], v[10:11], 0.5
	s_delay_alu instid0(VALU_DEP_1) | instskip(SKIP_1) | instid1(VALU_DEP_2)
	v_fma_f64 v[10:11], v[10:11], v[12:13], v[10:11]
	v_fma_f64 v[8:9], v[8:9], v[12:13], v[8:9]
	v_fma_f64 v[12:13], -v[10:11], v[10:11], v[4:5]
	s_delay_alu instid0(VALU_DEP_1) | instskip(NEXT) | instid1(VALU_DEP_1)
	v_fma_f64 v[10:11], v[12:13], v[8:9], v[10:11]
	v_fma_f64 v[12:13], -v[10:11], v[10:11], v[4:5]
	s_delay_alu instid0(VALU_DEP_1) | instskip(NEXT) | instid1(VALU_DEP_1)
	v_fma_f64 v[8:9], v[12:13], v[8:9], v[10:11]
	v_ldexp_f64 v[8:9], v[8:9], s1
	s_delay_alu instid0(VALU_DEP_1) | instskip(NEXT) | instid1(VALU_DEP_1)
	v_dual_cndmask_b32 v5, v9, v5 :: v_dual_cndmask_b32 v4, v8, v4
	v_mul_f64 v[4:5], v[2:3], v[4:5]
.LBB63_71:
	s_cbranch_execz .LBB63_73
	s_branch .LBB63_74
.LBB63_72:
                                        ; implicit-def: $vgpr4_vgpr5
.LBB63_73:
	v_div_scale_f64 v[4:5], null, v[0:1], v[0:1], v[2:3]
	v_div_scale_f64 v[12:13], vcc_lo, v[2:3], v[0:1], v[2:3]
	s_delay_alu instid0(VALU_DEP_2) | instskip(SKIP_2) | instid1(VALU_DEP_1)
	v_rcp_f64_e32 v[8:9], v[4:5]
	s_waitcnt_depctr 0xfff
	v_fma_f64 v[10:11], -v[4:5], v[8:9], 1.0
	v_fma_f64 v[8:9], v[8:9], v[10:11], v[8:9]
	s_delay_alu instid0(VALU_DEP_1) | instskip(NEXT) | instid1(VALU_DEP_1)
	v_fma_f64 v[10:11], -v[4:5], v[8:9], 1.0
	v_fma_f64 v[8:9], v[8:9], v[10:11], v[8:9]
	s_delay_alu instid0(VALU_DEP_1) | instskip(NEXT) | instid1(VALU_DEP_1)
	v_mul_f64 v[10:11], v[12:13], v[8:9]
	v_fma_f64 v[4:5], -v[4:5], v[10:11], v[12:13]
	s_delay_alu instid0(VALU_DEP_1) | instskip(NEXT) | instid1(VALU_DEP_1)
	v_div_fmas_f64 v[4:5], v[4:5], v[8:9], v[10:11]
	v_div_fixup_f64 v[2:3], v[4:5], v[0:1], v[2:3]
	s_delay_alu instid0(VALU_DEP_1) | instskip(NEXT) | instid1(VALU_DEP_1)
	v_fma_f64 v[2:3], v[2:3], v[2:3], 1.0
	v_cmp_gt_f64_e32 vcc_lo, 0x10000000, v[2:3]
	v_cndmask_b32_e64 v4, 0, 1, vcc_lo
	s_and_b32 s1, vcc_lo, exec_lo
	s_cselect_b32 s1, 0xffffff80, 0
	s_delay_alu instid0(VALU_DEP_1) | instskip(NEXT) | instid1(VALU_DEP_1)
	v_lshlrev_b32_e32 v4, 8, v4
	v_ldexp_f64 v[2:3], v[2:3], v4
	s_delay_alu instid0(VALU_DEP_1) | instskip(SKIP_4) | instid1(VALU_DEP_1)
	v_rsq_f64_e32 v[4:5], v[2:3]
	v_cmp_class_f64_e64 vcc_lo, v[2:3], 0x260
	s_waitcnt_depctr 0xfff
	v_mul_f64 v[8:9], v[2:3], v[4:5]
	v_mul_f64 v[4:5], v[4:5], 0.5
	v_fma_f64 v[10:11], -v[4:5], v[8:9], 0.5
	s_delay_alu instid0(VALU_DEP_1) | instskip(SKIP_1) | instid1(VALU_DEP_2)
	v_fma_f64 v[8:9], v[8:9], v[10:11], v[8:9]
	v_fma_f64 v[4:5], v[4:5], v[10:11], v[4:5]
	v_fma_f64 v[10:11], -v[8:9], v[8:9], v[2:3]
	s_delay_alu instid0(VALU_DEP_1) | instskip(NEXT) | instid1(VALU_DEP_1)
	v_fma_f64 v[8:9], v[10:11], v[4:5], v[8:9]
	v_fma_f64 v[10:11], -v[8:9], v[8:9], v[2:3]
	s_delay_alu instid0(VALU_DEP_1) | instskip(NEXT) | instid1(VALU_DEP_1)
	v_fma_f64 v[4:5], v[10:11], v[4:5], v[8:9]
	v_ldexp_f64 v[4:5], v[4:5], s1
	s_delay_alu instid0(VALU_DEP_1) | instskip(NEXT) | instid1(VALU_DEP_1)
	v_dual_cndmask_b32 v3, v5, v3 :: v_dual_cndmask_b32 v2, v4, v2
	v_mul_f64 v[4:5], v[0:1], v[2:3]
.LBB63_74:
	s_delay_alu instid0(VALU_DEP_1) | instskip(SKIP_3) | instid1(VALU_DEP_1)
	v_cmp_gt_f64_e32 vcc_lo, 0x10000000, v[4:5]
	v_cndmask_b32_e64 v0, 0, 1, vcc_lo
	s_and_b32 s1, vcc_lo, exec_lo
	s_cselect_b32 s1, 0xffffff80, 0
	v_lshlrev_b32_e32 v0, 8, v0
	s_delay_alu instid0(VALU_DEP_1) | instskip(NEXT) | instid1(VALU_DEP_1)
	v_ldexp_f64 v[0:1], v[4:5], v0
	v_rsq_f64_e32 v[2:3], v[0:1]
	v_cmp_class_f64_e64 vcc_lo, v[0:1], 0x260
	s_waitcnt_depctr 0xfff
	v_mul_f64 v[4:5], v[0:1], v[2:3]
	v_mul_f64 v[2:3], v[2:3], 0.5
	s_delay_alu instid0(VALU_DEP_1) | instskip(NEXT) | instid1(VALU_DEP_1)
	v_fma_f64 v[8:9], -v[2:3], v[4:5], 0.5
	v_fma_f64 v[4:5], v[4:5], v[8:9], v[4:5]
	v_fma_f64 v[2:3], v[2:3], v[8:9], v[2:3]
	s_delay_alu instid0(VALU_DEP_2) | instskip(NEXT) | instid1(VALU_DEP_1)
	v_fma_f64 v[8:9], -v[4:5], v[4:5], v[0:1]
	v_fma_f64 v[4:5], v[8:9], v[2:3], v[4:5]
	s_delay_alu instid0(VALU_DEP_1) | instskip(NEXT) | instid1(VALU_DEP_1)
	v_fma_f64 v[8:9], -v[4:5], v[4:5], v[0:1]
	v_fma_f64 v[2:3], v[8:9], v[2:3], v[4:5]
	s_delay_alu instid0(VALU_DEP_1) | instskip(NEXT) | instid1(VALU_DEP_1)
	v_ldexp_f64 v[3:4], v[2:3], s1
	v_dual_mov_b32 v2, 0 :: v_dual_cndmask_b32 v1, v4, v1
	s_delay_alu instid0(VALU_DEP_1)
	v_dual_cndmask_b32 v0, v3, v0 :: v_dual_mov_b32 v3, v2
	ds_store_b128 v2, v[0:3] offset:1072
.LBB63_75:
	s_or_b32 exec_lo, exec_lo, s4
	v_mov_b32_e32 v0, 0
	s_waitcnt lgkmcnt(0)
	buffer_gl0_inv
	ds_load_b128 v[0:3], v0 offset:1072
	s_waitcnt lgkmcnt(0)
	v_cmp_neq_f64_e32 vcc_lo, 0, v[0:1]
	v_cmp_neq_f64_e64 s1, 0, v[2:3]
	s_delay_alu instid0(VALU_DEP_1) | instskip(SKIP_4) | instid1(SALU_CYCLE_1)
	s_or_b32 vcc_lo, vcc_lo, s1
	v_cndmask_b32_e32 v1, 0x3ff00000, v1, vcc_lo
	v_dual_cndmask_b32 v0, 0, v0 :: v_dual_cndmask_b32 v3, 0, v3
	v_cndmask_b32_e32 v2, 0, v2, vcc_lo
	s_or_b32 s1, vcc_lo, s0
	s_xor_b32 s4, s1, -1
	s_delay_alu instid0(SALU_CYCLE_1)
	s_and_saveexec_b32 s1, s4
	s_cbranch_execz .LBB63_79
; %bb.76:
	v_mbcnt_lo_u32_b32 v0, exec_lo, 0
	s_mov_b32 s4, exec_lo
	s_delay_alu instid0(VALU_DEP_1)
	v_cmpx_eq_u32_e32 0, v0
	s_cbranch_execz .LBB63_78
; %bb.77:
	v_dual_mov_b32 v0, 0 :: v_dual_mov_b32 v1, s2
	global_atomic_min_i32 v0, v1, s[10:11]
.LBB63_78:
	s_or_b32 exec_lo, exec_lo, s4
	v_mov_b32_e32 v0, 0
	v_dual_mov_b32 v1, 0x3ff00000 :: v_dual_mov_b32 v2, 0
	v_mov_b32_e32 v3, 0
.LBB63_79:
	s_or_b32 exec_lo, exec_lo, s1
	s_delay_alu instid0(SALU_CYCLE_1)
	s_mov_b32 s1, exec_lo
	v_cmpx_lt_u32_e32 1, v15
	s_cbranch_execz .LBB63_81
; %bb.80:
	v_mul_f64 v[4:5], v[2:3], v[2:3]
	v_mul_u32_u24_e32 v29, 0x60, v15
	s_delay_alu instid0(VALU_DEP_2) | instskip(NEXT) | instid1(VALU_DEP_1)
	v_fma_f64 v[4:5], v[0:1], v[0:1], v[4:5]
	v_div_scale_f64 v[12:13], null, v[4:5], v[4:5], 1.0
	v_div_scale_f64 v[23:24], vcc_lo, 1.0, v[4:5], 1.0
	s_delay_alu instid0(VALU_DEP_2) | instskip(SKIP_2) | instid1(VALU_DEP_1)
	v_rcp_f64_e32 v[8:9], v[12:13]
	s_waitcnt_depctr 0xfff
	v_fma_f64 v[10:11], -v[12:13], v[8:9], 1.0
	v_fma_f64 v[8:9], v[8:9], v[10:11], v[8:9]
	s_delay_alu instid0(VALU_DEP_1) | instskip(NEXT) | instid1(VALU_DEP_1)
	v_fma_f64 v[10:11], -v[12:13], v[8:9], 1.0
	v_fma_f64 v[25:26], v[8:9], v[10:11], v[8:9]
	ds_load_b128 v[8:11], v29 offset:976
	ds_load_b128 v[19:22], v29 offset:1456
	s_waitcnt lgkmcnt(0)
	v_add_f64 v[10:11], v[10:11], -v[21:22]
	v_add_f64 v[8:9], v[8:9], -v[19:20]
	v_mul_f64 v[27:28], v[23:24], v[25:26]
	s_delay_alu instid0(VALU_DEP_3) | instskip(NEXT) | instid1(VALU_DEP_3)
	v_mul_f64 v[19:20], v[2:3], v[10:11]
	v_mul_f64 v[2:3], v[2:3], -v[8:9]
	s_delay_alu instid0(VALU_DEP_3) | instskip(NEXT) | instid1(VALU_DEP_3)
	v_fma_f64 v[12:13], -v[12:13], v[27:28], v[23:24]
	v_fma_f64 v[8:9], v[8:9], v[0:1], v[19:20]
	s_delay_alu instid0(VALU_DEP_3) | instskip(NEXT) | instid1(VALU_DEP_3)
	v_fma_f64 v[2:3], v[10:11], v[0:1], v[2:3]
	v_div_fmas_f64 v[12:13], v[12:13], v[25:26], v[27:28]
	s_delay_alu instid0(VALU_DEP_1) | instskip(NEXT) | instid1(VALU_DEP_1)
	v_div_fixup_f64 v[4:5], v[12:13], v[4:5], 1.0
	v_mul_f64 v[0:1], v[4:5], v[8:9]
	s_delay_alu instid0(VALU_DEP_4)
	v_mul_f64 v[2:3], v[4:5], v[2:3]
	v_mul_u32_u24_e32 v4, 0x60, v14
	ds_store_b128 v29, v[0:3] offset:976
	s_waitcnt lgkmcnt(0)
	s_waitcnt_vscnt null, 0x0
	buffer_gl0_inv
	ds_load_b128 v[8:11], v4 offset:976
	ds_load_b128 v[19:22], v18
	s_waitcnt lgkmcnt(0)
	v_fma_f64 v[4:5], v[0:1], v[8:9], v[19:20]
	v_fma_f64 v[8:9], v[2:3], v[8:9], v[21:22]
	s_delay_alu instid0(VALU_DEP_2) | instskip(NEXT) | instid1(VALU_DEP_2)
	v_fma_f64 v[2:3], v[2:3], v[10:11], v[4:5]
	v_fma_f64 v[4:5], v[0:1], -v[10:11], v[8:9]
	ds_store_b128 v18, v[2:5]
.LBB63_81:
	s_or_b32 exec_lo, exec_lo, s1
	s_delay_alu instid0(SALU_CYCLE_1)
	s_mov_b32 s4, exec_lo
	s_waitcnt lgkmcnt(0)
	s_waitcnt_vscnt null, 0x0
	buffer_gl0_inv
	v_cmpx_eq_u32_e32 2, v15
	s_cbranch_execz .LBB63_89
; %bb.82:
	v_mov_b32_e32 v4, 0
	ds_load_b128 v[0:3], v4 offset:1664
	ds_load_b128 v[8:11], v4 offset:1184
	s_waitcnt lgkmcnt(0)
	v_add_f64 v[0:1], v[8:9], -v[0:1]
	v_add_f64 v[4:5], v[10:11], -v[2:3]
	s_delay_alu instid0(VALU_DEP_2) | instskip(NEXT) | instid1(VALU_DEP_2)
	v_cmp_gt_f64_e32 vcc_lo, 0, v[0:1]
	v_cmp_gt_f64_e64 s1, 0, v[4:5]
	v_xor_b32_e32 v2, 0x80000000, v1
	v_xor_b32_e32 v3, 0x80000000, v5
	s_delay_alu instid0(VALU_DEP_2) | instskip(NEXT) | instid1(VALU_DEP_2)
	v_cndmask_b32_e32 v1, v1, v2, vcc_lo
	v_cndmask_b32_e64 v3, v5, v3, s1
	v_cndmask_b32_e32 v0, v0, v0, vcc_lo
	v_cndmask_b32_e64 v2, v4, v4, s1
	s_delay_alu instid0(VALU_DEP_1)
	v_cmp_gt_f64_e32 vcc_lo, v[0:1], v[2:3]
	s_cbranch_vccnz .LBB63_86
; %bb.83:
	v_cmp_eq_f64_e32 vcc_lo, 0, v[4:5]
	v_mov_b32_e32 v4, 0
	v_mov_b32_e32 v5, 0
	s_cbranch_vccnz .LBB63_85
; %bb.84:
	v_div_scale_f64 v[4:5], null, v[2:3], v[2:3], v[0:1]
	v_div_scale_f64 v[12:13], vcc_lo, v[0:1], v[2:3], v[0:1]
	s_delay_alu instid0(VALU_DEP_2) | instskip(SKIP_2) | instid1(VALU_DEP_1)
	v_rcp_f64_e32 v[8:9], v[4:5]
	s_waitcnt_depctr 0xfff
	v_fma_f64 v[10:11], -v[4:5], v[8:9], 1.0
	v_fma_f64 v[8:9], v[8:9], v[10:11], v[8:9]
	s_delay_alu instid0(VALU_DEP_1) | instskip(NEXT) | instid1(VALU_DEP_1)
	v_fma_f64 v[10:11], -v[4:5], v[8:9], 1.0
	v_fma_f64 v[8:9], v[8:9], v[10:11], v[8:9]
	s_delay_alu instid0(VALU_DEP_1) | instskip(NEXT) | instid1(VALU_DEP_1)
	v_mul_f64 v[10:11], v[12:13], v[8:9]
	v_fma_f64 v[4:5], -v[4:5], v[10:11], v[12:13]
	s_delay_alu instid0(VALU_DEP_1) | instskip(NEXT) | instid1(VALU_DEP_1)
	v_div_fmas_f64 v[4:5], v[4:5], v[8:9], v[10:11]
	v_div_fixup_f64 v[4:5], v[4:5], v[2:3], v[0:1]
	s_delay_alu instid0(VALU_DEP_1) | instskip(NEXT) | instid1(VALU_DEP_1)
	v_fma_f64 v[4:5], v[4:5], v[4:5], 1.0
	v_cmp_gt_f64_e32 vcc_lo, 0x10000000, v[4:5]
	v_cndmask_b32_e64 v8, 0, 1, vcc_lo
	s_and_b32 s1, vcc_lo, exec_lo
	s_cselect_b32 s1, 0xffffff80, 0
	s_delay_alu instid0(VALU_DEP_1) | instskip(NEXT) | instid1(VALU_DEP_1)
	v_lshlrev_b32_e32 v8, 8, v8
	v_ldexp_f64 v[4:5], v[4:5], v8
	s_delay_alu instid0(VALU_DEP_1) | instskip(SKIP_4) | instid1(VALU_DEP_1)
	v_rsq_f64_e32 v[8:9], v[4:5]
	v_cmp_class_f64_e64 vcc_lo, v[4:5], 0x260
	s_waitcnt_depctr 0xfff
	v_mul_f64 v[10:11], v[4:5], v[8:9]
	v_mul_f64 v[8:9], v[8:9], 0.5
	v_fma_f64 v[12:13], -v[8:9], v[10:11], 0.5
	s_delay_alu instid0(VALU_DEP_1) | instskip(SKIP_1) | instid1(VALU_DEP_2)
	v_fma_f64 v[10:11], v[10:11], v[12:13], v[10:11]
	v_fma_f64 v[8:9], v[8:9], v[12:13], v[8:9]
	v_fma_f64 v[12:13], -v[10:11], v[10:11], v[4:5]
	s_delay_alu instid0(VALU_DEP_1) | instskip(NEXT) | instid1(VALU_DEP_1)
	v_fma_f64 v[10:11], v[12:13], v[8:9], v[10:11]
	v_fma_f64 v[12:13], -v[10:11], v[10:11], v[4:5]
	s_delay_alu instid0(VALU_DEP_1) | instskip(NEXT) | instid1(VALU_DEP_1)
	v_fma_f64 v[8:9], v[12:13], v[8:9], v[10:11]
	v_ldexp_f64 v[8:9], v[8:9], s1
	s_delay_alu instid0(VALU_DEP_1) | instskip(NEXT) | instid1(VALU_DEP_1)
	v_dual_cndmask_b32 v5, v9, v5 :: v_dual_cndmask_b32 v4, v8, v4
	v_mul_f64 v[4:5], v[2:3], v[4:5]
.LBB63_85:
	s_cbranch_execz .LBB63_87
	s_branch .LBB63_88
.LBB63_86:
                                        ; implicit-def: $vgpr4_vgpr5
.LBB63_87:
	v_div_scale_f64 v[4:5], null, v[0:1], v[0:1], v[2:3]
	v_div_scale_f64 v[12:13], vcc_lo, v[2:3], v[0:1], v[2:3]
	s_delay_alu instid0(VALU_DEP_2) | instskip(SKIP_2) | instid1(VALU_DEP_1)
	v_rcp_f64_e32 v[8:9], v[4:5]
	s_waitcnt_depctr 0xfff
	v_fma_f64 v[10:11], -v[4:5], v[8:9], 1.0
	v_fma_f64 v[8:9], v[8:9], v[10:11], v[8:9]
	s_delay_alu instid0(VALU_DEP_1) | instskip(NEXT) | instid1(VALU_DEP_1)
	v_fma_f64 v[10:11], -v[4:5], v[8:9], 1.0
	v_fma_f64 v[8:9], v[8:9], v[10:11], v[8:9]
	s_delay_alu instid0(VALU_DEP_1) | instskip(NEXT) | instid1(VALU_DEP_1)
	v_mul_f64 v[10:11], v[12:13], v[8:9]
	v_fma_f64 v[4:5], -v[4:5], v[10:11], v[12:13]
	s_delay_alu instid0(VALU_DEP_1) | instskip(NEXT) | instid1(VALU_DEP_1)
	v_div_fmas_f64 v[4:5], v[4:5], v[8:9], v[10:11]
	v_div_fixup_f64 v[2:3], v[4:5], v[0:1], v[2:3]
	s_delay_alu instid0(VALU_DEP_1) | instskip(NEXT) | instid1(VALU_DEP_1)
	v_fma_f64 v[2:3], v[2:3], v[2:3], 1.0
	v_cmp_gt_f64_e32 vcc_lo, 0x10000000, v[2:3]
	v_cndmask_b32_e64 v4, 0, 1, vcc_lo
	s_and_b32 s1, vcc_lo, exec_lo
	s_cselect_b32 s1, 0xffffff80, 0
	s_delay_alu instid0(VALU_DEP_1) | instskip(NEXT) | instid1(VALU_DEP_1)
	v_lshlrev_b32_e32 v4, 8, v4
	v_ldexp_f64 v[2:3], v[2:3], v4
	s_delay_alu instid0(VALU_DEP_1) | instskip(SKIP_4) | instid1(VALU_DEP_1)
	v_rsq_f64_e32 v[4:5], v[2:3]
	v_cmp_class_f64_e64 vcc_lo, v[2:3], 0x260
	s_waitcnt_depctr 0xfff
	v_mul_f64 v[8:9], v[2:3], v[4:5]
	v_mul_f64 v[4:5], v[4:5], 0.5
	v_fma_f64 v[10:11], -v[4:5], v[8:9], 0.5
	s_delay_alu instid0(VALU_DEP_1) | instskip(SKIP_1) | instid1(VALU_DEP_2)
	v_fma_f64 v[8:9], v[8:9], v[10:11], v[8:9]
	v_fma_f64 v[4:5], v[4:5], v[10:11], v[4:5]
	v_fma_f64 v[10:11], -v[8:9], v[8:9], v[2:3]
	s_delay_alu instid0(VALU_DEP_1) | instskip(NEXT) | instid1(VALU_DEP_1)
	v_fma_f64 v[8:9], v[10:11], v[4:5], v[8:9]
	v_fma_f64 v[10:11], -v[8:9], v[8:9], v[2:3]
	s_delay_alu instid0(VALU_DEP_1) | instskip(NEXT) | instid1(VALU_DEP_1)
	v_fma_f64 v[4:5], v[10:11], v[4:5], v[8:9]
	v_ldexp_f64 v[4:5], v[4:5], s1
	s_delay_alu instid0(VALU_DEP_1) | instskip(NEXT) | instid1(VALU_DEP_1)
	v_dual_cndmask_b32 v3, v5, v3 :: v_dual_cndmask_b32 v2, v4, v2
	v_mul_f64 v[4:5], v[0:1], v[2:3]
.LBB63_88:
	s_delay_alu instid0(VALU_DEP_1) | instskip(SKIP_3) | instid1(VALU_DEP_1)
	v_cmp_gt_f64_e32 vcc_lo, 0x10000000, v[4:5]
	v_cndmask_b32_e64 v0, 0, 1, vcc_lo
	s_and_b32 s1, vcc_lo, exec_lo
	s_cselect_b32 s1, 0xffffff80, 0
	v_lshlrev_b32_e32 v0, 8, v0
	s_delay_alu instid0(VALU_DEP_1) | instskip(NEXT) | instid1(VALU_DEP_1)
	v_ldexp_f64 v[0:1], v[4:5], v0
	v_rsq_f64_e32 v[2:3], v[0:1]
	v_cmp_class_f64_e64 vcc_lo, v[0:1], 0x260
	s_waitcnt_depctr 0xfff
	v_mul_f64 v[4:5], v[0:1], v[2:3]
	v_mul_f64 v[2:3], v[2:3], 0.5
	s_delay_alu instid0(VALU_DEP_1) | instskip(NEXT) | instid1(VALU_DEP_1)
	v_fma_f64 v[8:9], -v[2:3], v[4:5], 0.5
	v_fma_f64 v[4:5], v[4:5], v[8:9], v[4:5]
	v_fma_f64 v[2:3], v[2:3], v[8:9], v[2:3]
	s_delay_alu instid0(VALU_DEP_2) | instskip(NEXT) | instid1(VALU_DEP_1)
	v_fma_f64 v[8:9], -v[4:5], v[4:5], v[0:1]
	v_fma_f64 v[4:5], v[8:9], v[2:3], v[4:5]
	s_delay_alu instid0(VALU_DEP_1) | instskip(NEXT) | instid1(VALU_DEP_1)
	v_fma_f64 v[8:9], -v[4:5], v[4:5], v[0:1]
	v_fma_f64 v[2:3], v[8:9], v[2:3], v[4:5]
	s_delay_alu instid0(VALU_DEP_1) | instskip(NEXT) | instid1(VALU_DEP_1)
	v_ldexp_f64 v[3:4], v[2:3], s1
	v_dual_mov_b32 v2, 0 :: v_dual_cndmask_b32 v1, v4, v1
	s_delay_alu instid0(VALU_DEP_1)
	v_dual_cndmask_b32 v0, v3, v0 :: v_dual_mov_b32 v3, v2
	ds_store_b128 v2, v[0:3] offset:1184
.LBB63_89:
	s_or_b32 exec_lo, exec_lo, s4
	v_mov_b32_e32 v0, 0
	s_waitcnt lgkmcnt(0)
	buffer_gl0_inv
	ds_load_b128 v[0:3], v0 offset:1184
	s_waitcnt lgkmcnt(0)
	v_cmp_neq_f64_e32 vcc_lo, 0, v[0:1]
	v_cmp_neq_f64_e64 s1, 0, v[2:3]
	s_delay_alu instid0(VALU_DEP_1) | instskip(SKIP_4) | instid1(SALU_CYCLE_1)
	s_or_b32 vcc_lo, vcc_lo, s1
	v_cndmask_b32_e32 v1, 0x3ff00000, v1, vcc_lo
	v_dual_cndmask_b32 v0, 0, v0 :: v_dual_cndmask_b32 v3, 0, v3
	v_cndmask_b32_e32 v2, 0, v2, vcc_lo
	s_or_b32 s1, vcc_lo, s0
	s_xor_b32 s4, s1, -1
	s_delay_alu instid0(SALU_CYCLE_1)
	s_and_saveexec_b32 s1, s4
	s_cbranch_execz .LBB63_93
; %bb.90:
	v_mbcnt_lo_u32_b32 v0, exec_lo, 0
	s_mov_b32 s4, exec_lo
	s_delay_alu instid0(VALU_DEP_1)
	v_cmpx_eq_u32_e32 0, v0
	s_cbranch_execz .LBB63_92
; %bb.91:
	v_dual_mov_b32 v0, 0 :: v_dual_mov_b32 v1, s2
	global_atomic_min_i32 v0, v1, s[10:11]
.LBB63_92:
	s_or_b32 exec_lo, exec_lo, s4
	v_mov_b32_e32 v0, 0
	v_dual_mov_b32 v1, 0x3ff00000 :: v_dual_mov_b32 v2, 0
	v_mov_b32_e32 v3, 0
.LBB63_93:
	s_or_b32 exec_lo, exec_lo, s1
	s_delay_alu instid0(SALU_CYCLE_1)
	s_mov_b32 s1, exec_lo
	v_cmpx_lt_u32_e32 2, v15
	s_cbranch_execz .LBB63_95
; %bb.94:
	v_mul_f64 v[4:5], v[2:3], v[2:3]
	v_mul_u32_u24_e32 v29, 0x60, v15
	s_delay_alu instid0(VALU_DEP_2) | instskip(NEXT) | instid1(VALU_DEP_1)
	v_fma_f64 v[4:5], v[0:1], v[0:1], v[4:5]
	v_div_scale_f64 v[12:13], null, v[4:5], v[4:5], 1.0
	v_div_scale_f64 v[23:24], vcc_lo, 1.0, v[4:5], 1.0
	s_delay_alu instid0(VALU_DEP_2) | instskip(SKIP_2) | instid1(VALU_DEP_1)
	v_rcp_f64_e32 v[8:9], v[12:13]
	s_waitcnt_depctr 0xfff
	v_fma_f64 v[10:11], -v[12:13], v[8:9], 1.0
	v_fma_f64 v[8:9], v[8:9], v[10:11], v[8:9]
	s_delay_alu instid0(VALU_DEP_1) | instskip(NEXT) | instid1(VALU_DEP_1)
	v_fma_f64 v[10:11], -v[12:13], v[8:9], 1.0
	v_fma_f64 v[25:26], v[8:9], v[10:11], v[8:9]
	ds_load_b128 v[8:11], v29 offset:992
	ds_load_b128 v[19:22], v29 offset:1472
	s_waitcnt lgkmcnt(0)
	v_add_f64 v[10:11], v[10:11], -v[21:22]
	v_add_f64 v[8:9], v[8:9], -v[19:20]
	v_mul_f64 v[27:28], v[23:24], v[25:26]
	s_delay_alu instid0(VALU_DEP_3) | instskip(NEXT) | instid1(VALU_DEP_3)
	v_mul_f64 v[19:20], v[2:3], v[10:11]
	v_mul_f64 v[2:3], v[2:3], -v[8:9]
	s_delay_alu instid0(VALU_DEP_3) | instskip(NEXT) | instid1(VALU_DEP_3)
	v_fma_f64 v[12:13], -v[12:13], v[27:28], v[23:24]
	v_fma_f64 v[8:9], v[8:9], v[0:1], v[19:20]
	s_delay_alu instid0(VALU_DEP_3) | instskip(NEXT) | instid1(VALU_DEP_3)
	v_fma_f64 v[2:3], v[10:11], v[0:1], v[2:3]
	v_div_fmas_f64 v[12:13], v[12:13], v[25:26], v[27:28]
	s_delay_alu instid0(VALU_DEP_1) | instskip(NEXT) | instid1(VALU_DEP_1)
	v_div_fixup_f64 v[4:5], v[12:13], v[4:5], 1.0
	v_mul_f64 v[0:1], v[4:5], v[8:9]
	s_delay_alu instid0(VALU_DEP_4)
	v_mul_f64 v[2:3], v[4:5], v[2:3]
	v_mul_u32_u24_e32 v4, 0x60, v14
	ds_store_b128 v29, v[0:3] offset:992
	s_waitcnt lgkmcnt(0)
	s_waitcnt_vscnt null, 0x0
	buffer_gl0_inv
	ds_load_b128 v[8:11], v4 offset:992
	ds_load_b128 v[19:22], v18
	s_waitcnt lgkmcnt(0)
	v_fma_f64 v[4:5], v[0:1], v[8:9], v[19:20]
	v_fma_f64 v[8:9], v[2:3], v[8:9], v[21:22]
	s_delay_alu instid0(VALU_DEP_2) | instskip(NEXT) | instid1(VALU_DEP_2)
	v_fma_f64 v[2:3], v[2:3], v[10:11], v[4:5]
	v_fma_f64 v[4:5], v[0:1], -v[10:11], v[8:9]
	ds_store_b128 v18, v[2:5]
.LBB63_95:
	s_or_b32 exec_lo, exec_lo, s1
	s_delay_alu instid0(SALU_CYCLE_1)
	s_mov_b32 s4, exec_lo
	s_waitcnt lgkmcnt(0)
	s_waitcnt_vscnt null, 0x0
	buffer_gl0_inv
	v_cmpx_eq_u32_e32 3, v15
	s_cbranch_execz .LBB63_103
; %bb.96:
	v_mov_b32_e32 v4, 0
	ds_load_b128 v[0:3], v4 offset:1776
	ds_load_b128 v[8:11], v4 offset:1296
	s_waitcnt lgkmcnt(0)
	v_add_f64 v[0:1], v[8:9], -v[0:1]
	v_add_f64 v[4:5], v[10:11], -v[2:3]
	s_delay_alu instid0(VALU_DEP_2) | instskip(NEXT) | instid1(VALU_DEP_2)
	v_cmp_gt_f64_e32 vcc_lo, 0, v[0:1]
	v_cmp_gt_f64_e64 s1, 0, v[4:5]
	v_xor_b32_e32 v2, 0x80000000, v1
	v_xor_b32_e32 v3, 0x80000000, v5
	s_delay_alu instid0(VALU_DEP_2) | instskip(NEXT) | instid1(VALU_DEP_2)
	v_cndmask_b32_e32 v1, v1, v2, vcc_lo
	v_cndmask_b32_e64 v3, v5, v3, s1
	v_cndmask_b32_e32 v0, v0, v0, vcc_lo
	v_cndmask_b32_e64 v2, v4, v4, s1
	s_delay_alu instid0(VALU_DEP_1)
	v_cmp_gt_f64_e32 vcc_lo, v[0:1], v[2:3]
	s_cbranch_vccnz .LBB63_100
; %bb.97:
	v_cmp_eq_f64_e32 vcc_lo, 0, v[4:5]
	v_mov_b32_e32 v4, 0
	v_mov_b32_e32 v5, 0
	s_cbranch_vccnz .LBB63_99
; %bb.98:
	v_div_scale_f64 v[4:5], null, v[2:3], v[2:3], v[0:1]
	v_div_scale_f64 v[12:13], vcc_lo, v[0:1], v[2:3], v[0:1]
	s_delay_alu instid0(VALU_DEP_2) | instskip(SKIP_2) | instid1(VALU_DEP_1)
	v_rcp_f64_e32 v[8:9], v[4:5]
	s_waitcnt_depctr 0xfff
	v_fma_f64 v[10:11], -v[4:5], v[8:9], 1.0
	v_fma_f64 v[8:9], v[8:9], v[10:11], v[8:9]
	s_delay_alu instid0(VALU_DEP_1) | instskip(NEXT) | instid1(VALU_DEP_1)
	v_fma_f64 v[10:11], -v[4:5], v[8:9], 1.0
	v_fma_f64 v[8:9], v[8:9], v[10:11], v[8:9]
	s_delay_alu instid0(VALU_DEP_1) | instskip(NEXT) | instid1(VALU_DEP_1)
	v_mul_f64 v[10:11], v[12:13], v[8:9]
	v_fma_f64 v[4:5], -v[4:5], v[10:11], v[12:13]
	s_delay_alu instid0(VALU_DEP_1) | instskip(NEXT) | instid1(VALU_DEP_1)
	v_div_fmas_f64 v[4:5], v[4:5], v[8:9], v[10:11]
	v_div_fixup_f64 v[4:5], v[4:5], v[2:3], v[0:1]
	s_delay_alu instid0(VALU_DEP_1) | instskip(NEXT) | instid1(VALU_DEP_1)
	v_fma_f64 v[4:5], v[4:5], v[4:5], 1.0
	v_cmp_gt_f64_e32 vcc_lo, 0x10000000, v[4:5]
	v_cndmask_b32_e64 v8, 0, 1, vcc_lo
	s_and_b32 s1, vcc_lo, exec_lo
	s_cselect_b32 s1, 0xffffff80, 0
	s_delay_alu instid0(VALU_DEP_1) | instskip(NEXT) | instid1(VALU_DEP_1)
	v_lshlrev_b32_e32 v8, 8, v8
	v_ldexp_f64 v[4:5], v[4:5], v8
	s_delay_alu instid0(VALU_DEP_1) | instskip(SKIP_4) | instid1(VALU_DEP_1)
	v_rsq_f64_e32 v[8:9], v[4:5]
	v_cmp_class_f64_e64 vcc_lo, v[4:5], 0x260
	s_waitcnt_depctr 0xfff
	v_mul_f64 v[10:11], v[4:5], v[8:9]
	v_mul_f64 v[8:9], v[8:9], 0.5
	v_fma_f64 v[12:13], -v[8:9], v[10:11], 0.5
	s_delay_alu instid0(VALU_DEP_1) | instskip(SKIP_1) | instid1(VALU_DEP_2)
	v_fma_f64 v[10:11], v[10:11], v[12:13], v[10:11]
	v_fma_f64 v[8:9], v[8:9], v[12:13], v[8:9]
	v_fma_f64 v[12:13], -v[10:11], v[10:11], v[4:5]
	s_delay_alu instid0(VALU_DEP_1) | instskip(NEXT) | instid1(VALU_DEP_1)
	v_fma_f64 v[10:11], v[12:13], v[8:9], v[10:11]
	v_fma_f64 v[12:13], -v[10:11], v[10:11], v[4:5]
	s_delay_alu instid0(VALU_DEP_1) | instskip(NEXT) | instid1(VALU_DEP_1)
	v_fma_f64 v[8:9], v[12:13], v[8:9], v[10:11]
	v_ldexp_f64 v[8:9], v[8:9], s1
	s_delay_alu instid0(VALU_DEP_1) | instskip(NEXT) | instid1(VALU_DEP_1)
	v_dual_cndmask_b32 v5, v9, v5 :: v_dual_cndmask_b32 v4, v8, v4
	v_mul_f64 v[4:5], v[2:3], v[4:5]
.LBB63_99:
	s_cbranch_execz .LBB63_101
	s_branch .LBB63_102
.LBB63_100:
                                        ; implicit-def: $vgpr4_vgpr5
.LBB63_101:
	v_div_scale_f64 v[4:5], null, v[0:1], v[0:1], v[2:3]
	v_div_scale_f64 v[12:13], vcc_lo, v[2:3], v[0:1], v[2:3]
	s_delay_alu instid0(VALU_DEP_2) | instskip(SKIP_2) | instid1(VALU_DEP_1)
	v_rcp_f64_e32 v[8:9], v[4:5]
	s_waitcnt_depctr 0xfff
	v_fma_f64 v[10:11], -v[4:5], v[8:9], 1.0
	v_fma_f64 v[8:9], v[8:9], v[10:11], v[8:9]
	s_delay_alu instid0(VALU_DEP_1) | instskip(NEXT) | instid1(VALU_DEP_1)
	v_fma_f64 v[10:11], -v[4:5], v[8:9], 1.0
	v_fma_f64 v[8:9], v[8:9], v[10:11], v[8:9]
	s_delay_alu instid0(VALU_DEP_1) | instskip(NEXT) | instid1(VALU_DEP_1)
	v_mul_f64 v[10:11], v[12:13], v[8:9]
	v_fma_f64 v[4:5], -v[4:5], v[10:11], v[12:13]
	s_delay_alu instid0(VALU_DEP_1) | instskip(NEXT) | instid1(VALU_DEP_1)
	v_div_fmas_f64 v[4:5], v[4:5], v[8:9], v[10:11]
	v_div_fixup_f64 v[2:3], v[4:5], v[0:1], v[2:3]
	s_delay_alu instid0(VALU_DEP_1) | instskip(NEXT) | instid1(VALU_DEP_1)
	v_fma_f64 v[2:3], v[2:3], v[2:3], 1.0
	v_cmp_gt_f64_e32 vcc_lo, 0x10000000, v[2:3]
	v_cndmask_b32_e64 v4, 0, 1, vcc_lo
	s_and_b32 s1, vcc_lo, exec_lo
	s_cselect_b32 s1, 0xffffff80, 0
	s_delay_alu instid0(VALU_DEP_1) | instskip(NEXT) | instid1(VALU_DEP_1)
	v_lshlrev_b32_e32 v4, 8, v4
	v_ldexp_f64 v[2:3], v[2:3], v4
	s_delay_alu instid0(VALU_DEP_1) | instskip(SKIP_4) | instid1(VALU_DEP_1)
	v_rsq_f64_e32 v[4:5], v[2:3]
	v_cmp_class_f64_e64 vcc_lo, v[2:3], 0x260
	s_waitcnt_depctr 0xfff
	v_mul_f64 v[8:9], v[2:3], v[4:5]
	v_mul_f64 v[4:5], v[4:5], 0.5
	v_fma_f64 v[10:11], -v[4:5], v[8:9], 0.5
	s_delay_alu instid0(VALU_DEP_1) | instskip(SKIP_1) | instid1(VALU_DEP_2)
	v_fma_f64 v[8:9], v[8:9], v[10:11], v[8:9]
	v_fma_f64 v[4:5], v[4:5], v[10:11], v[4:5]
	v_fma_f64 v[10:11], -v[8:9], v[8:9], v[2:3]
	s_delay_alu instid0(VALU_DEP_1) | instskip(NEXT) | instid1(VALU_DEP_1)
	v_fma_f64 v[8:9], v[10:11], v[4:5], v[8:9]
	v_fma_f64 v[10:11], -v[8:9], v[8:9], v[2:3]
	s_delay_alu instid0(VALU_DEP_1) | instskip(NEXT) | instid1(VALU_DEP_1)
	v_fma_f64 v[4:5], v[10:11], v[4:5], v[8:9]
	v_ldexp_f64 v[4:5], v[4:5], s1
	s_delay_alu instid0(VALU_DEP_1) | instskip(NEXT) | instid1(VALU_DEP_1)
	v_dual_cndmask_b32 v3, v5, v3 :: v_dual_cndmask_b32 v2, v4, v2
	v_mul_f64 v[4:5], v[0:1], v[2:3]
.LBB63_102:
	s_delay_alu instid0(VALU_DEP_1) | instskip(SKIP_3) | instid1(VALU_DEP_1)
	v_cmp_gt_f64_e32 vcc_lo, 0x10000000, v[4:5]
	v_cndmask_b32_e64 v0, 0, 1, vcc_lo
	s_and_b32 s1, vcc_lo, exec_lo
	s_cselect_b32 s1, 0xffffff80, 0
	v_lshlrev_b32_e32 v0, 8, v0
	s_delay_alu instid0(VALU_DEP_1) | instskip(NEXT) | instid1(VALU_DEP_1)
	v_ldexp_f64 v[0:1], v[4:5], v0
	v_rsq_f64_e32 v[2:3], v[0:1]
	v_cmp_class_f64_e64 vcc_lo, v[0:1], 0x260
	s_waitcnt_depctr 0xfff
	v_mul_f64 v[4:5], v[0:1], v[2:3]
	v_mul_f64 v[2:3], v[2:3], 0.5
	s_delay_alu instid0(VALU_DEP_1) | instskip(NEXT) | instid1(VALU_DEP_1)
	v_fma_f64 v[8:9], -v[2:3], v[4:5], 0.5
	v_fma_f64 v[4:5], v[4:5], v[8:9], v[4:5]
	v_fma_f64 v[2:3], v[2:3], v[8:9], v[2:3]
	s_delay_alu instid0(VALU_DEP_2) | instskip(NEXT) | instid1(VALU_DEP_1)
	v_fma_f64 v[8:9], -v[4:5], v[4:5], v[0:1]
	v_fma_f64 v[4:5], v[8:9], v[2:3], v[4:5]
	s_delay_alu instid0(VALU_DEP_1) | instskip(NEXT) | instid1(VALU_DEP_1)
	v_fma_f64 v[8:9], -v[4:5], v[4:5], v[0:1]
	v_fma_f64 v[2:3], v[8:9], v[2:3], v[4:5]
	s_delay_alu instid0(VALU_DEP_1) | instskip(NEXT) | instid1(VALU_DEP_1)
	v_ldexp_f64 v[3:4], v[2:3], s1
	v_dual_mov_b32 v2, 0 :: v_dual_cndmask_b32 v1, v4, v1
	s_delay_alu instid0(VALU_DEP_1)
	v_dual_cndmask_b32 v0, v3, v0 :: v_dual_mov_b32 v3, v2
	ds_store_b128 v2, v[0:3] offset:1296
.LBB63_103:
	s_or_b32 exec_lo, exec_lo, s4
	v_mov_b32_e32 v0, 0
	s_waitcnt lgkmcnt(0)
	buffer_gl0_inv
	ds_load_b128 v[0:3], v0 offset:1296
	s_waitcnt lgkmcnt(0)
	v_cmp_neq_f64_e32 vcc_lo, 0, v[0:1]
	v_cmp_neq_f64_e64 s1, 0, v[2:3]
	s_delay_alu instid0(VALU_DEP_1) | instskip(SKIP_4) | instid1(SALU_CYCLE_1)
	s_or_b32 vcc_lo, vcc_lo, s1
	v_cndmask_b32_e32 v1, 0x3ff00000, v1, vcc_lo
	v_dual_cndmask_b32 v0, 0, v0 :: v_dual_cndmask_b32 v3, 0, v3
	v_cndmask_b32_e32 v2, 0, v2, vcc_lo
	s_or_b32 s1, vcc_lo, s0
	s_xor_b32 s4, s1, -1
	s_delay_alu instid0(SALU_CYCLE_1)
	s_and_saveexec_b32 s1, s4
	s_cbranch_execz .LBB63_107
; %bb.104:
	v_mbcnt_lo_u32_b32 v0, exec_lo, 0
	s_mov_b32 s4, exec_lo
	s_delay_alu instid0(VALU_DEP_1)
	v_cmpx_eq_u32_e32 0, v0
	s_cbranch_execz .LBB63_106
; %bb.105:
	v_dual_mov_b32 v0, 0 :: v_dual_mov_b32 v1, s2
	global_atomic_min_i32 v0, v1, s[10:11]
.LBB63_106:
	s_or_b32 exec_lo, exec_lo, s4
	v_mov_b32_e32 v0, 0
	v_dual_mov_b32 v1, 0x3ff00000 :: v_dual_mov_b32 v2, 0
	v_mov_b32_e32 v3, 0
.LBB63_107:
	s_or_b32 exec_lo, exec_lo, s1
	s_delay_alu instid0(SALU_CYCLE_1)
	s_mov_b32 s1, exec_lo
	v_cmpx_lt_u32_e32 3, v15
	s_cbranch_execz .LBB63_109
; %bb.108:
	v_mul_f64 v[4:5], v[2:3], v[2:3]
	v_mul_u32_u24_e32 v29, 0x60, v15
	s_delay_alu instid0(VALU_DEP_2) | instskip(NEXT) | instid1(VALU_DEP_1)
	v_fma_f64 v[4:5], v[0:1], v[0:1], v[4:5]
	v_div_scale_f64 v[12:13], null, v[4:5], v[4:5], 1.0
	v_div_scale_f64 v[23:24], vcc_lo, 1.0, v[4:5], 1.0
	s_delay_alu instid0(VALU_DEP_2) | instskip(SKIP_2) | instid1(VALU_DEP_1)
	v_rcp_f64_e32 v[8:9], v[12:13]
	s_waitcnt_depctr 0xfff
	v_fma_f64 v[10:11], -v[12:13], v[8:9], 1.0
	v_fma_f64 v[8:9], v[8:9], v[10:11], v[8:9]
	s_delay_alu instid0(VALU_DEP_1) | instskip(NEXT) | instid1(VALU_DEP_1)
	v_fma_f64 v[10:11], -v[12:13], v[8:9], 1.0
	v_fma_f64 v[25:26], v[8:9], v[10:11], v[8:9]
	ds_load_b128 v[8:11], v29 offset:1008
	ds_load_b128 v[19:22], v29 offset:1488
	s_waitcnt lgkmcnt(0)
	v_add_f64 v[10:11], v[10:11], -v[21:22]
	v_add_f64 v[8:9], v[8:9], -v[19:20]
	v_mul_f64 v[27:28], v[23:24], v[25:26]
	s_delay_alu instid0(VALU_DEP_3) | instskip(NEXT) | instid1(VALU_DEP_3)
	v_mul_f64 v[19:20], v[2:3], v[10:11]
	v_mul_f64 v[2:3], v[2:3], -v[8:9]
	s_delay_alu instid0(VALU_DEP_3) | instskip(NEXT) | instid1(VALU_DEP_3)
	v_fma_f64 v[12:13], -v[12:13], v[27:28], v[23:24]
	v_fma_f64 v[8:9], v[8:9], v[0:1], v[19:20]
	s_delay_alu instid0(VALU_DEP_3) | instskip(NEXT) | instid1(VALU_DEP_3)
	v_fma_f64 v[2:3], v[10:11], v[0:1], v[2:3]
	v_div_fmas_f64 v[12:13], v[12:13], v[25:26], v[27:28]
	s_delay_alu instid0(VALU_DEP_1) | instskip(NEXT) | instid1(VALU_DEP_1)
	v_div_fixup_f64 v[4:5], v[12:13], v[4:5], 1.0
	v_mul_f64 v[0:1], v[4:5], v[8:9]
	s_delay_alu instid0(VALU_DEP_4)
	v_mul_f64 v[2:3], v[4:5], v[2:3]
	v_mul_u32_u24_e32 v4, 0x60, v14
	ds_store_b128 v29, v[0:3] offset:1008
	s_waitcnt lgkmcnt(0)
	s_waitcnt_vscnt null, 0x0
	buffer_gl0_inv
	ds_load_b128 v[8:11], v4 offset:1008
	ds_load_b128 v[19:22], v18
	s_waitcnt lgkmcnt(0)
	v_fma_f64 v[4:5], v[0:1], v[8:9], v[19:20]
	v_fma_f64 v[8:9], v[2:3], v[8:9], v[21:22]
	s_delay_alu instid0(VALU_DEP_2) | instskip(NEXT) | instid1(VALU_DEP_2)
	v_fma_f64 v[2:3], v[2:3], v[10:11], v[4:5]
	v_fma_f64 v[4:5], v[0:1], -v[10:11], v[8:9]
	ds_store_b128 v18, v[2:5]
.LBB63_109:
	s_or_b32 exec_lo, exec_lo, s1
	s_delay_alu instid0(SALU_CYCLE_1)
	s_mov_b32 s4, exec_lo
	s_waitcnt lgkmcnt(0)
	s_waitcnt_vscnt null, 0x0
	buffer_gl0_inv
	v_cmpx_eq_u32_e32 4, v15
	s_cbranch_execz .LBB63_117
; %bb.110:
	v_mov_b32_e32 v4, 0
	ds_load_b128 v[0:3], v4 offset:1888
	ds_load_b128 v[8:11], v4 offset:1408
	s_waitcnt lgkmcnt(0)
	v_add_f64 v[0:1], v[8:9], -v[0:1]
	v_add_f64 v[4:5], v[10:11], -v[2:3]
	s_delay_alu instid0(VALU_DEP_2) | instskip(NEXT) | instid1(VALU_DEP_2)
	v_cmp_gt_f64_e32 vcc_lo, 0, v[0:1]
	v_cmp_gt_f64_e64 s1, 0, v[4:5]
	v_xor_b32_e32 v2, 0x80000000, v1
	v_xor_b32_e32 v3, 0x80000000, v5
	s_delay_alu instid0(VALU_DEP_2) | instskip(NEXT) | instid1(VALU_DEP_2)
	v_cndmask_b32_e32 v1, v1, v2, vcc_lo
	v_cndmask_b32_e64 v3, v5, v3, s1
	v_cndmask_b32_e32 v0, v0, v0, vcc_lo
	v_cndmask_b32_e64 v2, v4, v4, s1
	s_delay_alu instid0(VALU_DEP_1)
	v_cmp_gt_f64_e32 vcc_lo, v[0:1], v[2:3]
	s_cbranch_vccnz .LBB63_114
; %bb.111:
	v_cmp_eq_f64_e32 vcc_lo, 0, v[4:5]
	v_mov_b32_e32 v4, 0
	v_mov_b32_e32 v5, 0
	s_cbranch_vccnz .LBB63_113
; %bb.112:
	v_div_scale_f64 v[4:5], null, v[2:3], v[2:3], v[0:1]
	v_div_scale_f64 v[12:13], vcc_lo, v[0:1], v[2:3], v[0:1]
	s_delay_alu instid0(VALU_DEP_2) | instskip(SKIP_2) | instid1(VALU_DEP_1)
	v_rcp_f64_e32 v[8:9], v[4:5]
	s_waitcnt_depctr 0xfff
	v_fma_f64 v[10:11], -v[4:5], v[8:9], 1.0
	v_fma_f64 v[8:9], v[8:9], v[10:11], v[8:9]
	s_delay_alu instid0(VALU_DEP_1) | instskip(NEXT) | instid1(VALU_DEP_1)
	v_fma_f64 v[10:11], -v[4:5], v[8:9], 1.0
	v_fma_f64 v[8:9], v[8:9], v[10:11], v[8:9]
	s_delay_alu instid0(VALU_DEP_1) | instskip(NEXT) | instid1(VALU_DEP_1)
	v_mul_f64 v[10:11], v[12:13], v[8:9]
	v_fma_f64 v[4:5], -v[4:5], v[10:11], v[12:13]
	s_delay_alu instid0(VALU_DEP_1) | instskip(NEXT) | instid1(VALU_DEP_1)
	v_div_fmas_f64 v[4:5], v[4:5], v[8:9], v[10:11]
	v_div_fixup_f64 v[4:5], v[4:5], v[2:3], v[0:1]
	s_delay_alu instid0(VALU_DEP_1) | instskip(NEXT) | instid1(VALU_DEP_1)
	v_fma_f64 v[4:5], v[4:5], v[4:5], 1.0
	v_cmp_gt_f64_e32 vcc_lo, 0x10000000, v[4:5]
	v_cndmask_b32_e64 v8, 0, 1, vcc_lo
	s_and_b32 s1, vcc_lo, exec_lo
	s_cselect_b32 s1, 0xffffff80, 0
	s_delay_alu instid0(VALU_DEP_1) | instskip(NEXT) | instid1(VALU_DEP_1)
	v_lshlrev_b32_e32 v8, 8, v8
	v_ldexp_f64 v[4:5], v[4:5], v8
	s_delay_alu instid0(VALU_DEP_1) | instskip(SKIP_4) | instid1(VALU_DEP_1)
	v_rsq_f64_e32 v[8:9], v[4:5]
	v_cmp_class_f64_e64 vcc_lo, v[4:5], 0x260
	s_waitcnt_depctr 0xfff
	v_mul_f64 v[10:11], v[4:5], v[8:9]
	v_mul_f64 v[8:9], v[8:9], 0.5
	v_fma_f64 v[12:13], -v[8:9], v[10:11], 0.5
	s_delay_alu instid0(VALU_DEP_1) | instskip(SKIP_1) | instid1(VALU_DEP_2)
	v_fma_f64 v[10:11], v[10:11], v[12:13], v[10:11]
	v_fma_f64 v[8:9], v[8:9], v[12:13], v[8:9]
	v_fma_f64 v[12:13], -v[10:11], v[10:11], v[4:5]
	s_delay_alu instid0(VALU_DEP_1) | instskip(NEXT) | instid1(VALU_DEP_1)
	v_fma_f64 v[10:11], v[12:13], v[8:9], v[10:11]
	v_fma_f64 v[12:13], -v[10:11], v[10:11], v[4:5]
	s_delay_alu instid0(VALU_DEP_1) | instskip(NEXT) | instid1(VALU_DEP_1)
	v_fma_f64 v[8:9], v[12:13], v[8:9], v[10:11]
	v_ldexp_f64 v[8:9], v[8:9], s1
	s_delay_alu instid0(VALU_DEP_1) | instskip(NEXT) | instid1(VALU_DEP_1)
	v_dual_cndmask_b32 v5, v9, v5 :: v_dual_cndmask_b32 v4, v8, v4
	v_mul_f64 v[4:5], v[2:3], v[4:5]
.LBB63_113:
	s_cbranch_execz .LBB63_115
	s_branch .LBB63_116
.LBB63_114:
                                        ; implicit-def: $vgpr4_vgpr5
.LBB63_115:
	v_div_scale_f64 v[4:5], null, v[0:1], v[0:1], v[2:3]
	v_div_scale_f64 v[12:13], vcc_lo, v[2:3], v[0:1], v[2:3]
	s_delay_alu instid0(VALU_DEP_2) | instskip(SKIP_2) | instid1(VALU_DEP_1)
	v_rcp_f64_e32 v[8:9], v[4:5]
	s_waitcnt_depctr 0xfff
	v_fma_f64 v[10:11], -v[4:5], v[8:9], 1.0
	v_fma_f64 v[8:9], v[8:9], v[10:11], v[8:9]
	s_delay_alu instid0(VALU_DEP_1) | instskip(NEXT) | instid1(VALU_DEP_1)
	v_fma_f64 v[10:11], -v[4:5], v[8:9], 1.0
	v_fma_f64 v[8:9], v[8:9], v[10:11], v[8:9]
	s_delay_alu instid0(VALU_DEP_1) | instskip(NEXT) | instid1(VALU_DEP_1)
	v_mul_f64 v[10:11], v[12:13], v[8:9]
	v_fma_f64 v[4:5], -v[4:5], v[10:11], v[12:13]
	s_delay_alu instid0(VALU_DEP_1) | instskip(NEXT) | instid1(VALU_DEP_1)
	v_div_fmas_f64 v[4:5], v[4:5], v[8:9], v[10:11]
	v_div_fixup_f64 v[2:3], v[4:5], v[0:1], v[2:3]
	s_delay_alu instid0(VALU_DEP_1) | instskip(NEXT) | instid1(VALU_DEP_1)
	v_fma_f64 v[2:3], v[2:3], v[2:3], 1.0
	v_cmp_gt_f64_e32 vcc_lo, 0x10000000, v[2:3]
	v_cndmask_b32_e64 v4, 0, 1, vcc_lo
	s_and_b32 s1, vcc_lo, exec_lo
	s_cselect_b32 s1, 0xffffff80, 0
	s_delay_alu instid0(VALU_DEP_1) | instskip(NEXT) | instid1(VALU_DEP_1)
	v_lshlrev_b32_e32 v4, 8, v4
	v_ldexp_f64 v[2:3], v[2:3], v4
	s_delay_alu instid0(VALU_DEP_1) | instskip(SKIP_4) | instid1(VALU_DEP_1)
	v_rsq_f64_e32 v[4:5], v[2:3]
	v_cmp_class_f64_e64 vcc_lo, v[2:3], 0x260
	s_waitcnt_depctr 0xfff
	v_mul_f64 v[8:9], v[2:3], v[4:5]
	v_mul_f64 v[4:5], v[4:5], 0.5
	v_fma_f64 v[10:11], -v[4:5], v[8:9], 0.5
	s_delay_alu instid0(VALU_DEP_1) | instskip(SKIP_1) | instid1(VALU_DEP_2)
	v_fma_f64 v[8:9], v[8:9], v[10:11], v[8:9]
	v_fma_f64 v[4:5], v[4:5], v[10:11], v[4:5]
	v_fma_f64 v[10:11], -v[8:9], v[8:9], v[2:3]
	s_delay_alu instid0(VALU_DEP_1) | instskip(NEXT) | instid1(VALU_DEP_1)
	v_fma_f64 v[8:9], v[10:11], v[4:5], v[8:9]
	v_fma_f64 v[10:11], -v[8:9], v[8:9], v[2:3]
	s_delay_alu instid0(VALU_DEP_1) | instskip(NEXT) | instid1(VALU_DEP_1)
	v_fma_f64 v[4:5], v[10:11], v[4:5], v[8:9]
	v_ldexp_f64 v[4:5], v[4:5], s1
	s_delay_alu instid0(VALU_DEP_1) | instskip(NEXT) | instid1(VALU_DEP_1)
	v_dual_cndmask_b32 v3, v5, v3 :: v_dual_cndmask_b32 v2, v4, v2
	v_mul_f64 v[4:5], v[0:1], v[2:3]
.LBB63_116:
	s_delay_alu instid0(VALU_DEP_1) | instskip(SKIP_3) | instid1(VALU_DEP_1)
	v_cmp_gt_f64_e32 vcc_lo, 0x10000000, v[4:5]
	v_cndmask_b32_e64 v0, 0, 1, vcc_lo
	s_and_b32 s1, vcc_lo, exec_lo
	s_cselect_b32 s1, 0xffffff80, 0
	v_lshlrev_b32_e32 v0, 8, v0
	s_delay_alu instid0(VALU_DEP_1) | instskip(NEXT) | instid1(VALU_DEP_1)
	v_ldexp_f64 v[0:1], v[4:5], v0
	v_rsq_f64_e32 v[2:3], v[0:1]
	v_cmp_class_f64_e64 vcc_lo, v[0:1], 0x260
	s_waitcnt_depctr 0xfff
	v_mul_f64 v[4:5], v[0:1], v[2:3]
	v_mul_f64 v[2:3], v[2:3], 0.5
	s_delay_alu instid0(VALU_DEP_1) | instskip(NEXT) | instid1(VALU_DEP_1)
	v_fma_f64 v[8:9], -v[2:3], v[4:5], 0.5
	v_fma_f64 v[4:5], v[4:5], v[8:9], v[4:5]
	v_fma_f64 v[2:3], v[2:3], v[8:9], v[2:3]
	s_delay_alu instid0(VALU_DEP_2) | instskip(NEXT) | instid1(VALU_DEP_1)
	v_fma_f64 v[8:9], -v[4:5], v[4:5], v[0:1]
	v_fma_f64 v[4:5], v[8:9], v[2:3], v[4:5]
	s_delay_alu instid0(VALU_DEP_1) | instskip(NEXT) | instid1(VALU_DEP_1)
	v_fma_f64 v[8:9], -v[4:5], v[4:5], v[0:1]
	v_fma_f64 v[2:3], v[8:9], v[2:3], v[4:5]
	s_delay_alu instid0(VALU_DEP_1) | instskip(NEXT) | instid1(VALU_DEP_1)
	v_ldexp_f64 v[3:4], v[2:3], s1
	v_dual_mov_b32 v2, 0 :: v_dual_cndmask_b32 v1, v4, v1
	s_delay_alu instid0(VALU_DEP_1)
	v_dual_cndmask_b32 v0, v3, v0 :: v_dual_mov_b32 v3, v2
	ds_store_b128 v2, v[0:3] offset:1408
.LBB63_117:
	s_or_b32 exec_lo, exec_lo, s4
	v_mov_b32_e32 v0, 0
	s_waitcnt lgkmcnt(0)
	buffer_gl0_inv
	ds_load_b128 v[0:3], v0 offset:1408
	s_waitcnt lgkmcnt(0)
	v_cmp_neq_f64_e32 vcc_lo, 0, v[0:1]
	v_cmp_neq_f64_e64 s1, 0, v[2:3]
	s_delay_alu instid0(VALU_DEP_1) | instskip(SKIP_4) | instid1(SALU_CYCLE_1)
	s_or_b32 vcc_lo, vcc_lo, s1
	v_cndmask_b32_e32 v1, 0x3ff00000, v1, vcc_lo
	v_dual_cndmask_b32 v0, 0, v0 :: v_dual_cndmask_b32 v3, 0, v3
	v_cndmask_b32_e32 v2, 0, v2, vcc_lo
	s_or_b32 s0, vcc_lo, s0
	s_xor_b32 s1, s0, -1
	s_delay_alu instid0(SALU_CYCLE_1)
	s_and_saveexec_b32 s0, s1
	s_cbranch_execz .LBB63_121
; %bb.118:
	v_mbcnt_lo_u32_b32 v0, exec_lo, 0
	s_mov_b32 s1, exec_lo
	s_delay_alu instid0(VALU_DEP_1)
	v_cmpx_eq_u32_e32 0, v0
	s_cbranch_execz .LBB63_120
; %bb.119:
	v_dual_mov_b32 v0, 0 :: v_dual_mov_b32 v1, s2
	global_atomic_min_i32 v0, v1, s[10:11]
.LBB63_120:
	s_or_b32 exec_lo, exec_lo, s1
	v_mov_b32_e32 v0, 0
	v_dual_mov_b32 v1, 0x3ff00000 :: v_dual_mov_b32 v2, 0
	v_mov_b32_e32 v3, 0
.LBB63_121:
	s_or_b32 exec_lo, exec_lo, s0
	s_delay_alu instid0(SALU_CYCLE_1)
	s_mov_b32 s0, exec_lo
	v_cmpx_lt_u32_e32 4, v15
	s_cbranch_execz .LBB63_123
; %bb.122:
	v_mul_f64 v[4:5], v[2:3], v[2:3]
	v_mul_u32_u24_e32 v29, 0x60, v15
	s_delay_alu instid0(VALU_DEP_2) | instskip(NEXT) | instid1(VALU_DEP_1)
	v_fma_f64 v[4:5], v[0:1], v[0:1], v[4:5]
	v_div_scale_f64 v[12:13], null, v[4:5], v[4:5], 1.0
	v_div_scale_f64 v[23:24], vcc_lo, 1.0, v[4:5], 1.0
	s_delay_alu instid0(VALU_DEP_2) | instskip(SKIP_2) | instid1(VALU_DEP_1)
	v_rcp_f64_e32 v[8:9], v[12:13]
	s_waitcnt_depctr 0xfff
	v_fma_f64 v[10:11], -v[12:13], v[8:9], 1.0
	v_fma_f64 v[8:9], v[8:9], v[10:11], v[8:9]
	s_delay_alu instid0(VALU_DEP_1) | instskip(NEXT) | instid1(VALU_DEP_1)
	v_fma_f64 v[10:11], -v[12:13], v[8:9], 1.0
	v_fma_f64 v[25:26], v[8:9], v[10:11], v[8:9]
	ds_load_b128 v[8:11], v29 offset:1024
	ds_load_b128 v[19:22], v29 offset:1504
	s_waitcnt lgkmcnt(0)
	v_add_f64 v[10:11], v[10:11], -v[21:22]
	v_add_f64 v[8:9], v[8:9], -v[19:20]
	v_mul_f64 v[27:28], v[23:24], v[25:26]
	s_delay_alu instid0(VALU_DEP_3) | instskip(NEXT) | instid1(VALU_DEP_3)
	v_mul_f64 v[19:20], v[2:3], v[10:11]
	v_mul_f64 v[2:3], v[2:3], -v[8:9]
	s_delay_alu instid0(VALU_DEP_3) | instskip(NEXT) | instid1(VALU_DEP_3)
	v_fma_f64 v[12:13], -v[12:13], v[27:28], v[23:24]
	v_fma_f64 v[8:9], v[8:9], v[0:1], v[19:20]
	s_delay_alu instid0(VALU_DEP_3) | instskip(NEXT) | instid1(VALU_DEP_3)
	v_fma_f64 v[2:3], v[10:11], v[0:1], v[2:3]
	v_div_fmas_f64 v[12:13], v[12:13], v[25:26], v[27:28]
	s_delay_alu instid0(VALU_DEP_1) | instskip(NEXT) | instid1(VALU_DEP_1)
	v_div_fixup_f64 v[4:5], v[12:13], v[4:5], 1.0
	v_mul_f64 v[0:1], v[4:5], v[8:9]
	s_delay_alu instid0(VALU_DEP_4)
	v_mul_f64 v[2:3], v[4:5], v[2:3]
	v_mul_u32_u24_e32 v4, 0x60, v14
	ds_store_b128 v29, v[0:3] offset:1024
	s_waitcnt lgkmcnt(0)
	s_waitcnt_vscnt null, 0x0
	buffer_gl0_inv
	ds_load_b128 v[8:11], v4 offset:1024
	ds_load_b128 v[19:22], v18
	s_waitcnt lgkmcnt(0)
	v_fma_f64 v[4:5], v[0:1], v[8:9], v[19:20]
	v_fma_f64 v[8:9], v[2:3], v[8:9], v[21:22]
	s_delay_alu instid0(VALU_DEP_2) | instskip(NEXT) | instid1(VALU_DEP_2)
	v_fma_f64 v[2:3], v[2:3], v[10:11], v[4:5]
	v_fma_f64 v[4:5], v[0:1], -v[10:11], v[8:9]
	ds_store_b128 v18, v[2:5]
.LBB63_123:
	s_or_b32 exec_lo, exec_lo, s0
	s_delay_alu instid0(SALU_CYCLE_1)
	s_and_not1_b32 vcc_lo, exec_lo, s3
	s_waitcnt lgkmcnt(0)
	s_waitcnt_vscnt null, 0x0
	buffer_gl0_inv
	s_cbranch_vccnz .LBB63_125
; %bb.124:
	v_mov_b32_e32 v16, v17
.LBB63_125:
	s_delay_alu instid0(VALU_DEP_1) | instskip(SKIP_3) | instid1(VALU_DEP_1)
	v_add_nc_u32_e32 v4, s26, v16
	ds_load_2addr_b64 v[0:3], v6 offset1:1
	v_cmp_eq_u32_e64 s3, 0, v7
	v_ashrrev_i32_e32 v5, 31, v4
	v_lshlrev_b64 v[4:5], 4, v[4:5]
	s_delay_alu instid0(VALU_DEP_1) | instskip(NEXT) | instid1(VALU_DEP_2)
	v_add_co_u32 v4, vcc_lo, s18, v4
	v_add_co_ci_u32_e32 v5, vcc_lo, s19, v5, vcc_lo
	s_waitcnt lgkmcnt(0)
	global_store_b128 v[4:5], v[0:3], off
	s_branch .LBB63_131
.LBB63_126:
	v_or_b32_e32 v0, v14, v15
	s_mov_b32 s0, exec_lo
	s_delay_alu instid0(VALU_DEP_1)
	v_cmpx_eq_u32_e32 0, v0
	s_cbranch_execz .LBB63_130
; %bb.127:
	v_mbcnt_lo_u32_b32 v0, exec_lo, 0
	s_mov_b32 s1, exec_lo
	s_delay_alu instid0(VALU_DEP_1)
	v_cmpx_eq_u32_e32 0, v0
	s_cbranch_execz .LBB63_129
; %bb.128:
	s_add_i32 s2, s16, s17
	s_delay_alu instid0(SALU_CYCLE_1)
	v_dual_mov_b32 v0, 0 :: v_dual_mov_b32 v1, s2
	global_atomic_min_i32 v0, v1, s[10:11]
.LBB63_129:
	s_or_b32 exec_lo, exec_lo, s1
	s_delay_alu instid0(SALU_CYCLE_1)
	s_or_b32 s3, s3, exec_lo
.LBB63_130:
	s_or_b32 exec_lo, exec_lo, s0
.LBB63_131:
	s_and_saveexec_b32 s0, s3
	s_cbranch_execnz .LBB63_133
; %bb.132:
	s_nop 0
	s_sendmsg sendmsg(MSG_DEALLOC_VGPRS)
	s_endpgm
.LBB63_133:
	v_dual_mov_b32 v0, 0 :: v_dual_mov_b32 v1, 1
	s_add_u32 s0, s6, s8
	s_addc_u32 s1, s7, s9
	s_waitcnt_vscnt null, 0x0
	global_store_b32 v0, v1, s[0:1]
	s_nop 0
	s_sendmsg sendmsg(MSG_DEALLOC_VGPRS)
	s_endpgm
	.section	.rodata,"a",@progbits
	.p2align	6, 0x0
	.amdhsa_kernel _ZN9rocsparseL26bsric0_2_8_unrolled_kernelILi25ELi32ELi5E21rocsparse_complex_numIdEEEv20rocsparse_direction_iiPKiS5_PT2_S5_PiS5_S8_21rocsparse_index_base_
		.amdhsa_group_segment_fixed_size 2304
		.amdhsa_private_segment_fixed_size 0
		.amdhsa_kernarg_size 76
		.amdhsa_user_sgpr_count 15
		.amdhsa_user_sgpr_dispatch_ptr 0
		.amdhsa_user_sgpr_queue_ptr 0
		.amdhsa_user_sgpr_kernarg_segment_ptr 1
		.amdhsa_user_sgpr_dispatch_id 0
		.amdhsa_user_sgpr_private_segment_size 0
		.amdhsa_wavefront_size32 1
		.amdhsa_uses_dynamic_stack 0
		.amdhsa_enable_private_segment 0
		.amdhsa_system_sgpr_workgroup_id_x 1
		.amdhsa_system_sgpr_workgroup_id_y 0
		.amdhsa_system_sgpr_workgroup_id_z 0
		.amdhsa_system_sgpr_workgroup_info 0
		.amdhsa_system_vgpr_workitem_id 1
		.amdhsa_next_free_vgpr 65
		.amdhsa_next_free_sgpr 37
		.amdhsa_reserve_vcc 1
		.amdhsa_float_round_mode_32 0
		.amdhsa_float_round_mode_16_64 0
		.amdhsa_float_denorm_mode_32 3
		.amdhsa_float_denorm_mode_16_64 3
		.amdhsa_dx10_clamp 1
		.amdhsa_ieee_mode 1
		.amdhsa_fp16_overflow 0
		.amdhsa_workgroup_processor_mode 1
		.amdhsa_memory_ordered 1
		.amdhsa_forward_progress 0
		.amdhsa_shared_vgpr_count 0
		.amdhsa_exception_fp_ieee_invalid_op 0
		.amdhsa_exception_fp_denorm_src 0
		.amdhsa_exception_fp_ieee_div_zero 0
		.amdhsa_exception_fp_ieee_overflow 0
		.amdhsa_exception_fp_ieee_underflow 0
		.amdhsa_exception_fp_ieee_inexact 0
		.amdhsa_exception_int_div_zero 0
	.end_amdhsa_kernel
	.section	.text._ZN9rocsparseL26bsric0_2_8_unrolled_kernelILi25ELi32ELi5E21rocsparse_complex_numIdEEEv20rocsparse_direction_iiPKiS5_PT2_S5_PiS5_S8_21rocsparse_index_base_,"axG",@progbits,_ZN9rocsparseL26bsric0_2_8_unrolled_kernelILi25ELi32ELi5E21rocsparse_complex_numIdEEEv20rocsparse_direction_iiPKiS5_PT2_S5_PiS5_S8_21rocsparse_index_base_,comdat
.Lfunc_end63:
	.size	_ZN9rocsparseL26bsric0_2_8_unrolled_kernelILi25ELi32ELi5E21rocsparse_complex_numIdEEEv20rocsparse_direction_iiPKiS5_PT2_S5_PiS5_S8_21rocsparse_index_base_, .Lfunc_end63-_ZN9rocsparseL26bsric0_2_8_unrolled_kernelILi25ELi32ELi5E21rocsparse_complex_numIdEEEv20rocsparse_direction_iiPKiS5_PT2_S5_PiS5_S8_21rocsparse_index_base_
                                        ; -- End function
	.section	.AMDGPU.csdata,"",@progbits
; Kernel info:
; codeLenInByte = 12836
; NumSgprs: 39
; NumVgprs: 65
; ScratchSize: 0
; MemoryBound: 1
; FloatMode: 240
; IeeeMode: 1
; LDSByteSize: 2304 bytes/workgroup (compile time only)
; SGPRBlocks: 4
; VGPRBlocks: 8
; NumSGPRsForWavesPerEU: 39
; NumVGPRsForWavesPerEU: 65
; Occupancy: 14
; WaveLimiterHint : 1
; COMPUTE_PGM_RSRC2:SCRATCH_EN: 0
; COMPUTE_PGM_RSRC2:USER_SGPR: 15
; COMPUTE_PGM_RSRC2:TRAP_HANDLER: 0
; COMPUTE_PGM_RSRC2:TGID_X_EN: 1
; COMPUTE_PGM_RSRC2:TGID_Y_EN: 0
; COMPUTE_PGM_RSRC2:TGID_Z_EN: 0
; COMPUTE_PGM_RSRC2:TIDIG_COMP_CNT: 1
	.section	.text._ZN9rocsparseL26bsric0_2_8_unrolled_kernelILi36ELi32ELi6E21rocsparse_complex_numIdEEEv20rocsparse_direction_iiPKiS5_PT2_S5_PiS5_S8_21rocsparse_index_base_,"axG",@progbits,_ZN9rocsparseL26bsric0_2_8_unrolled_kernelILi36ELi32ELi6E21rocsparse_complex_numIdEEEv20rocsparse_direction_iiPKiS5_PT2_S5_PiS5_S8_21rocsparse_index_base_,comdat
	.globl	_ZN9rocsparseL26bsric0_2_8_unrolled_kernelILi36ELi32ELi6E21rocsparse_complex_numIdEEEv20rocsparse_direction_iiPKiS5_PT2_S5_PiS5_S8_21rocsparse_index_base_ ; -- Begin function _ZN9rocsparseL26bsric0_2_8_unrolled_kernelILi36ELi32ELi6E21rocsparse_complex_numIdEEEv20rocsparse_direction_iiPKiS5_PT2_S5_PiS5_S8_21rocsparse_index_base_
	.p2align	8
	.type	_ZN9rocsparseL26bsric0_2_8_unrolled_kernelILi36ELi32ELi6E21rocsparse_complex_numIdEEEv20rocsparse_direction_iiPKiS5_PT2_S5_PiS5_S8_21rocsparse_index_base_,@function
_ZN9rocsparseL26bsric0_2_8_unrolled_kernelILi36ELi32ELi6E21rocsparse_complex_numIdEEEv20rocsparse_direction_iiPKiS5_PT2_S5_PiS5_S8_21rocsparse_index_base_: ; @_ZN9rocsparseL26bsric0_2_8_unrolled_kernelILi36ELi32ELi6E21rocsparse_complex_numIdEEEv20rocsparse_direction_iiPKiS5_PT2_S5_PiS5_S8_21rocsparse_index_base_
; %bb.0:
	s_load_b256 s[4:11], s[0:1], 0x28
	s_mov_b32 s2, s15
	s_mov_b32 s3, 0
	v_and_b32_e32 v14, 0x3ff, v0
	s_lshl_b64 s[12:13], s[2:3], 2
	v_bfe_u32 v15, v0, 10, 10
	s_waitcnt lgkmcnt(0)
	s_add_u32 s8, s8, s12
	s_addc_u32 s9, s9, s13
	s_load_b32 s16, s[8:9], 0x0
	s_waitcnt lgkmcnt(0)
	s_ashr_i32 s17, s16, 31
	s_delay_alu instid0(SALU_CYCLE_1) | instskip(NEXT) | instid1(SALU_CYCLE_1)
	s_lshl_b64 s[8:9], s[16:17], 2
	s_add_u32 s12, s4, s8
	s_addc_u32 s13, s5, s9
	s_load_b32 s26, s[12:13], 0x0
	s_load_b32 s17, s[0:1], 0x48
	s_waitcnt lgkmcnt(0)
	s_cmp_lg_u32 s26, -1
	s_cbranch_scc0 .LBB64_61
; %bb.1:
	s_clause 0x1
	s_load_b128 s[12:15], s[0:1], 0x10
	s_load_b64 s[18:19], s[0:1], 0x20
	v_mad_u32_u24 v16, v15, 6, v14
	s_waitcnt lgkmcnt(0)
	s_add_u32 s2, s12, s8
	s_addc_u32 s3, s13, s9
	s_load_b32 s2, s[2:3], 0x0
	s_mov_b32 s3, exec_lo
	s_waitcnt lgkmcnt(0)
	s_sub_i32 s27, s2, s17
	s_delay_alu instid0(SALU_CYCLE_1) | instskip(NEXT) | instid1(VALU_DEP_1)
	v_add_nc_u32_e32 v0, s27, v16
	v_cmpx_ge_i32_e64 s26, v0
	s_cbranch_execz .LBB64_4
; %bb.2:
	v_ashrrev_i32_e32 v1, 31, v0
	v_lshl_add_u32 v3, v16, 2, 0xb80
	s_mov_b32 s20, 0
	s_delay_alu instid0(VALU_DEP_2) | instskip(NEXT) | instid1(VALU_DEP_1)
	v_lshlrev_b64 v[1:2], 2, v[0:1]
	v_add_co_u32 v1, vcc_lo, s14, v1
	s_delay_alu instid0(VALU_DEP_2)
	v_add_co_ci_u32_e32 v2, vcc_lo, s15, v2, vcc_lo
	.p2align	6
.LBB64_3:                               ; =>This Inner Loop Header: Depth=1
	global_load_b32 v4, v[1:2], off
	v_add_nc_u32_e32 v0, 36, v0
	v_add_co_u32 v1, vcc_lo, 0x90, v1
	v_add_co_ci_u32_e32 v2, vcc_lo, 0, v2, vcc_lo
	s_delay_alu instid0(VALU_DEP_3) | instskip(NEXT) | instid1(VALU_DEP_1)
	v_cmp_lt_i32_e64 s2, s26, v0
	s_or_b32 s20, s2, s20
	s_waitcnt vmcnt(0)
	v_subrev_nc_u32_e32 v4, s17, v4
	ds_store_b32 v3, v4
	v_add_nc_u32_e32 v3, 0x90, v3
	s_and_not1_b32 exec_lo, exec_lo, s20
	s_cbranch_execnz .LBB64_3
.LBB64_4:
	s_or_b32 exec_lo, exec_lo, s3
	s_load_b32 s28, s[0:1], 0x0
	v_mov_b32_e32 v0, 0
	v_lshlrev_b32_e32 v4, 4, v14
	v_mul_u32_u24_e32 v20, 6, v15
	v_mad_u32_u24 v17, v14, 6, v15
	s_cmp_ge_i32 s27, s26
	v_mov_b32_e32 v1, v0
	v_mad_u32_u24 v19, 0x70, v15, v4
	v_mov_b32_e32 v2, v0
	s_delay_alu instid0(VALU_DEP_2)
	v_dual_mov_b32 v3, v0 :: v_dual_add_nc_u32 v18, 0x7e0, v19
	ds_store_b128 v19, v[0:3] offset:2016
	s_waitcnt lgkmcnt(0)
	buffer_gl0_inv
	s_cbranch_scc1 .LBB64_54
; %bb.5:
	s_movk_i32 s1, 0x540
	s_movk_i32 s0, 0x2a0
	v_mad_u32_u24 v1, v14, 6, v15
	v_mad_u32_u24 v21, 0x70, v15, s1
	;; [unrolled: 1-line block ×3, first 2 shown]
	v_or_b32_e32 v2, v14, v15
	s_cmp_eq_u32 s28, 0
	v_mul_u32_u24_e32 v23, 6, v14
	s_cselect_b32 vcc_lo, -1, 0
	v_add_nc_u32_e32 v24, v21, v4
	v_add_nc_u32_e32 v25, v22, v4
	v_cmp_ne_u32_e64 s0, 0, v2
	v_mad_u32_u24 v26, 0x70, v14, s1
	v_cndmask_b32_e32 v5, v1, v16, vcc_lo
	s_cmp_lg_u32 s28, 0
	s_mov_b32 s2, s27
	s_cselect_b32 s29, -1, 0
	s_branch .LBB64_9
.LBB64_6:                               ;   in Loop: Header=BB64_9 Depth=1
	s_or_b32 exec_lo, exec_lo, s20
	v_mov_b32_e32 v8, 0
	v_dual_mov_b32 v9, 0x3ff00000 :: v_dual_mov_b32 v10, 0
	v_mov_b32_e32 v11, 0
.LBB64_7:                               ;   in Loop: Header=BB64_9 Depth=1
	s_or_b32 exec_lo, exec_lo, s1
	ds_load_b128 v[27:30], v21
	ds_load_b128 v[31:34], v22 offset:80
	ds_load_b128 v[35:38], v0 offset:560
	;; [unrolled: 1-line block ×4, first 2 shown]
	s_add_i32 s2, s2, 1
	s_delay_alu instid0(SALU_CYCLE_1)
	s_cmp_ge_i32 s2, s26
	s_cselect_b32 s23, -1, 0
	s_waitcnt lgkmcnt(2)
	v_fma_f64 v[12:13], v[37:38], v[27:28], v[33:34]
	v_fma_f64 v[27:28], v[35:36], v[27:28], v[31:32]
	v_mul_f64 v[31:32], v[10:11], v[10:11]
	s_delay_alu instid0(VALU_DEP_3) | instskip(NEXT) | instid1(VALU_DEP_3)
	v_fma_f64 v[12:13], v[35:36], -v[29:30], v[12:13]
	v_fma_f64 v[27:28], v[37:38], v[29:30], v[27:28]
	s_delay_alu instid0(VALU_DEP_3) | instskip(SKIP_1) | instid1(VALU_DEP_3)
	v_fma_f64 v[47:48], v[8:9], v[8:9], v[31:32]
	s_waitcnt lgkmcnt(0)
	v_fma_f64 v[12:13], v[41:42], v[43:44], v[12:13]
	s_delay_alu instid0(VALU_DEP_3) | instskip(NEXT) | instid1(VALU_DEP_3)
	v_fma_f64 v[27:28], v[39:40], v[43:44], v[27:28]
	v_div_scale_f64 v[43:44], null, v[47:48], v[47:48], 1.0
	s_delay_alu instid0(VALU_DEP_3) | instskip(NEXT) | instid1(VALU_DEP_3)
	v_fma_f64 v[12:13], v[39:40], -v[45:46], v[12:13]
	v_fma_f64 v[45:46], v[41:42], v[45:46], v[27:28]
	ds_load_b128 v[27:30], v21 offset:32
	ds_load_b128 v[31:34], v0 offset:592
	v_rcp_f64_e32 v[49:50], v[43:44]
	ds_load_b128 v[35:38], v0 offset:608
	ds_load_b128 v[39:42], v21 offset:48
	s_waitcnt lgkmcnt(2)
	v_fma_f64 v[12:13], v[33:34], v[27:28], v[12:13]
	v_fma_f64 v[27:28], v[31:32], v[27:28], v[45:46]
	v_fma_f64 v[45:46], -v[43:44], v[49:50], 1.0
	s_delay_alu instid0(VALU_DEP_3) | instskip(NEXT) | instid1(VALU_DEP_3)
	v_fma_f64 v[12:13], v[31:32], -v[29:30], v[12:13]
	v_fma_f64 v[27:28], v[33:34], v[29:30], v[27:28]
	s_delay_alu instid0(VALU_DEP_3) | instskip(SKIP_1) | instid1(VALU_DEP_3)
	v_fma_f64 v[45:46], v[49:50], v[45:46], v[49:50]
	s_waitcnt lgkmcnt(0)
	v_fma_f64 v[12:13], v[37:38], v[39:40], v[12:13]
	s_delay_alu instid0(VALU_DEP_3) | instskip(NEXT) | instid1(VALU_DEP_3)
	v_fma_f64 v[27:28], v[35:36], v[39:40], v[27:28]
	v_fma_f64 v[39:40], -v[43:44], v[45:46], 1.0
	s_delay_alu instid0(VALU_DEP_3) | instskip(NEXT) | instid1(VALU_DEP_3)
	v_fma_f64 v[12:13], v[35:36], -v[41:42], v[12:13]
	v_fma_f64 v[35:36], v[37:38], v[41:42], v[27:28]
	ds_load_b128 v[27:30], v21 offset:64
	ds_load_b128 v[31:34], v0 offset:624
	v_div_scale_f64 v[37:38], vcc_lo, 1.0, v[47:48], 1.0
	v_fma_f64 v[39:40], v[45:46], v[39:40], v[45:46]
	s_waitcnt lgkmcnt(0)
	v_fma_f64 v[12:13], v[33:34], v[27:28], v[12:13]
	v_fma_f64 v[27:28], v[31:32], v[27:28], v[35:36]
	s_delay_alu instid0(VALU_DEP_3) | instskip(NEXT) | instid1(VALU_DEP_3)
	v_mul_f64 v[35:36], v[37:38], v[39:40]
	v_fma_f64 v[12:13], v[31:32], -v[29:30], v[12:13]
	s_delay_alu instid0(VALU_DEP_3) | instskip(NEXT) | instid1(VALU_DEP_3)
	v_fma_f64 v[27:28], v[33:34], v[29:30], v[27:28]
	v_fma_f64 v[29:30], -v[43:44], v[35:36], v[37:38]
	s_delay_alu instid0(VALU_DEP_3) | instskip(NEXT) | instid1(VALU_DEP_3)
	v_add_f64 v[3:4], v[3:4], -v[12:13]
	v_add_f64 v[1:2], v[1:2], -v[27:28]
	s_delay_alu instid0(VALU_DEP_3) | instskip(NEXT) | instid1(VALU_DEP_3)
	v_div_fmas_f64 v[12:13], v[29:30], v[39:40], v[35:36]
	v_mul_f64 v[27:28], v[10:11], v[3:4]
	s_delay_alu instid0(VALU_DEP_3) | instskip(NEXT) | instid1(VALU_DEP_3)
	v_mul_f64 v[10:11], v[10:11], -v[1:2]
	v_div_fixup_f64 v[12:13], v[12:13], v[47:48], 1.0
	s_delay_alu instid0(VALU_DEP_3) | instskip(NEXT) | instid1(VALU_DEP_3)
	v_fma_f64 v[1:2], v[1:2], v[8:9], v[27:28]
	v_fma_f64 v[3:4], v[3:4], v[8:9], v[10:11]
	s_delay_alu instid0(VALU_DEP_2) | instskip(NEXT) | instid1(VALU_DEP_2)
	v_mul_f64 v[1:2], v[12:13], v[1:2]
	v_mul_f64 v[3:4], v[12:13], v[3:4]
	ds_store_b128 v21, v[1:4] offset:80
	s_waitcnt lgkmcnt(0)
	s_waitcnt_vscnt null, 0x0
	buffer_gl0_inv
	ds_load_b128 v[8:11], v26 offset:80
	ds_load_b128 v[27:30], v18
	s_waitcnt lgkmcnt(0)
	v_fma_f64 v[12:13], v[1:2], v[8:9], v[27:28]
	v_fma_f64 v[27:28], v[3:4], v[8:9], v[29:30]
	s_delay_alu instid0(VALU_DEP_2) | instskip(NEXT) | instid1(VALU_DEP_2)
	v_fma_f64 v[8:9], v[3:4], v[10:11], v[12:13]
	v_fma_f64 v[10:11], v[1:2], -v[10:11], v[27:28]
	ds_store_b128 v18, v[8:11]
	s_waitcnt lgkmcnt(0)
	buffer_gl0_inv
	ds_load_2addr_b64 v[1:4], v24 offset1:1
	s_waitcnt lgkmcnt(0)
	global_store_b128 v[6:7], v[1:4], off
	s_waitcnt_vscnt null, 0x0
	buffer_gl1_inv
	buffer_gl0_inv
.LBB64_8:                               ;   in Loop: Header=BB64_9 Depth=1
	s_and_b32 vcc_lo, exec_lo, s23
	s_cbranch_vccnz .LBB64_54
.LBB64_9:                               ; =>This Loop Header: Depth=1
                                        ;     Child Loop BB64_12 Depth 2
                                        ;     Child Loop BB64_23 Depth 2
	s_ashr_i32 s3, s2, 31
	s_delay_alu instid0(SALU_CYCLE_1) | instskip(NEXT) | instid1(SALU_CYCLE_1)
	s_lshl_b64 s[20:21], s[2:3], 2
	s_add_u32 s20, s14, s20
	s_addc_u32 s21, s15, s21
	s_load_b32 s3, s[20:21], 0x0
	s_waitcnt lgkmcnt(0)
	s_sub_i32 s22, s3, s17
	s_delay_alu instid0(SALU_CYCLE_1) | instskip(NEXT) | instid1(SALU_CYCLE_1)
	s_ashr_i32 s23, s22, 31
	s_lshl_b64 s[20:21], s[22:23], 2
	s_mov_b32 s23, -1
	s_add_u32 s24, s4, s20
	s_addc_u32 s25, s5, s21
	s_load_b32 s1, s[24:25], 0x0
	s_waitcnt lgkmcnt(0)
	s_cmp_eq_u32 s1, -1
	s_cbranch_scc1 .LBB64_8
; %bb.10:                               ;   in Loop: Header=BB64_9 Depth=1
	v_mad_u64_u32 v[1:2], null, s2, 36, v[5:6]
	s_add_u32 s24, s12, s20
	s_addc_u32 s25, s13, s21
	ds_load_b32 v8, v0 offset:2944
	s_load_b32 s23, s[24:25], 0x0
	v_ashrrev_i32_e32 v2, 31, v1
	s_delay_alu instid0(VALU_DEP_1) | instskip(NEXT) | instid1(VALU_DEP_1)
	v_lshlrev_b64 v[1:2], 4, v[1:2]
	v_add_co_u32 v6, vcc_lo, s18, v1
	s_delay_alu instid0(VALU_DEP_2)
	v_add_co_ci_u32_e32 v7, vcc_lo, s19, v2, vcc_lo
	s_waitcnt lgkmcnt(0)
	v_cmp_ge_i32_e32 vcc_lo, s22, v8
	s_sub_i32 s24, s23, s17
	global_load_b128 v[1:4], v[6:7], off
	s_cmp_le_i32 s24, s1
	s_cselect_b32 s23, -1, 0
	s_delay_alu instid0(SALU_CYCLE_1) | instskip(NEXT) | instid1(SALU_CYCLE_1)
	s_and_b32 s23, s23, vcc_lo
	s_and_not1_b32 vcc_lo, exec_lo, s23
	s_mov_b32 s23, 0
	s_waitcnt vmcnt(0)
	ds_store_2addr_b64 v24, v[1:2], v[3:4] offset1:1
	s_cbranch_vccnz .LBB64_22
; %bb.11:                               ;   in Loop: Header=BB64_9 Depth=1
	s_mov_b32 s30, 0
	s_mov_b32 s31, 0
.LBB64_12:                              ;   Parent Loop BB64_9 Depth=1
                                        ; =>  This Inner Loop Header: Depth=2
	s_ashr_i32 s25, s24, 31
                                        ; implicit-def: $sgpr33
	s_delay_alu instid0(SALU_CYCLE_1) | instskip(NEXT) | instid1(SALU_CYCLE_1)
	s_lshl_b64 s[34:35], s[24:25], 2
	s_add_u32 s34, s14, s34
	s_addc_u32 s35, s15, s35
	s_lshl_b32 s23, s31, 2
	s_delay_alu instid0(SALU_CYCLE_1)
	v_mov_b32_e32 v1, s23
	s_load_b32 s23, s[34:35], 0x0
	s_mov_b32 s35, -1
                                        ; implicit-def: $sgpr34
	ds_load_b32 v1, v1 offset:2944
	s_waitcnt lgkmcnt(0)
	s_sub_i32 s36, s23, s17
                                        ; implicit-def: $sgpr23
	s_delay_alu instid0(SALU_CYCLE_1)
	v_cmp_ge_i32_e32 vcc_lo, s36, v1
	v_readfirstlane_b32 s25, v1
	s_cbranch_vccz .LBB64_18
; %bb.13:                               ;   in Loop: Header=BB64_12 Depth=2
	s_delay_alu instid0(VALU_DEP_1)
	s_cmp_le_i32 s36, s25
                                        ; implicit-def: $sgpr23
                                        ; implicit-def: $sgpr34
                                        ; implicit-def: $sgpr33
	s_cbranch_scc0 .LBB64_15
; %bb.14:                               ;   in Loop: Header=BB64_12 Depth=2
	s_add_i32 s23, s31, s27
	s_lshl_b32 s33, s30, 2
	s_mul_i32 s23, s23, 36
	s_mul_i32 s34, s24, 36
	s_delay_alu instid0(SALU_CYCLE_1)
	v_dual_mov_b32 v1, s23 :: v_dual_mov_b32 v2, s34
	v_add_nc_u32_e64 v3, 0x800, s33
	s_add_i32 s33, s31, 1
	s_add_i32 s34, s24, 1
	;; [unrolled: 1-line block ×3, first 2 shown]
	s_mov_b32 s35, 0
	ds_store_2addr_b32 v3, v2, v1 offset0:160 offset1:192
.LBB64_15:                              ;   in Loop: Header=BB64_12 Depth=2
	s_and_not1_b32 vcc_lo, exec_lo, s35
	s_cbranch_vccnz .LBB64_17
; %bb.16:                               ;   in Loop: Header=BB64_12 Depth=2
	s_add_i32 s33, s31, 1
	s_mov_b32 s23, s30
	s_mov_b32 s34, s24
.LBB64_17:                              ;   in Loop: Header=BB64_12 Depth=2
	s_mov_b32 s35, 0
.LBB64_18:                              ;   in Loop: Header=BB64_12 Depth=2
	s_delay_alu instid0(SALU_CYCLE_1)
	s_and_not1_b32 vcc_lo, exec_lo, s35
	s_cbranch_vccnz .LBB64_20
; %bb.19:                               ;   in Loop: Header=BB64_12 Depth=2
	s_add_i32 s34, s24, 1
	s_mov_b32 s33, s31
	s_mov_b32 s23, s30
.LBB64_20:                              ;   in Loop: Header=BB64_12 Depth=2
	s_cmp_le_i32 s34, s1
	s_cselect_b32 s24, -1, 0
	s_cmp_le_i32 s25, s22
	s_cselect_b32 s25, -1, 0
	s_delay_alu instid0(SALU_CYCLE_1) | instskip(NEXT) | instid1(SALU_CYCLE_1)
	s_and_b32 s24, s24, s25
	s_and_b32 vcc_lo, exec_lo, s24
	s_cbranch_vccz .LBB64_22
; %bb.21:                               ;   in Loop: Header=BB64_12 Depth=2
	s_mov_b32 s30, s23
	s_mov_b32 s24, s34
	;; [unrolled: 1-line block ×3, first 2 shown]
	s_branch .LBB64_12
.LBB64_22:                              ;   in Loop: Header=BB64_9 Depth=1
	s_add_u32 s20, s6, s20
	s_addc_u32 s21, s7, s21
	s_waitcnt lgkmcnt(0)
	buffer_gl0_inv
.LBB64_23:                              ;   Parent Loop BB64_9 Depth=1
                                        ; =>  This Inner Loop Header: Depth=2
	global_load_b32 v1, v0, s[20:21] glc
	s_waitcnt vmcnt(0)
	v_cmp_eq_u32_e32 vcc_lo, 0, v1
	s_cbranch_vccnz .LBB64_23
; %bb.24:                               ;   in Loop: Header=BB64_9 Depth=1
	v_mad_u64_u32 v[1:2], null, s1, 36, v[5:6]
	buffer_gl1_inv
	buffer_gl0_inv
	v_mov_b32_e32 v3, 0
	v_mov_b32_e32 v4, 0
	s_cmp_lt_i32 s23, 2
	v_ashrrev_i32_e32 v2, 31, v1
	s_delay_alu instid0(VALU_DEP_1) | instskip(NEXT) | instid1(VALU_DEP_1)
	v_lshlrev_b64 v[1:2], 4, v[1:2]
	v_add_co_u32 v1, vcc_lo, s18, v1
	s_delay_alu instid0(VALU_DEP_2)
	v_add_co_ci_u32_e32 v2, vcc_lo, s19, v2, vcc_lo
	global_load_b128 v[8:11], v[1:2], off
	v_dual_mov_b32 v1, v3 :: v_dual_mov_b32 v2, v4
	s_waitcnt vmcnt(0)
	ds_store_2addr_b64 v19, v[8:9], v[10:11] offset1:1
	s_waitcnt lgkmcnt(0)
	buffer_gl0_inv
	s_cbranch_scc1 .LBB64_31
; %bb.25:                               ;   in Loop: Header=BB64_9 Depth=1
	v_mov_b32_e32 v8, 0
	v_mov_b32_e32 v9, 0
	s_add_i32 s1, s23, -1
	s_movk_i32 s20, 0xa80
	s_delay_alu instid0(VALU_DEP_1)
	v_dual_mov_b32 v11, v9 :: v_dual_mov_b32 v10, v8
	v_mov_b32_e32 v1, s20
	s_and_b32 vcc_lo, exec_lo, s29
	ds_load_2addr_b32 v[12:13], v1 offset1:32
	s_cbranch_vccz .LBB64_27
.LBB64_26:                              ;   in Loop: Header=BB64_9 Depth=1
	s_waitcnt lgkmcnt(0)
	v_add_nc_u32_e32 v63, v12, v14
	v_add_nc_u32_e32 v65, v13, v15
	s_delay_alu instid0(VALU_DEP_2) | instskip(NEXT) | instid1(VALU_DEP_2)
	v_ashrrev_i32_e32 v64, 31, v63
	v_ashrrev_i32_e32 v66, 31, v65
	v_add_nc_u32_e32 v31, 6, v63
	v_add_nc_u32_e32 v33, 6, v65
	;; [unrolled: 1-line block ×3, first 2 shown]
	v_lshlrev_b64 v[1:2], 4, v[63:64]
	v_lshlrev_b64 v[3:4], 4, v[65:66]
	v_ashrrev_i32_e32 v32, 31, v31
	v_ashrrev_i32_e32 v34, 31, v33
	v_add_nc_u32_e32 v41, 12, v65
	v_ashrrev_i32_e32 v40, 31, v39
	v_add_co_u32 v1, vcc_lo, s18, v1
	v_add_co_ci_u32_e32 v2, vcc_lo, s19, v2, vcc_lo
	v_add_co_u32 v27, vcc_lo, s18, v3
	v_add_co_ci_u32_e32 v28, vcc_lo, s19, v4, vcc_lo
	v_lshlrev_b64 v[31:32], 4, v[31:32]
	s_clause 0x1
	global_load_b128 v[1:4], v[1:2], off
	global_load_b128 v[27:30], v[27:28], off
	v_lshlrev_b64 v[33:34], 4, v[33:34]
	v_ashrrev_i32_e32 v42, 31, v41
	v_lshlrev_b64 v[39:40], 4, v[39:40]
	v_add_co_u32 v31, vcc_lo, s18, v31
	v_add_co_ci_u32_e32 v32, vcc_lo, s19, v32, vcc_lo
	v_add_co_u32 v35, vcc_lo, s18, v33
	v_add_co_ci_u32_e32 v36, vcc_lo, s19, v34, vcc_lo
	s_clause 0x1
	global_load_b128 v[31:34], v[31:32], off
	global_load_b128 v[35:38], v[35:36], off
	v_lshlrev_b64 v[41:42], 4, v[41:42]
	v_add_co_u32 v39, vcc_lo, s18, v39
	v_add_co_ci_u32_e32 v40, vcc_lo, s19, v40, vcc_lo
	v_add_nc_u32_e32 v47, 18, v63
	s_delay_alu instid0(VALU_DEP_4)
	v_add_co_u32 v43, vcc_lo, s18, v41
	v_add_co_ci_u32_e32 v44, vcc_lo, s19, v42, vcc_lo
	s_clause 0x1
	global_load_b128 v[39:42], v[39:40], off
	global_load_b128 v[43:46], v[43:44], off
	v_add_nc_u32_e32 v49, 18, v65
	v_ashrrev_i32_e32 v48, 31, v47
	v_add_nc_u32_e32 v55, 24, v63
	v_add_nc_u32_e32 v57, 24, v65
	;; [unrolled: 1-line block ×3, first 2 shown]
	v_ashrrev_i32_e32 v50, 31, v49
	v_lshlrev_b64 v[47:48], 4, v[47:48]
	v_ashrrev_i32_e32 v56, 31, v55
	v_ashrrev_i32_e32 v58, 31, v57
	v_add_nc_u32_e32 v65, 30, v65
	v_lshlrev_b64 v[49:50], 4, v[49:50]
	v_ashrrev_i32_e32 v64, 31, v63
	v_add_co_u32 v47, vcc_lo, s18, v47
	v_add_co_ci_u32_e32 v48, vcc_lo, s19, v48, vcc_lo
	s_delay_alu instid0(VALU_DEP_4)
	v_add_co_u32 v51, vcc_lo, s18, v49
	v_add_co_ci_u32_e32 v52, vcc_lo, s19, v50, vcc_lo
	s_clause 0x1
	global_load_b128 v[47:50], v[47:48], off
	global_load_b128 v[51:54], v[51:52], off
	v_lshlrev_b64 v[55:56], 4, v[55:56]
	v_lshlrev_b64 v[57:58], 4, v[57:58]
	s_delay_alu instid0(VALU_DEP_2) | instskip(NEXT) | instid1(VALU_DEP_3)
	v_add_co_u32 v55, vcc_lo, s18, v55
	v_add_co_ci_u32_e32 v56, vcc_lo, s19, v56, vcc_lo
	s_delay_alu instid0(VALU_DEP_3) | instskip(NEXT) | instid1(VALU_DEP_4)
	v_add_co_u32 v59, vcc_lo, s18, v57
	v_add_co_ci_u32_e32 v60, vcc_lo, s19, v58, vcc_lo
	s_clause 0x1
	global_load_b128 v[55:58], v[55:56], off
	global_load_b128 v[59:62], v[59:60], off
	s_waitcnt vmcnt(8)
	v_fma_f64 v[66:67], v[1:2], v[27:28], v[10:11]
	v_fma_f64 v[27:28], v[3:4], v[27:28], v[8:9]
	s_delay_alu instid0(VALU_DEP_2) | instskip(NEXT) | instid1(VALU_DEP_2)
	v_fma_f64 v[67:68], v[3:4], v[29:30], v[66:67]
	v_fma_f64 v[69:70], v[1:2], -v[29:30], v[27:28]
	v_ashrrev_i32_e32 v66, 31, v65
	v_lshlrev_b64 v[1:2], 4, v[63:64]
	s_delay_alu instid0(VALU_DEP_2) | instskip(NEXT) | instid1(VALU_DEP_2)
	v_lshlrev_b64 v[3:4], 4, v[65:66]
	v_add_co_u32 v1, vcc_lo, s18, v1
	s_delay_alu instid0(VALU_DEP_3) | instskip(NEXT) | instid1(VALU_DEP_3)
	v_add_co_ci_u32_e32 v2, vcc_lo, s19, v2, vcc_lo
	v_add_co_u32 v3, vcc_lo, s18, v3
	s_delay_alu instid0(VALU_DEP_4)
	v_add_co_ci_u32_e32 v4, vcc_lo, s19, v4, vcc_lo
	s_clause 0x1
	global_load_b128 v[27:30], v[1:2], off
	global_load_b128 v[1:4], v[3:4], off
	s_waitcnt vmcnt(8)
	v_fma_f64 v[63:64], v[31:32], v[35:36], v[67:68]
	v_fma_f64 v[35:36], v[33:34], v[35:36], v[69:70]
	s_delay_alu instid0(VALU_DEP_2) | instskip(NEXT) | instid1(VALU_DEP_2)
	v_fma_f64 v[33:34], v[33:34], v[37:38], v[63:64]
	v_fma_f64 v[31:32], v[31:32], -v[37:38], v[35:36]
	s_waitcnt vmcnt(6)
	s_delay_alu instid0(VALU_DEP_2) | instskip(NEXT) | instid1(VALU_DEP_2)
	v_fma_f64 v[33:34], v[39:40], v[43:44], v[33:34]
	v_fma_f64 v[31:32], v[41:42], v[43:44], v[31:32]
	s_delay_alu instid0(VALU_DEP_2) | instskip(NEXT) | instid1(VALU_DEP_2)
	v_fma_f64 v[33:34], v[41:42], v[45:46], v[33:34]
	v_fma_f64 v[31:32], v[39:40], -v[45:46], v[31:32]
	s_waitcnt vmcnt(4)
	s_delay_alu instid0(VALU_DEP_2) | instskip(NEXT) | instid1(VALU_DEP_2)
	;; [unrolled: 7-line block ×4, first 2 shown]
	v_fma_f64 v[33:34], v[27:28], v[1:2], v[33:34]
	v_fma_f64 v[31:32], v[29:30], v[1:2], v[31:32]
	s_delay_alu instid0(VALU_DEP_2) | instskip(NEXT) | instid1(VALU_DEP_2)
	v_fma_f64 v[1:2], v[29:30], v[3:4], v[33:34]
	v_fma_f64 v[3:4], v[27:28], -v[3:4], v[31:32]
	s_cbranch_execz .LBB64_28
	s_branch .LBB64_29
.LBB64_27:                              ;   in Loop: Header=BB64_9 Depth=1
                                        ; implicit-def: $vgpr3_vgpr4
.LBB64_28:                              ;   in Loop: Header=BB64_9 Depth=1
	s_waitcnt lgkmcnt(0)
	v_add_nc_u32_e32 v1, v12, v23
	v_add_nc_u32_e32 v3, v13, v20
	s_delay_alu instid0(VALU_DEP_2) | instskip(NEXT) | instid1(VALU_DEP_2)
	v_ashrrev_i32_e32 v2, 31, v1
	v_ashrrev_i32_e32 v4, 31, v3
	s_delay_alu instid0(VALU_DEP_2) | instskip(NEXT) | instid1(VALU_DEP_2)
	v_lshlrev_b64 v[1:2], 4, v[1:2]
	v_lshlrev_b64 v[3:4], 4, v[3:4]
	s_delay_alu instid0(VALU_DEP_2) | instskip(NEXT) | instid1(VALU_DEP_3)
	v_add_co_u32 v12, vcc_lo, s18, v1
	v_add_co_ci_u32_e32 v13, vcc_lo, s19, v2, vcc_lo
	s_delay_alu instid0(VALU_DEP_3) | instskip(NEXT) | instid1(VALU_DEP_4)
	v_add_co_u32 v63, vcc_lo, s18, v3
	v_add_co_ci_u32_e32 v64, vcc_lo, s19, v4, vcc_lo
	s_clause 0x9
	global_load_b128 v[1:4], v[12:13], off
	global_load_b128 v[27:30], v[63:64], off
	global_load_b128 v[31:34], v[12:13], off offset:16
	global_load_b128 v[35:38], v[63:64], off offset:16
	;; [unrolled: 1-line block ×8, first 2 shown]
	s_waitcnt vmcnt(8)
	v_fma_f64 v[10:11], v[1:2], v[27:28], v[10:11]
	v_fma_f64 v[8:9], v[3:4], v[27:28], v[8:9]
	s_delay_alu instid0(VALU_DEP_2) | instskip(NEXT) | instid1(VALU_DEP_2)
	v_fma_f64 v[27:28], v[3:4], v[29:30], v[10:11]
	v_fma_f64 v[29:30], v[1:2], -v[29:30], v[8:9]
	s_clause 0x1
	global_load_b128 v[8:11], v[12:13], off offset:80
	global_load_b128 v[1:4], v[63:64], off offset:80
	s_waitcnt vmcnt(8)
	v_fma_f64 v[12:13], v[31:32], v[35:36], v[27:28]
	v_fma_f64 v[27:28], v[33:34], v[35:36], v[29:30]
	s_delay_alu instid0(VALU_DEP_2) | instskip(NEXT) | instid1(VALU_DEP_2)
	v_fma_f64 v[12:13], v[33:34], v[37:38], v[12:13]
	v_fma_f64 v[27:28], v[31:32], -v[37:38], v[27:28]
	s_waitcnt vmcnt(6)
	s_delay_alu instid0(VALU_DEP_2) | instskip(NEXT) | instid1(VALU_DEP_2)
	v_fma_f64 v[12:13], v[39:40], v[43:44], v[12:13]
	v_fma_f64 v[27:28], v[41:42], v[43:44], v[27:28]
	s_delay_alu instid0(VALU_DEP_2) | instskip(NEXT) | instid1(VALU_DEP_2)
	v_fma_f64 v[12:13], v[41:42], v[45:46], v[12:13]
	v_fma_f64 v[27:28], v[39:40], -v[45:46], v[27:28]
	s_waitcnt vmcnt(4)
	s_delay_alu instid0(VALU_DEP_2) | instskip(NEXT) | instid1(VALU_DEP_2)
	;; [unrolled: 7-line block ×4, first 2 shown]
	v_fma_f64 v[12:13], v[8:9], v[1:2], v[12:13]
	v_fma_f64 v[27:28], v[10:11], v[1:2], v[27:28]
	s_delay_alu instid0(VALU_DEP_2) | instskip(NEXT) | instid1(VALU_DEP_2)
	v_fma_f64 v[1:2], v[10:11], v[3:4], v[12:13]
	v_fma_f64 v[3:4], v[8:9], -v[3:4], v[27:28]
.LBB64_29:                              ;   in Loop: Header=BB64_9 Depth=1
	s_add_i32 s1, s1, -1
	s_add_i32 s20, s20, 4
	s_cmp_eq_u32 s1, 0
	s_cbranch_scc1 .LBB64_31
; %bb.30:                               ;   in Loop: Header=BB64_9 Depth=1
	s_delay_alu instid0(VALU_DEP_1) | instskip(NEXT) | instid1(VALU_DEP_3)
	v_dual_mov_b32 v9, v4 :: v_dual_mov_b32 v8, v3
	v_dual_mov_b32 v11, v2 :: v_dual_mov_b32 v10, v1
	v_mov_b32_e32 v1, s20
	s_and_b32 vcc_lo, exec_lo, s29
	s_waitcnt lgkmcnt(0)
	ds_load_2addr_b32 v[12:13], v1 offset1:32
	s_cbranch_vccz .LBB64_27
	s_branch .LBB64_26
.LBB64_31:                              ;   in Loop: Header=BB64_9 Depth=1
	ds_store_b128 v25, v[1:4]
	s_waitcnt lgkmcnt(0)
	buffer_gl0_inv
	ds_load_b128 v[8:11], v0
	ds_load_b128 v[1:4], v21
	s_waitcnt lgkmcnt(1)
	v_cmp_neq_f64_e32 vcc_lo, 0, v[8:9]
	v_cmp_neq_f64_e64 s1, 0, v[10:11]
	s_delay_alu instid0(VALU_DEP_1) | instskip(SKIP_4) | instid1(SALU_CYCLE_1)
	s_or_b32 vcc_lo, vcc_lo, s1
	v_cndmask_b32_e32 v9, 0x3ff00000, v9, vcc_lo
	v_dual_cndmask_b32 v8, 0, v8 :: v_dual_cndmask_b32 v11, 0, v11
	v_cndmask_b32_e32 v10, 0, v10, vcc_lo
	s_or_b32 s1, vcc_lo, s0
	s_xor_b32 s20, s1, -1
	s_delay_alu instid0(SALU_CYCLE_1)
	s_and_saveexec_b32 s1, s20
	s_cbranch_execz .LBB64_35
; %bb.32:                               ;   in Loop: Header=BB64_9 Depth=1
	v_mbcnt_lo_u32_b32 v8, exec_lo, 0
	s_mov_b32 s20, exec_lo
	s_delay_alu instid0(VALU_DEP_1)
	v_cmpx_eq_u32_e32 0, v8
	s_cbranch_execz .LBB64_34
; %bb.33:                               ;   in Loop: Header=BB64_9 Depth=1
	v_mov_b32_e32 v8, s3
	global_atomic_min_i32 v0, v8, s[10:11]
.LBB64_34:                              ;   in Loop: Header=BB64_9 Depth=1
	s_or_b32 exec_lo, exec_lo, s20
	v_mov_b32_e32 v8, 0
	v_dual_mov_b32 v9, 0x3ff00000 :: v_dual_mov_b32 v10, 0
	v_mov_b32_e32 v11, 0
.LBB64_35:                              ;   in Loop: Header=BB64_9 Depth=1
	s_or_b32 exec_lo, exec_lo, s1
	s_delay_alu instid0(VALU_DEP_1) | instskip(NEXT) | instid1(VALU_DEP_1)
	v_mul_f64 v[12:13], v[10:11], v[10:11]
	v_fma_f64 v[12:13], v[8:9], v[8:9], v[12:13]
	s_delay_alu instid0(VALU_DEP_1) | instskip(SKIP_1) | instid1(VALU_DEP_2)
	v_div_scale_f64 v[31:32], null, v[12:13], v[12:13], 1.0
	v_div_scale_f64 v[33:34], vcc_lo, 1.0, v[12:13], 1.0
	v_rcp_f64_e32 v[27:28], v[31:32]
	s_waitcnt_depctr 0xfff
	v_fma_f64 v[29:30], -v[31:32], v[27:28], 1.0
	s_delay_alu instid0(VALU_DEP_1) | instskip(NEXT) | instid1(VALU_DEP_1)
	v_fma_f64 v[27:28], v[27:28], v[29:30], v[27:28]
	v_fma_f64 v[29:30], -v[31:32], v[27:28], 1.0
	s_delay_alu instid0(VALU_DEP_1)
	v_fma_f64 v[35:36], v[27:28], v[29:30], v[27:28]
	ds_load_b128 v[27:30], v22
	s_waitcnt lgkmcnt(0)
	v_add_f64 v[3:4], v[3:4], -v[29:30]
	v_add_f64 v[1:2], v[1:2], -v[27:28]
	v_mul_f64 v[37:38], v[33:34], v[35:36]
	s_delay_alu instid0(VALU_DEP_3) | instskip(NEXT) | instid1(VALU_DEP_3)
	v_mul_f64 v[27:28], v[10:11], v[3:4]
	v_mul_f64 v[10:11], v[10:11], -v[1:2]
	s_delay_alu instid0(VALU_DEP_3) | instskip(NEXT) | instid1(VALU_DEP_3)
	v_fma_f64 v[29:30], -v[31:32], v[37:38], v[33:34]
	v_fma_f64 v[1:2], v[1:2], v[8:9], v[27:28]
	s_delay_alu instid0(VALU_DEP_3) | instskip(NEXT) | instid1(VALU_DEP_3)
	v_fma_f64 v[3:4], v[3:4], v[8:9], v[10:11]
	v_div_fmas_f64 v[29:30], v[29:30], v[35:36], v[37:38]
	s_delay_alu instid0(VALU_DEP_1) | instskip(NEXT) | instid1(VALU_DEP_1)
	v_div_fixup_f64 v[12:13], v[29:30], v[12:13], 1.0
	v_mul_f64 v[1:2], v[12:13], v[1:2]
	s_delay_alu instid0(VALU_DEP_4)
	v_mul_f64 v[3:4], v[12:13], v[3:4]
	ds_store_b128 v21, v[1:4]
	s_waitcnt lgkmcnt(0)
	s_waitcnt_vscnt null, 0x0
	buffer_gl0_inv
	ds_load_b128 v[8:11], v26
	ds_load_b128 v[27:30], v18
	s_waitcnt lgkmcnt(0)
	v_fma_f64 v[12:13], v[1:2], v[8:9], v[27:28]
	v_fma_f64 v[27:28], v[3:4], v[8:9], v[29:30]
	s_delay_alu instid0(VALU_DEP_2) | instskip(NEXT) | instid1(VALU_DEP_2)
	v_fma_f64 v[8:9], v[3:4], v[10:11], v[12:13]
	v_fma_f64 v[10:11], v[1:2], -v[10:11], v[27:28]
	ds_store_b128 v18, v[8:11]
	s_waitcnt lgkmcnt(0)
	buffer_gl0_inv
	ds_load_b128 v[8:11], v0 offset:128
	ds_load_b128 v[1:4], v21 offset:16
	s_waitcnt lgkmcnt(1)
	v_cmp_neq_f64_e32 vcc_lo, 0, v[8:9]
	v_cmp_neq_f64_e64 s1, 0, v[10:11]
	s_delay_alu instid0(VALU_DEP_1) | instskip(SKIP_4) | instid1(SALU_CYCLE_1)
	s_or_b32 vcc_lo, vcc_lo, s1
	v_cndmask_b32_e32 v9, 0x3ff00000, v9, vcc_lo
	v_dual_cndmask_b32 v8, 0, v8 :: v_dual_cndmask_b32 v11, 0, v11
	v_cndmask_b32_e32 v10, 0, v10, vcc_lo
	s_or_b32 s1, vcc_lo, s0
	s_xor_b32 s20, s1, -1
	s_delay_alu instid0(SALU_CYCLE_1)
	s_and_saveexec_b32 s1, s20
	s_cbranch_execz .LBB64_39
; %bb.36:                               ;   in Loop: Header=BB64_9 Depth=1
	v_mbcnt_lo_u32_b32 v8, exec_lo, 0
	s_mov_b32 s20, exec_lo
	s_delay_alu instid0(VALU_DEP_1)
	v_cmpx_eq_u32_e32 0, v8
	s_cbranch_execz .LBB64_38
; %bb.37:                               ;   in Loop: Header=BB64_9 Depth=1
	v_mov_b32_e32 v8, s3
	global_atomic_min_i32 v0, v8, s[10:11]
.LBB64_38:                              ;   in Loop: Header=BB64_9 Depth=1
	s_or_b32 exec_lo, exec_lo, s20
	v_mov_b32_e32 v8, 0
	v_dual_mov_b32 v9, 0x3ff00000 :: v_dual_mov_b32 v10, 0
	v_mov_b32_e32 v11, 0
.LBB64_39:                              ;   in Loop: Header=BB64_9 Depth=1
	s_or_b32 exec_lo, exec_lo, s1
	s_delay_alu instid0(VALU_DEP_1) | instskip(NEXT) | instid1(VALU_DEP_1)
	v_mul_f64 v[12:13], v[10:11], v[10:11]
	v_fma_f64 v[12:13], v[8:9], v[8:9], v[12:13]
	s_delay_alu instid0(VALU_DEP_1) | instskip(SKIP_1) | instid1(VALU_DEP_2)
	v_div_scale_f64 v[39:40], null, v[12:13], v[12:13], 1.0
	v_div_scale_f64 v[45:46], vcc_lo, 1.0, v[12:13], 1.0
	v_rcp_f64_e32 v[27:28], v[39:40]
	s_waitcnt_depctr 0xfff
	v_fma_f64 v[29:30], -v[39:40], v[27:28], 1.0
	s_delay_alu instid0(VALU_DEP_1)
	v_fma_f64 v[41:42], v[27:28], v[29:30], v[27:28]
	ds_load_b128 v[27:30], v0 offset:112
	ds_load_b128 v[31:34], v21
	ds_load_b128 v[35:38], v22 offset:16
	s_waitcnt lgkmcnt(0)
	v_fma_f64 v[37:38], v[29:30], v[31:32], v[37:38]
	v_fma_f64 v[31:32], v[27:28], v[31:32], v[35:36]
	v_fma_f64 v[43:44], -v[39:40], v[41:42], 1.0
	s_delay_alu instid0(VALU_DEP_3) | instskip(NEXT) | instid1(VALU_DEP_3)
	v_fma_f64 v[27:28], v[27:28], -v[33:34], v[37:38]
	v_fma_f64 v[29:30], v[29:30], v[33:34], v[31:32]
	s_delay_alu instid0(VALU_DEP_3) | instskip(NEXT) | instid1(VALU_DEP_3)
	v_fma_f64 v[41:42], v[41:42], v[43:44], v[41:42]
	v_add_f64 v[3:4], v[3:4], -v[27:28]
	s_delay_alu instid0(VALU_DEP_3) | instskip(NEXT) | instid1(VALU_DEP_3)
	v_add_f64 v[1:2], v[1:2], -v[29:30]
	v_mul_f64 v[35:36], v[45:46], v[41:42]
	s_delay_alu instid0(VALU_DEP_3) | instskip(NEXT) | instid1(VALU_DEP_3)
	v_mul_f64 v[29:30], v[10:11], v[3:4]
	v_mul_f64 v[10:11], v[10:11], -v[1:2]
	s_delay_alu instid0(VALU_DEP_3) | instskip(NEXT) | instid1(VALU_DEP_3)
	v_fma_f64 v[27:28], -v[39:40], v[35:36], v[45:46]
	v_fma_f64 v[1:2], v[1:2], v[8:9], v[29:30]
	s_delay_alu instid0(VALU_DEP_3) | instskip(NEXT) | instid1(VALU_DEP_3)
	v_fma_f64 v[3:4], v[3:4], v[8:9], v[10:11]
	v_div_fmas_f64 v[27:28], v[27:28], v[41:42], v[35:36]
	s_delay_alu instid0(VALU_DEP_1) | instskip(NEXT) | instid1(VALU_DEP_1)
	v_div_fixup_f64 v[12:13], v[27:28], v[12:13], 1.0
	v_mul_f64 v[1:2], v[12:13], v[1:2]
	s_delay_alu instid0(VALU_DEP_4)
	v_mul_f64 v[3:4], v[12:13], v[3:4]
	ds_store_b128 v21, v[1:4] offset:16
	s_waitcnt lgkmcnt(0)
	s_waitcnt_vscnt null, 0x0
	buffer_gl0_inv
	ds_load_b128 v[8:11], v26 offset:16
	ds_load_b128 v[27:30], v18
	s_waitcnt lgkmcnt(0)
	v_fma_f64 v[12:13], v[1:2], v[8:9], v[27:28]
	v_fma_f64 v[27:28], v[3:4], v[8:9], v[29:30]
	s_delay_alu instid0(VALU_DEP_2) | instskip(NEXT) | instid1(VALU_DEP_2)
	v_fma_f64 v[8:9], v[3:4], v[10:11], v[12:13]
	v_fma_f64 v[10:11], v[1:2], -v[10:11], v[27:28]
	ds_store_b128 v18, v[8:11]
	s_waitcnt lgkmcnt(0)
	buffer_gl0_inv
	ds_load_b128 v[8:11], v0 offset:256
	ds_load_b128 v[1:4], v21 offset:32
	s_waitcnt lgkmcnt(1)
	v_cmp_neq_f64_e32 vcc_lo, 0, v[8:9]
	v_cmp_neq_f64_e64 s1, 0, v[10:11]
	s_delay_alu instid0(VALU_DEP_1) | instskip(SKIP_4) | instid1(SALU_CYCLE_1)
	s_or_b32 vcc_lo, vcc_lo, s1
	v_cndmask_b32_e32 v9, 0x3ff00000, v9, vcc_lo
	v_dual_cndmask_b32 v8, 0, v8 :: v_dual_cndmask_b32 v11, 0, v11
	v_cndmask_b32_e32 v10, 0, v10, vcc_lo
	s_or_b32 s1, vcc_lo, s0
	s_xor_b32 s20, s1, -1
	s_delay_alu instid0(SALU_CYCLE_1)
	s_and_saveexec_b32 s1, s20
	s_cbranch_execz .LBB64_43
; %bb.40:                               ;   in Loop: Header=BB64_9 Depth=1
	v_mbcnt_lo_u32_b32 v8, exec_lo, 0
	s_mov_b32 s20, exec_lo
	s_delay_alu instid0(VALU_DEP_1)
	v_cmpx_eq_u32_e32 0, v8
	s_cbranch_execz .LBB64_42
; %bb.41:                               ;   in Loop: Header=BB64_9 Depth=1
	v_mov_b32_e32 v8, s3
	global_atomic_min_i32 v0, v8, s[10:11]
.LBB64_42:                              ;   in Loop: Header=BB64_9 Depth=1
	s_or_b32 exec_lo, exec_lo, s20
	v_mov_b32_e32 v8, 0
	v_dual_mov_b32 v9, 0x3ff00000 :: v_dual_mov_b32 v10, 0
	v_mov_b32_e32 v11, 0
.LBB64_43:                              ;   in Loop: Header=BB64_9 Depth=1
	s_or_b32 exec_lo, exec_lo, s1
	s_delay_alu instid0(VALU_DEP_1)
	v_mul_f64 v[12:13], v[10:11], v[10:11]
	ds_load_b128 v[27:30], v0 offset:224
	ds_load_b128 v[31:34], v22 offset:32
	ds_load_b128 v[35:38], v21
	ds_load_b128 v[39:42], v21 offset:16
	s_waitcnt lgkmcnt(1)
	v_fma_f64 v[33:34], v[29:30], v[35:36], v[33:34]
	v_fma_f64 v[31:32], v[27:28], v[35:36], v[31:32]
	;; [unrolled: 1-line block ×3, first 2 shown]
	s_delay_alu instid0(VALU_DEP_3) | instskip(NEXT) | instid1(VALU_DEP_3)
	v_fma_f64 v[33:34], v[27:28], -v[37:38], v[33:34]
	v_fma_f64 v[31:32], v[29:30], v[37:38], v[31:32]
	ds_load_b128 v[27:30], v0 offset:240
	v_div_scale_f64 v[43:44], null, v[12:13], v[12:13], 1.0
	v_div_scale_f64 v[37:38], vcc_lo, 1.0, v[12:13], 1.0
	s_waitcnt lgkmcnt(0)
	v_fma_f64 v[33:34], v[29:30], v[39:40], v[33:34]
	v_fma_f64 v[31:32], v[27:28], v[39:40], v[31:32]
	s_delay_alu instid0(VALU_DEP_4) | instskip(NEXT) | instid1(VALU_DEP_2)
	v_rcp_f64_e32 v[45:46], v[43:44]
	v_fma_f64 v[27:28], v[27:28], -v[41:42], v[33:34]
	s_delay_alu instid0(VALU_DEP_2) | instskip(SKIP_4) | instid1(VALU_DEP_3)
	v_fma_f64 v[29:30], v[29:30], v[41:42], v[31:32]
	s_waitcnt_depctr 0xfff
	v_fma_f64 v[47:48], -v[43:44], v[45:46], 1.0
	v_add_f64 v[3:4], v[3:4], -v[27:28]
	v_add_f64 v[1:2], v[1:2], -v[29:30]
	v_fma_f64 v[45:46], v[45:46], v[47:48], v[45:46]
	s_delay_alu instid0(VALU_DEP_3) | instskip(NEXT) | instid1(VALU_DEP_3)
	v_mul_f64 v[29:30], v[10:11], v[3:4]
	v_mul_f64 v[10:11], v[10:11], -v[1:2]
	s_delay_alu instid0(VALU_DEP_3) | instskip(NEXT) | instid1(VALU_DEP_3)
	v_fma_f64 v[35:36], -v[43:44], v[45:46], 1.0
	v_fma_f64 v[1:2], v[1:2], v[8:9], v[29:30]
	s_delay_alu instid0(VALU_DEP_3) | instskip(NEXT) | instid1(VALU_DEP_3)
	v_fma_f64 v[3:4], v[3:4], v[8:9], v[10:11]
	v_fma_f64 v[35:36], v[45:46], v[35:36], v[45:46]
	s_delay_alu instid0(VALU_DEP_1) | instskip(NEXT) | instid1(VALU_DEP_1)
	v_mul_f64 v[33:34], v[37:38], v[35:36]
	v_fma_f64 v[27:28], -v[43:44], v[33:34], v[37:38]
	s_delay_alu instid0(VALU_DEP_1) | instskip(NEXT) | instid1(VALU_DEP_1)
	v_div_fmas_f64 v[27:28], v[27:28], v[35:36], v[33:34]
	v_div_fixup_f64 v[12:13], v[27:28], v[12:13], 1.0
	s_delay_alu instid0(VALU_DEP_1)
	v_mul_f64 v[1:2], v[12:13], v[1:2]
	v_mul_f64 v[3:4], v[12:13], v[3:4]
	ds_store_b128 v21, v[1:4] offset:32
	s_waitcnt lgkmcnt(0)
	s_waitcnt_vscnt null, 0x0
	buffer_gl0_inv
	ds_load_b128 v[8:11], v26 offset:32
	ds_load_b128 v[27:30], v18
	s_waitcnt lgkmcnt(0)
	v_fma_f64 v[12:13], v[1:2], v[8:9], v[27:28]
	v_fma_f64 v[27:28], v[3:4], v[8:9], v[29:30]
	s_delay_alu instid0(VALU_DEP_2) | instskip(NEXT) | instid1(VALU_DEP_2)
	v_fma_f64 v[8:9], v[3:4], v[10:11], v[12:13]
	v_fma_f64 v[10:11], v[1:2], -v[10:11], v[27:28]
	ds_store_b128 v18, v[8:11]
	s_waitcnt lgkmcnt(0)
	buffer_gl0_inv
	ds_load_b128 v[8:11], v0 offset:384
	ds_load_b128 v[1:4], v21 offset:48
	s_waitcnt lgkmcnt(1)
	v_cmp_neq_f64_e32 vcc_lo, 0, v[8:9]
	v_cmp_neq_f64_e64 s1, 0, v[10:11]
	s_delay_alu instid0(VALU_DEP_1) | instskip(SKIP_4) | instid1(SALU_CYCLE_1)
	s_or_b32 vcc_lo, vcc_lo, s1
	v_cndmask_b32_e32 v9, 0x3ff00000, v9, vcc_lo
	v_dual_cndmask_b32 v8, 0, v8 :: v_dual_cndmask_b32 v11, 0, v11
	v_cndmask_b32_e32 v10, 0, v10, vcc_lo
	s_or_b32 s1, vcc_lo, s0
	s_xor_b32 s20, s1, -1
	s_delay_alu instid0(SALU_CYCLE_1)
	s_and_saveexec_b32 s1, s20
	s_cbranch_execz .LBB64_47
; %bb.44:                               ;   in Loop: Header=BB64_9 Depth=1
	v_mbcnt_lo_u32_b32 v8, exec_lo, 0
	s_mov_b32 s20, exec_lo
	s_delay_alu instid0(VALU_DEP_1)
	v_cmpx_eq_u32_e32 0, v8
	s_cbranch_execz .LBB64_46
; %bb.45:                               ;   in Loop: Header=BB64_9 Depth=1
	v_mov_b32_e32 v8, s3
	global_atomic_min_i32 v0, v8, s[10:11]
.LBB64_46:                              ;   in Loop: Header=BB64_9 Depth=1
	s_or_b32 exec_lo, exec_lo, s20
	v_mov_b32_e32 v8, 0
	v_dual_mov_b32 v9, 0x3ff00000 :: v_dual_mov_b32 v10, 0
	v_mov_b32_e32 v11, 0
.LBB64_47:                              ;   in Loop: Header=BB64_9 Depth=1
	s_or_b32 exec_lo, exec_lo, s1
	s_delay_alu instid0(VALU_DEP_1)
	v_mul_f64 v[12:13], v[10:11], v[10:11]
	ds_load_b128 v[27:30], v21
	ds_load_b128 v[31:34], v22 offset:48
	ds_load_b128 v[35:38], v0 offset:336
	;; [unrolled: 1-line block ×4, first 2 shown]
	s_waitcnt lgkmcnt(2)
	v_fma_f64 v[33:34], v[37:38], v[27:28], v[33:34]
	v_fma_f64 v[27:28], v[35:36], v[27:28], v[31:32]
	;; [unrolled: 1-line block ×3, first 2 shown]
	s_delay_alu instid0(VALU_DEP_3) | instskip(NEXT) | instid1(VALU_DEP_3)
	v_fma_f64 v[31:32], v[35:36], -v[29:30], v[33:34]
	v_fma_f64 v[27:28], v[37:38], v[29:30], v[27:28]
	s_delay_alu instid0(VALU_DEP_3) | instskip(SKIP_1) | instid1(VALU_DEP_3)
	v_div_scale_f64 v[47:48], null, v[12:13], v[12:13], 1.0
	s_waitcnt lgkmcnt(0)
	v_fma_f64 v[29:30], v[41:42], v[43:44], v[31:32]
	s_delay_alu instid0(VALU_DEP_3) | instskip(SKIP_1) | instid1(VALU_DEP_4)
	v_fma_f64 v[27:28], v[39:40], v[43:44], v[27:28]
	v_div_scale_f64 v[43:44], vcc_lo, 1.0, v[12:13], 1.0
	v_rcp_f64_e32 v[49:50], v[47:48]
	s_delay_alu instid0(VALU_DEP_3) | instskip(NEXT) | instid1(VALU_DEP_3)
	v_fma_f64 v[37:38], v[39:40], -v[45:46], v[29:30]
	v_fma_f64 v[41:42], v[41:42], v[45:46], v[27:28]
	s_waitcnt_depctr 0xfff
	v_fma_f64 v[33:34], -v[47:48], v[49:50], 1.0
	s_delay_alu instid0(VALU_DEP_1)
	v_fma_f64 v[35:36], v[49:50], v[33:34], v[49:50]
	ds_load_b128 v[27:30], v21 offset:32
	ds_load_b128 v[31:34], v0 offset:368
	s_waitcnt lgkmcnt(0)
	v_fma_f64 v[37:38], v[33:34], v[27:28], v[37:38]
	v_fma_f64 v[27:28], v[31:32], v[27:28], v[41:42]
	v_fma_f64 v[39:40], -v[47:48], v[35:36], 1.0
	s_delay_alu instid0(VALU_DEP_3) | instskip(NEXT) | instid1(VALU_DEP_3)
	v_fma_f64 v[31:32], v[31:32], -v[29:30], v[37:38]
	v_fma_f64 v[27:28], v[33:34], v[29:30], v[27:28]
	s_delay_alu instid0(VALU_DEP_3) | instskip(NEXT) | instid1(VALU_DEP_3)
	v_fma_f64 v[35:36], v[35:36], v[39:40], v[35:36]
	v_add_f64 v[3:4], v[3:4], -v[31:32]
	s_delay_alu instid0(VALU_DEP_3) | instskip(NEXT) | instid1(VALU_DEP_3)
	v_add_f64 v[1:2], v[1:2], -v[27:28]
	v_mul_f64 v[37:38], v[43:44], v[35:36]
	s_delay_alu instid0(VALU_DEP_3) | instskip(NEXT) | instid1(VALU_DEP_3)
	v_mul_f64 v[27:28], v[10:11], v[3:4]
	v_mul_f64 v[10:11], v[10:11], -v[1:2]
	s_delay_alu instid0(VALU_DEP_3) | instskip(NEXT) | instid1(VALU_DEP_3)
	v_fma_f64 v[29:30], -v[47:48], v[37:38], v[43:44]
	v_fma_f64 v[1:2], v[1:2], v[8:9], v[27:28]
	s_delay_alu instid0(VALU_DEP_3) | instskip(NEXT) | instid1(VALU_DEP_3)
	v_fma_f64 v[3:4], v[3:4], v[8:9], v[10:11]
	v_div_fmas_f64 v[29:30], v[29:30], v[35:36], v[37:38]
	s_delay_alu instid0(VALU_DEP_1) | instskip(NEXT) | instid1(VALU_DEP_1)
	v_div_fixup_f64 v[12:13], v[29:30], v[12:13], 1.0
	v_mul_f64 v[1:2], v[12:13], v[1:2]
	s_delay_alu instid0(VALU_DEP_4)
	v_mul_f64 v[3:4], v[12:13], v[3:4]
	ds_store_b128 v21, v[1:4] offset:48
	s_waitcnt lgkmcnt(0)
	s_waitcnt_vscnt null, 0x0
	buffer_gl0_inv
	ds_load_b128 v[8:11], v26 offset:48
	ds_load_b128 v[27:30], v18
	s_waitcnt lgkmcnt(0)
	v_fma_f64 v[12:13], v[1:2], v[8:9], v[27:28]
	v_fma_f64 v[27:28], v[3:4], v[8:9], v[29:30]
	s_delay_alu instid0(VALU_DEP_2) | instskip(NEXT) | instid1(VALU_DEP_2)
	v_fma_f64 v[8:9], v[3:4], v[10:11], v[12:13]
	v_fma_f64 v[10:11], v[1:2], -v[10:11], v[27:28]
	ds_store_b128 v18, v[8:11]
	s_waitcnt lgkmcnt(0)
	buffer_gl0_inv
	ds_load_b128 v[8:11], v0 offset:512
	ds_load_b128 v[1:4], v21 offset:64
	s_waitcnt lgkmcnt(1)
	v_cmp_neq_f64_e32 vcc_lo, 0, v[8:9]
	v_cmp_neq_f64_e64 s1, 0, v[10:11]
	s_delay_alu instid0(VALU_DEP_1) | instskip(SKIP_4) | instid1(SALU_CYCLE_1)
	s_or_b32 vcc_lo, vcc_lo, s1
	v_cndmask_b32_e32 v9, 0x3ff00000, v9, vcc_lo
	v_dual_cndmask_b32 v8, 0, v8 :: v_dual_cndmask_b32 v11, 0, v11
	v_cndmask_b32_e32 v10, 0, v10, vcc_lo
	s_or_b32 s1, vcc_lo, s0
	s_xor_b32 s20, s1, -1
	s_delay_alu instid0(SALU_CYCLE_1)
	s_and_saveexec_b32 s1, s20
	s_cbranch_execz .LBB64_51
; %bb.48:                               ;   in Loop: Header=BB64_9 Depth=1
	v_mbcnt_lo_u32_b32 v8, exec_lo, 0
	s_mov_b32 s20, exec_lo
	s_delay_alu instid0(VALU_DEP_1)
	v_cmpx_eq_u32_e32 0, v8
	s_cbranch_execz .LBB64_50
; %bb.49:                               ;   in Loop: Header=BB64_9 Depth=1
	v_mov_b32_e32 v8, s3
	global_atomic_min_i32 v0, v8, s[10:11]
.LBB64_50:                              ;   in Loop: Header=BB64_9 Depth=1
	s_or_b32 exec_lo, exec_lo, s20
	v_mov_b32_e32 v8, 0
	v_dual_mov_b32 v9, 0x3ff00000 :: v_dual_mov_b32 v10, 0
	v_mov_b32_e32 v11, 0
.LBB64_51:                              ;   in Loop: Header=BB64_9 Depth=1
	s_or_b32 exec_lo, exec_lo, s1
	s_delay_alu instid0(VALU_DEP_1)
	v_mul_f64 v[12:13], v[10:11], v[10:11]
	ds_load_b128 v[27:30], v0 offset:448
	ds_load_b128 v[31:34], v22 offset:64
	ds_load_b128 v[35:38], v21
	ds_load_b128 v[39:42], v21 offset:16
	s_waitcnt lgkmcnt(1)
	v_fma_f64 v[33:34], v[29:30], v[35:36], v[33:34]
	v_fma_f64 v[31:32], v[27:28], v[35:36], v[31:32]
	;; [unrolled: 1-line block ×3, first 2 shown]
	s_delay_alu instid0(VALU_DEP_3) | instskip(NEXT) | instid1(VALU_DEP_3)
	v_fma_f64 v[35:36], v[27:28], -v[37:38], v[33:34]
	v_fma_f64 v[37:38], v[29:30], v[37:38], v[31:32]
	ds_load_b128 v[27:30], v0 offset:464
	ds_load_b128 v[31:34], v0 offset:480
	v_div_scale_f64 v[43:44], null, v[12:13], v[12:13], 1.0
	s_waitcnt lgkmcnt(1)
	v_fma_f64 v[35:36], v[29:30], v[39:40], v[35:36]
	v_fma_f64 v[37:38], v[27:28], v[39:40], v[37:38]
	s_delay_alu instid0(VALU_DEP_3) | instskip(NEXT) | instid1(VALU_DEP_2)
	v_rcp_f64_e32 v[45:46], v[43:44]
	v_fma_f64 v[39:40], v[27:28], -v[41:42], v[35:36]
	s_delay_alu instid0(VALU_DEP_2)
	v_fma_f64 v[41:42], v[29:30], v[41:42], v[37:38]
	ds_load_b128 v[27:30], v21 offset:32
	ds_load_b128 v[35:38], v21 offset:48
	v_fma_f64 v[47:48], -v[43:44], v[45:46], 1.0
	s_waitcnt lgkmcnt(1)
	v_fma_f64 v[39:40], v[33:34], v[27:28], v[39:40]
	v_fma_f64 v[27:28], v[31:32], v[27:28], v[41:42]
	v_div_scale_f64 v[41:42], vcc_lo, 1.0, v[12:13], 1.0
	s_delay_alu instid0(VALU_DEP_4) | instskip(NEXT) | instid1(VALU_DEP_4)
	v_fma_f64 v[45:46], v[45:46], v[47:48], v[45:46]
	v_fma_f64 v[31:32], v[31:32], -v[29:30], v[39:40]
	s_delay_alu instid0(VALU_DEP_4)
	v_fma_f64 v[33:34], v[33:34], v[29:30], v[27:28]
	ds_load_b128 v[27:30], v0 offset:496
	v_fma_f64 v[39:40], -v[43:44], v[45:46], 1.0
	s_waitcnt lgkmcnt(0)
	v_fma_f64 v[31:32], v[29:30], v[35:36], v[31:32]
	v_fma_f64 v[33:34], v[27:28], v[35:36], v[33:34]
	s_delay_alu instid0(VALU_DEP_3) | instskip(NEXT) | instid1(VALU_DEP_3)
	v_fma_f64 v[39:40], v[45:46], v[39:40], v[45:46]
	v_fma_f64 v[27:28], v[27:28], -v[37:38], v[31:32]
	s_delay_alu instid0(VALU_DEP_3) | instskip(NEXT) | instid1(VALU_DEP_3)
	v_fma_f64 v[29:30], v[29:30], v[37:38], v[33:34]
	v_mul_f64 v[31:32], v[41:42], v[39:40]
	s_delay_alu instid0(VALU_DEP_3) | instskip(NEXT) | instid1(VALU_DEP_3)
	v_add_f64 v[3:4], v[3:4], -v[27:28]
	v_add_f64 v[1:2], v[1:2], -v[29:30]
	s_delay_alu instid0(VALU_DEP_3) | instskip(NEXT) | instid1(VALU_DEP_3)
	v_fma_f64 v[27:28], -v[43:44], v[31:32], v[41:42]
	v_mul_f64 v[29:30], v[10:11], v[3:4]
	s_delay_alu instid0(VALU_DEP_3) | instskip(NEXT) | instid1(VALU_DEP_3)
	v_mul_f64 v[10:11], v[10:11], -v[1:2]
	v_div_fmas_f64 v[27:28], v[27:28], v[39:40], v[31:32]
	s_delay_alu instid0(VALU_DEP_3) | instskip(NEXT) | instid1(VALU_DEP_3)
	v_fma_f64 v[1:2], v[1:2], v[8:9], v[29:30]
	v_fma_f64 v[3:4], v[3:4], v[8:9], v[10:11]
	s_delay_alu instid0(VALU_DEP_3) | instskip(NEXT) | instid1(VALU_DEP_1)
	v_div_fixup_f64 v[12:13], v[27:28], v[12:13], 1.0
	v_mul_f64 v[1:2], v[12:13], v[1:2]
	s_delay_alu instid0(VALU_DEP_3)
	v_mul_f64 v[3:4], v[12:13], v[3:4]
	ds_store_b128 v21, v[1:4] offset:64
	s_waitcnt lgkmcnt(0)
	s_waitcnt_vscnt null, 0x0
	buffer_gl0_inv
	ds_load_b128 v[8:11], v26 offset:64
	ds_load_b128 v[27:30], v18
	s_waitcnt lgkmcnt(0)
	v_fma_f64 v[12:13], v[1:2], v[8:9], v[27:28]
	v_fma_f64 v[27:28], v[3:4], v[8:9], v[29:30]
	s_delay_alu instid0(VALU_DEP_2) | instskip(NEXT) | instid1(VALU_DEP_2)
	v_fma_f64 v[8:9], v[3:4], v[10:11], v[12:13]
	v_fma_f64 v[10:11], v[1:2], -v[10:11], v[27:28]
	ds_store_b128 v18, v[8:11]
	s_waitcnt lgkmcnt(0)
	buffer_gl0_inv
	ds_load_b128 v[8:11], v0 offset:640
	ds_load_b128 v[1:4], v21 offset:80
	s_waitcnt lgkmcnt(1)
	v_cmp_neq_f64_e32 vcc_lo, 0, v[8:9]
	v_cmp_neq_f64_e64 s1, 0, v[10:11]
	s_delay_alu instid0(VALU_DEP_1) | instskip(SKIP_4) | instid1(SALU_CYCLE_1)
	s_or_b32 vcc_lo, vcc_lo, s1
	v_cndmask_b32_e32 v9, 0x3ff00000, v9, vcc_lo
	v_dual_cndmask_b32 v8, 0, v8 :: v_dual_cndmask_b32 v11, 0, v11
	v_cndmask_b32_e32 v10, 0, v10, vcc_lo
	s_or_b32 s1, vcc_lo, s0
	s_xor_b32 s20, s1, -1
	s_delay_alu instid0(SALU_CYCLE_1)
	s_and_saveexec_b32 s1, s20
	s_cbranch_execz .LBB64_7
; %bb.52:                               ;   in Loop: Header=BB64_9 Depth=1
	v_mbcnt_lo_u32_b32 v8, exec_lo, 0
	s_mov_b32 s20, exec_lo
	s_delay_alu instid0(VALU_DEP_1)
	v_cmpx_eq_u32_e32 0, v8
	s_cbranch_execz .LBB64_6
; %bb.53:                               ;   in Loop: Header=BB64_9 Depth=1
	v_mov_b32_e32 v8, s3
	global_atomic_min_i32 v0, v8, s[10:11]
	s_branch .LBB64_6
.LBB64_54:
	v_mov_b32_e32 v0, v16
	s_cmp_lg_u32 s28, 0
	s_cselect_b32 s3, -1, 0
	s_cmp_eq_u32 s28, 0
	s_cbranch_scc1 .LBB64_56
; %bb.55:
	v_mad_u32_u24 v0, v14, 6, v15
.LBB64_56:
	s_mul_i32 s26, s26, 36
	v_cmp_ne_u32_e64 s1, 0, v15
	s_delay_alu instid0(VALU_DEP_2) | instskip(SKIP_1) | instid1(VALU_DEP_1)
	v_add_nc_u32_e32 v0, s26, v0
	s_mov_b32 s2, exec_lo
	v_ashrrev_i32_e32 v1, 31, v0
	s_delay_alu instid0(VALU_DEP_1) | instskip(NEXT) | instid1(VALU_DEP_1)
	v_lshlrev_b64 v[0:1], 4, v[0:1]
	v_add_co_u32 v0, vcc_lo, s18, v0
	s_delay_alu instid0(VALU_DEP_2)
	v_add_co_ci_u32_e32 v1, vcc_lo, s19, v1, vcc_lo
	global_load_b128 v[0:3], v[0:1], off
	s_waitcnt vmcnt(0)
	ds_store_2addr_b64 v19, v[0:1], v[2:3] offset0:168 offset1:169
	s_waitcnt lgkmcnt(0)
	buffer_gl0_inv
	v_cmpx_eq_u32_e32 0, v15
	s_cbranch_execz .LBB64_65
; %bb.57:
	v_mov_b32_e32 v4, 0
	ds_load_b128 v[0:3], v4 offset:2016
	ds_load_b128 v[4:7], v4 offset:1344
	s_waitcnt lgkmcnt(0)
	v_add_f64 v[0:1], v[4:5], -v[0:1]
	v_add_f64 v[4:5], v[6:7], -v[2:3]
	s_delay_alu instid0(VALU_DEP_2) | instskip(NEXT) | instid1(VALU_DEP_2)
	v_cmp_gt_f64_e32 vcc_lo, 0, v[0:1]
	v_cmp_gt_f64_e64 s0, 0, v[4:5]
	v_xor_b32_e32 v2, 0x80000000, v1
	v_xor_b32_e32 v3, 0x80000000, v5
	s_delay_alu instid0(VALU_DEP_2) | instskip(NEXT) | instid1(VALU_DEP_2)
	v_cndmask_b32_e32 v1, v1, v2, vcc_lo
	v_cndmask_b32_e64 v3, v5, v3, s0
	v_cndmask_b32_e32 v0, v0, v0, vcc_lo
	v_cndmask_b32_e64 v2, v4, v4, s0
	s_delay_alu instid0(VALU_DEP_1)
	v_cmp_ngt_f64_e32 vcc_lo, v[0:1], v[2:3]
	s_cbranch_vccz .LBB64_62
; %bb.58:
	v_cmp_eq_f64_e32 vcc_lo, 0, v[4:5]
	v_mov_b32_e32 v4, 0
	v_mov_b32_e32 v5, 0
	s_cbranch_vccnz .LBB64_60
; %bb.59:
	v_div_scale_f64 v[4:5], null, v[2:3], v[2:3], v[0:1]
	v_div_scale_f64 v[10:11], vcc_lo, v[0:1], v[2:3], v[0:1]
	s_delay_alu instid0(VALU_DEP_2) | instskip(SKIP_2) | instid1(VALU_DEP_1)
	v_rcp_f64_e32 v[6:7], v[4:5]
	s_waitcnt_depctr 0xfff
	v_fma_f64 v[8:9], -v[4:5], v[6:7], 1.0
	v_fma_f64 v[6:7], v[6:7], v[8:9], v[6:7]
	s_delay_alu instid0(VALU_DEP_1) | instskip(NEXT) | instid1(VALU_DEP_1)
	v_fma_f64 v[8:9], -v[4:5], v[6:7], 1.0
	v_fma_f64 v[6:7], v[6:7], v[8:9], v[6:7]
	s_delay_alu instid0(VALU_DEP_1) | instskip(NEXT) | instid1(VALU_DEP_1)
	v_mul_f64 v[8:9], v[10:11], v[6:7]
	v_fma_f64 v[4:5], -v[4:5], v[8:9], v[10:11]
	s_delay_alu instid0(VALU_DEP_1) | instskip(NEXT) | instid1(VALU_DEP_1)
	v_div_fmas_f64 v[4:5], v[4:5], v[6:7], v[8:9]
	v_div_fixup_f64 v[4:5], v[4:5], v[2:3], v[0:1]
	s_delay_alu instid0(VALU_DEP_1) | instskip(NEXT) | instid1(VALU_DEP_1)
	v_fma_f64 v[4:5], v[4:5], v[4:5], 1.0
	v_cmp_gt_f64_e32 vcc_lo, 0x10000000, v[4:5]
	v_cndmask_b32_e64 v6, 0, 1, vcc_lo
	s_and_b32 s0, vcc_lo, exec_lo
	s_cselect_b32 s0, 0xffffff80, 0
	s_delay_alu instid0(VALU_DEP_1) | instskip(NEXT) | instid1(VALU_DEP_1)
	v_lshlrev_b32_e32 v6, 8, v6
	v_ldexp_f64 v[4:5], v[4:5], v6
	s_delay_alu instid0(VALU_DEP_1) | instskip(SKIP_4) | instid1(VALU_DEP_1)
	v_rsq_f64_e32 v[6:7], v[4:5]
	v_cmp_class_f64_e64 vcc_lo, v[4:5], 0x260
	s_waitcnt_depctr 0xfff
	v_mul_f64 v[8:9], v[4:5], v[6:7]
	v_mul_f64 v[6:7], v[6:7], 0.5
	v_fma_f64 v[10:11], -v[6:7], v[8:9], 0.5
	s_delay_alu instid0(VALU_DEP_1) | instskip(SKIP_1) | instid1(VALU_DEP_2)
	v_fma_f64 v[8:9], v[8:9], v[10:11], v[8:9]
	v_fma_f64 v[6:7], v[6:7], v[10:11], v[6:7]
	v_fma_f64 v[10:11], -v[8:9], v[8:9], v[4:5]
	s_delay_alu instid0(VALU_DEP_1) | instskip(NEXT) | instid1(VALU_DEP_1)
	v_fma_f64 v[8:9], v[10:11], v[6:7], v[8:9]
	v_fma_f64 v[10:11], -v[8:9], v[8:9], v[4:5]
	s_delay_alu instid0(VALU_DEP_1) | instskip(NEXT) | instid1(VALU_DEP_1)
	v_fma_f64 v[6:7], v[10:11], v[6:7], v[8:9]
	v_ldexp_f64 v[6:7], v[6:7], s0
	s_delay_alu instid0(VALU_DEP_1) | instskip(NEXT) | instid1(VALU_DEP_1)
	v_dual_cndmask_b32 v5, v7, v5 :: v_dual_cndmask_b32 v4, v6, v4
	v_mul_f64 v[4:5], v[2:3], v[4:5]
.LBB64_60:
	s_cbranch_execz .LBB64_63
	s_branch .LBB64_64
.LBB64_61:
	s_cbranch_execnz .LBB64_144
	s_branch .LBB64_149
.LBB64_62:
                                        ; implicit-def: $vgpr4_vgpr5
.LBB64_63:
	v_div_scale_f64 v[4:5], null, v[0:1], v[0:1], v[2:3]
	v_div_scale_f64 v[10:11], vcc_lo, v[2:3], v[0:1], v[2:3]
	s_delay_alu instid0(VALU_DEP_2) | instskip(SKIP_2) | instid1(VALU_DEP_1)
	v_rcp_f64_e32 v[6:7], v[4:5]
	s_waitcnt_depctr 0xfff
	v_fma_f64 v[8:9], -v[4:5], v[6:7], 1.0
	v_fma_f64 v[6:7], v[6:7], v[8:9], v[6:7]
	s_delay_alu instid0(VALU_DEP_1) | instskip(NEXT) | instid1(VALU_DEP_1)
	v_fma_f64 v[8:9], -v[4:5], v[6:7], 1.0
	v_fma_f64 v[6:7], v[6:7], v[8:9], v[6:7]
	s_delay_alu instid0(VALU_DEP_1) | instskip(NEXT) | instid1(VALU_DEP_1)
	v_mul_f64 v[8:9], v[10:11], v[6:7]
	v_fma_f64 v[4:5], -v[4:5], v[8:9], v[10:11]
	s_delay_alu instid0(VALU_DEP_1) | instskip(NEXT) | instid1(VALU_DEP_1)
	v_div_fmas_f64 v[4:5], v[4:5], v[6:7], v[8:9]
	v_div_fixup_f64 v[2:3], v[4:5], v[0:1], v[2:3]
	s_delay_alu instid0(VALU_DEP_1) | instskip(NEXT) | instid1(VALU_DEP_1)
	v_fma_f64 v[2:3], v[2:3], v[2:3], 1.0
	v_cmp_gt_f64_e32 vcc_lo, 0x10000000, v[2:3]
	v_cndmask_b32_e64 v4, 0, 1, vcc_lo
	s_and_b32 s0, vcc_lo, exec_lo
	s_cselect_b32 s0, 0xffffff80, 0
	s_delay_alu instid0(VALU_DEP_1) | instskip(NEXT) | instid1(VALU_DEP_1)
	v_lshlrev_b32_e32 v4, 8, v4
	v_ldexp_f64 v[2:3], v[2:3], v4
	s_delay_alu instid0(VALU_DEP_1) | instskip(SKIP_4) | instid1(VALU_DEP_1)
	v_rsq_f64_e32 v[4:5], v[2:3]
	v_cmp_class_f64_e64 vcc_lo, v[2:3], 0x260
	s_waitcnt_depctr 0xfff
	v_mul_f64 v[6:7], v[2:3], v[4:5]
	v_mul_f64 v[4:5], v[4:5], 0.5
	v_fma_f64 v[8:9], -v[4:5], v[6:7], 0.5
	s_delay_alu instid0(VALU_DEP_1) | instskip(SKIP_1) | instid1(VALU_DEP_2)
	v_fma_f64 v[6:7], v[6:7], v[8:9], v[6:7]
	v_fma_f64 v[4:5], v[4:5], v[8:9], v[4:5]
	v_fma_f64 v[8:9], -v[6:7], v[6:7], v[2:3]
	s_delay_alu instid0(VALU_DEP_1) | instskip(NEXT) | instid1(VALU_DEP_1)
	v_fma_f64 v[6:7], v[8:9], v[4:5], v[6:7]
	v_fma_f64 v[8:9], -v[6:7], v[6:7], v[2:3]
	s_delay_alu instid0(VALU_DEP_1) | instskip(NEXT) | instid1(VALU_DEP_1)
	v_fma_f64 v[4:5], v[8:9], v[4:5], v[6:7]
	v_ldexp_f64 v[4:5], v[4:5], s0
	s_delay_alu instid0(VALU_DEP_1) | instskip(NEXT) | instid1(VALU_DEP_1)
	v_dual_cndmask_b32 v3, v5, v3 :: v_dual_cndmask_b32 v2, v4, v2
	v_mul_f64 v[4:5], v[0:1], v[2:3]
.LBB64_64:
	s_delay_alu instid0(VALU_DEP_1) | instskip(SKIP_3) | instid1(VALU_DEP_1)
	v_cmp_gt_f64_e32 vcc_lo, 0x10000000, v[4:5]
	v_cndmask_b32_e64 v0, 0, 1, vcc_lo
	s_and_b32 s0, vcc_lo, exec_lo
	s_cselect_b32 s0, 0xffffff80, 0
	v_lshlrev_b32_e32 v0, 8, v0
	s_delay_alu instid0(VALU_DEP_1) | instskip(NEXT) | instid1(VALU_DEP_1)
	v_ldexp_f64 v[0:1], v[4:5], v0
	v_rsq_f64_e32 v[2:3], v[0:1]
	v_cmp_class_f64_e64 vcc_lo, v[0:1], 0x260
	s_waitcnt_depctr 0xfff
	v_mul_f64 v[4:5], v[0:1], v[2:3]
	v_mul_f64 v[2:3], v[2:3], 0.5
	s_delay_alu instid0(VALU_DEP_1) | instskip(NEXT) | instid1(VALU_DEP_1)
	v_fma_f64 v[6:7], -v[2:3], v[4:5], 0.5
	v_fma_f64 v[4:5], v[4:5], v[6:7], v[4:5]
	v_fma_f64 v[2:3], v[2:3], v[6:7], v[2:3]
	s_delay_alu instid0(VALU_DEP_2) | instskip(NEXT) | instid1(VALU_DEP_1)
	v_fma_f64 v[6:7], -v[4:5], v[4:5], v[0:1]
	v_fma_f64 v[4:5], v[6:7], v[2:3], v[4:5]
	s_delay_alu instid0(VALU_DEP_1) | instskip(NEXT) | instid1(VALU_DEP_1)
	v_fma_f64 v[6:7], -v[4:5], v[4:5], v[0:1]
	v_fma_f64 v[2:3], v[6:7], v[2:3], v[4:5]
	s_delay_alu instid0(VALU_DEP_1) | instskip(NEXT) | instid1(VALU_DEP_1)
	v_ldexp_f64 v[3:4], v[2:3], s0
	v_dual_mov_b32 v2, 0 :: v_dual_cndmask_b32 v1, v4, v1
	s_delay_alu instid0(VALU_DEP_1)
	v_dual_cndmask_b32 v0, v3, v0 :: v_dual_mov_b32 v3, v2
	ds_store_b128 v2, v[0:3] offset:1344
.LBB64_65:
	s_or_b32 exec_lo, exec_lo, s2
	v_mov_b32_e32 v0, 0
	s_waitcnt lgkmcnt(0)
	buffer_gl0_inv
	v_or_b32_e32 v7, v14, v15
	v_add_nc_u32_e32 v6, 0x540, v19
	ds_load_b128 v[0:3], v0 offset:1344
	v_cmp_ne_u32_e64 s0, 0, v7
	s_waitcnt lgkmcnt(0)
	v_cmp_neq_f64_e32 vcc_lo, 0, v[0:1]
	v_cmp_neq_f64_e64 s2, 0, v[2:3]
	s_delay_alu instid0(VALU_DEP_1)
	s_or_b32 vcc_lo, vcc_lo, s2
	s_add_i32 s2, s16, s17
	v_cndmask_b32_e32 v1, 0x3ff00000, v1, vcc_lo
	v_dual_cndmask_b32 v0, 0, v0 :: v_dual_cndmask_b32 v3, 0, v3
	v_cndmask_b32_e32 v2, 0, v2, vcc_lo
	s_or_b32 s4, vcc_lo, s0
	s_delay_alu instid0(SALU_CYCLE_1) | instskip(NEXT) | instid1(SALU_CYCLE_1)
	s_xor_b32 s5, s4, -1
	s_and_saveexec_b32 s4, s5
	s_cbranch_execz .LBB64_69
; %bb.66:
	v_mbcnt_lo_u32_b32 v0, exec_lo, 0
	s_mov_b32 s5, exec_lo
	s_delay_alu instid0(VALU_DEP_1)
	v_cmpx_eq_u32_e32 0, v0
	s_cbranch_execz .LBB64_68
; %bb.67:
	v_dual_mov_b32 v0, 0 :: v_dual_mov_b32 v1, s2
	global_atomic_min_i32 v0, v1, s[10:11]
.LBB64_68:
	s_or_b32 exec_lo, exec_lo, s5
	v_mov_b32_e32 v0, 0
	v_dual_mov_b32 v1, 0x3ff00000 :: v_dual_mov_b32 v2, 0
	v_mov_b32_e32 v3, 0
.LBB64_69:
	s_or_b32 exec_lo, exec_lo, s4
	s_and_saveexec_b32 s4, s1
	s_cbranch_execz .LBB64_71
; %bb.70:
	s_delay_alu instid0(VALU_DEP_1) | instskip(SKIP_1) | instid1(VALU_DEP_2)
	v_mul_f64 v[4:5], v[2:3], v[2:3]
	v_mul_u32_u24_e32 v29, 0x70, v15
	v_fma_f64 v[4:5], v[0:1], v[0:1], v[4:5]
	s_delay_alu instid0(VALU_DEP_1) | instskip(SKIP_1) | instid1(VALU_DEP_2)
	v_div_scale_f64 v[12:13], null, v[4:5], v[4:5], 1.0
	v_div_scale_f64 v[23:24], vcc_lo, 1.0, v[4:5], 1.0
	v_rcp_f64_e32 v[8:9], v[12:13]
	s_waitcnt_depctr 0xfff
	v_fma_f64 v[10:11], -v[12:13], v[8:9], 1.0
	s_delay_alu instid0(VALU_DEP_1) | instskip(NEXT) | instid1(VALU_DEP_1)
	v_fma_f64 v[8:9], v[8:9], v[10:11], v[8:9]
	v_fma_f64 v[10:11], -v[12:13], v[8:9], 1.0
	s_delay_alu instid0(VALU_DEP_1)
	v_fma_f64 v[25:26], v[8:9], v[10:11], v[8:9]
	ds_load_b128 v[8:11], v29 offset:1344
	ds_load_b128 v[19:22], v29 offset:2016
	s_waitcnt lgkmcnt(0)
	v_add_f64 v[10:11], v[10:11], -v[21:22]
	v_add_f64 v[8:9], v[8:9], -v[19:20]
	v_mul_f64 v[27:28], v[23:24], v[25:26]
	s_delay_alu instid0(VALU_DEP_3) | instskip(NEXT) | instid1(VALU_DEP_3)
	v_mul_f64 v[19:20], v[2:3], v[10:11]
	v_mul_f64 v[2:3], v[2:3], -v[8:9]
	s_delay_alu instid0(VALU_DEP_3) | instskip(NEXT) | instid1(VALU_DEP_3)
	v_fma_f64 v[12:13], -v[12:13], v[27:28], v[23:24]
	v_fma_f64 v[8:9], v[8:9], v[0:1], v[19:20]
	s_delay_alu instid0(VALU_DEP_3) | instskip(NEXT) | instid1(VALU_DEP_3)
	v_fma_f64 v[2:3], v[10:11], v[0:1], v[2:3]
	v_div_fmas_f64 v[12:13], v[12:13], v[25:26], v[27:28]
	s_delay_alu instid0(VALU_DEP_1) | instskip(NEXT) | instid1(VALU_DEP_1)
	v_div_fixup_f64 v[4:5], v[12:13], v[4:5], 1.0
	v_mul_f64 v[0:1], v[4:5], v[8:9]
	s_delay_alu instid0(VALU_DEP_4)
	v_mul_f64 v[2:3], v[4:5], v[2:3]
	v_mul_u32_u24_e32 v4, 0x70, v14
	ds_store_b128 v29, v[0:3] offset:1344
	s_waitcnt lgkmcnt(0)
	s_waitcnt_vscnt null, 0x0
	buffer_gl0_inv
	ds_load_b128 v[8:11], v4 offset:1344
	ds_load_b128 v[19:22], v18
	s_waitcnt lgkmcnt(0)
	v_fma_f64 v[4:5], v[0:1], v[8:9], v[19:20]
	v_fma_f64 v[8:9], v[2:3], v[8:9], v[21:22]
	s_delay_alu instid0(VALU_DEP_2) | instskip(NEXT) | instid1(VALU_DEP_2)
	v_fma_f64 v[2:3], v[2:3], v[10:11], v[4:5]
	v_fma_f64 v[4:5], v[0:1], -v[10:11], v[8:9]
	ds_store_b128 v18, v[2:5]
.LBB64_71:
	s_or_b32 exec_lo, exec_lo, s4
	s_delay_alu instid0(SALU_CYCLE_1)
	s_mov_b32 s4, exec_lo
	s_waitcnt lgkmcnt(0)
	s_waitcnt_vscnt null, 0x0
	buffer_gl0_inv
	v_cmpx_eq_u32_e32 1, v15
	s_cbranch_execz .LBB64_79
; %bb.72:
	v_mov_b32_e32 v4, 0
	ds_load_b128 v[0:3], v4 offset:2144
	ds_load_b128 v[8:11], v4 offset:1472
	s_waitcnt lgkmcnt(0)
	v_add_f64 v[0:1], v[8:9], -v[0:1]
	v_add_f64 v[4:5], v[10:11], -v[2:3]
	s_delay_alu instid0(VALU_DEP_2) | instskip(NEXT) | instid1(VALU_DEP_2)
	v_cmp_gt_f64_e32 vcc_lo, 0, v[0:1]
	v_cmp_gt_f64_e64 s1, 0, v[4:5]
	v_xor_b32_e32 v2, 0x80000000, v1
	v_xor_b32_e32 v3, 0x80000000, v5
	s_delay_alu instid0(VALU_DEP_2) | instskip(NEXT) | instid1(VALU_DEP_2)
	v_cndmask_b32_e32 v1, v1, v2, vcc_lo
	v_cndmask_b32_e64 v3, v5, v3, s1
	v_cndmask_b32_e32 v0, v0, v0, vcc_lo
	v_cndmask_b32_e64 v2, v4, v4, s1
	s_delay_alu instid0(VALU_DEP_1)
	v_cmp_gt_f64_e32 vcc_lo, v[0:1], v[2:3]
	s_cbranch_vccnz .LBB64_76
; %bb.73:
	v_cmp_eq_f64_e32 vcc_lo, 0, v[4:5]
	v_mov_b32_e32 v4, 0
	v_mov_b32_e32 v5, 0
	s_cbranch_vccnz .LBB64_75
; %bb.74:
	v_div_scale_f64 v[4:5], null, v[2:3], v[2:3], v[0:1]
	v_div_scale_f64 v[12:13], vcc_lo, v[0:1], v[2:3], v[0:1]
	s_delay_alu instid0(VALU_DEP_2) | instskip(SKIP_2) | instid1(VALU_DEP_1)
	v_rcp_f64_e32 v[8:9], v[4:5]
	s_waitcnt_depctr 0xfff
	v_fma_f64 v[10:11], -v[4:5], v[8:9], 1.0
	v_fma_f64 v[8:9], v[8:9], v[10:11], v[8:9]
	s_delay_alu instid0(VALU_DEP_1) | instskip(NEXT) | instid1(VALU_DEP_1)
	v_fma_f64 v[10:11], -v[4:5], v[8:9], 1.0
	v_fma_f64 v[8:9], v[8:9], v[10:11], v[8:9]
	s_delay_alu instid0(VALU_DEP_1) | instskip(NEXT) | instid1(VALU_DEP_1)
	v_mul_f64 v[10:11], v[12:13], v[8:9]
	v_fma_f64 v[4:5], -v[4:5], v[10:11], v[12:13]
	s_delay_alu instid0(VALU_DEP_1) | instskip(NEXT) | instid1(VALU_DEP_1)
	v_div_fmas_f64 v[4:5], v[4:5], v[8:9], v[10:11]
	v_div_fixup_f64 v[4:5], v[4:5], v[2:3], v[0:1]
	s_delay_alu instid0(VALU_DEP_1) | instskip(NEXT) | instid1(VALU_DEP_1)
	v_fma_f64 v[4:5], v[4:5], v[4:5], 1.0
	v_cmp_gt_f64_e32 vcc_lo, 0x10000000, v[4:5]
	v_cndmask_b32_e64 v8, 0, 1, vcc_lo
	s_and_b32 s1, vcc_lo, exec_lo
	s_cselect_b32 s1, 0xffffff80, 0
	s_delay_alu instid0(VALU_DEP_1) | instskip(NEXT) | instid1(VALU_DEP_1)
	v_lshlrev_b32_e32 v8, 8, v8
	v_ldexp_f64 v[4:5], v[4:5], v8
	s_delay_alu instid0(VALU_DEP_1) | instskip(SKIP_4) | instid1(VALU_DEP_1)
	v_rsq_f64_e32 v[8:9], v[4:5]
	v_cmp_class_f64_e64 vcc_lo, v[4:5], 0x260
	s_waitcnt_depctr 0xfff
	v_mul_f64 v[10:11], v[4:5], v[8:9]
	v_mul_f64 v[8:9], v[8:9], 0.5
	v_fma_f64 v[12:13], -v[8:9], v[10:11], 0.5
	s_delay_alu instid0(VALU_DEP_1) | instskip(SKIP_1) | instid1(VALU_DEP_2)
	v_fma_f64 v[10:11], v[10:11], v[12:13], v[10:11]
	v_fma_f64 v[8:9], v[8:9], v[12:13], v[8:9]
	v_fma_f64 v[12:13], -v[10:11], v[10:11], v[4:5]
	s_delay_alu instid0(VALU_DEP_1) | instskip(NEXT) | instid1(VALU_DEP_1)
	v_fma_f64 v[10:11], v[12:13], v[8:9], v[10:11]
	v_fma_f64 v[12:13], -v[10:11], v[10:11], v[4:5]
	s_delay_alu instid0(VALU_DEP_1) | instskip(NEXT) | instid1(VALU_DEP_1)
	v_fma_f64 v[8:9], v[12:13], v[8:9], v[10:11]
	v_ldexp_f64 v[8:9], v[8:9], s1
	s_delay_alu instid0(VALU_DEP_1) | instskip(NEXT) | instid1(VALU_DEP_1)
	v_dual_cndmask_b32 v5, v9, v5 :: v_dual_cndmask_b32 v4, v8, v4
	v_mul_f64 v[4:5], v[2:3], v[4:5]
.LBB64_75:
	s_cbranch_execz .LBB64_77
	s_branch .LBB64_78
.LBB64_76:
                                        ; implicit-def: $vgpr4_vgpr5
.LBB64_77:
	v_div_scale_f64 v[4:5], null, v[0:1], v[0:1], v[2:3]
	v_div_scale_f64 v[12:13], vcc_lo, v[2:3], v[0:1], v[2:3]
	s_delay_alu instid0(VALU_DEP_2) | instskip(SKIP_2) | instid1(VALU_DEP_1)
	v_rcp_f64_e32 v[8:9], v[4:5]
	s_waitcnt_depctr 0xfff
	v_fma_f64 v[10:11], -v[4:5], v[8:9], 1.0
	v_fma_f64 v[8:9], v[8:9], v[10:11], v[8:9]
	s_delay_alu instid0(VALU_DEP_1) | instskip(NEXT) | instid1(VALU_DEP_1)
	v_fma_f64 v[10:11], -v[4:5], v[8:9], 1.0
	v_fma_f64 v[8:9], v[8:9], v[10:11], v[8:9]
	s_delay_alu instid0(VALU_DEP_1) | instskip(NEXT) | instid1(VALU_DEP_1)
	v_mul_f64 v[10:11], v[12:13], v[8:9]
	v_fma_f64 v[4:5], -v[4:5], v[10:11], v[12:13]
	s_delay_alu instid0(VALU_DEP_1) | instskip(NEXT) | instid1(VALU_DEP_1)
	v_div_fmas_f64 v[4:5], v[4:5], v[8:9], v[10:11]
	v_div_fixup_f64 v[2:3], v[4:5], v[0:1], v[2:3]
	s_delay_alu instid0(VALU_DEP_1) | instskip(NEXT) | instid1(VALU_DEP_1)
	v_fma_f64 v[2:3], v[2:3], v[2:3], 1.0
	v_cmp_gt_f64_e32 vcc_lo, 0x10000000, v[2:3]
	v_cndmask_b32_e64 v4, 0, 1, vcc_lo
	s_and_b32 s1, vcc_lo, exec_lo
	s_cselect_b32 s1, 0xffffff80, 0
	s_delay_alu instid0(VALU_DEP_1) | instskip(NEXT) | instid1(VALU_DEP_1)
	v_lshlrev_b32_e32 v4, 8, v4
	v_ldexp_f64 v[2:3], v[2:3], v4
	s_delay_alu instid0(VALU_DEP_1) | instskip(SKIP_4) | instid1(VALU_DEP_1)
	v_rsq_f64_e32 v[4:5], v[2:3]
	v_cmp_class_f64_e64 vcc_lo, v[2:3], 0x260
	s_waitcnt_depctr 0xfff
	v_mul_f64 v[8:9], v[2:3], v[4:5]
	v_mul_f64 v[4:5], v[4:5], 0.5
	v_fma_f64 v[10:11], -v[4:5], v[8:9], 0.5
	s_delay_alu instid0(VALU_DEP_1) | instskip(SKIP_1) | instid1(VALU_DEP_2)
	v_fma_f64 v[8:9], v[8:9], v[10:11], v[8:9]
	v_fma_f64 v[4:5], v[4:5], v[10:11], v[4:5]
	v_fma_f64 v[10:11], -v[8:9], v[8:9], v[2:3]
	s_delay_alu instid0(VALU_DEP_1) | instskip(NEXT) | instid1(VALU_DEP_1)
	v_fma_f64 v[8:9], v[10:11], v[4:5], v[8:9]
	v_fma_f64 v[10:11], -v[8:9], v[8:9], v[2:3]
	s_delay_alu instid0(VALU_DEP_1) | instskip(NEXT) | instid1(VALU_DEP_1)
	v_fma_f64 v[4:5], v[10:11], v[4:5], v[8:9]
	v_ldexp_f64 v[4:5], v[4:5], s1
	s_delay_alu instid0(VALU_DEP_1) | instskip(NEXT) | instid1(VALU_DEP_1)
	v_dual_cndmask_b32 v3, v5, v3 :: v_dual_cndmask_b32 v2, v4, v2
	v_mul_f64 v[4:5], v[0:1], v[2:3]
.LBB64_78:
	s_delay_alu instid0(VALU_DEP_1) | instskip(SKIP_3) | instid1(VALU_DEP_1)
	v_cmp_gt_f64_e32 vcc_lo, 0x10000000, v[4:5]
	v_cndmask_b32_e64 v0, 0, 1, vcc_lo
	s_and_b32 s1, vcc_lo, exec_lo
	s_cselect_b32 s1, 0xffffff80, 0
	v_lshlrev_b32_e32 v0, 8, v0
	s_delay_alu instid0(VALU_DEP_1) | instskip(NEXT) | instid1(VALU_DEP_1)
	v_ldexp_f64 v[0:1], v[4:5], v0
	v_rsq_f64_e32 v[2:3], v[0:1]
	v_cmp_class_f64_e64 vcc_lo, v[0:1], 0x260
	s_waitcnt_depctr 0xfff
	v_mul_f64 v[4:5], v[0:1], v[2:3]
	v_mul_f64 v[2:3], v[2:3], 0.5
	s_delay_alu instid0(VALU_DEP_1) | instskip(NEXT) | instid1(VALU_DEP_1)
	v_fma_f64 v[8:9], -v[2:3], v[4:5], 0.5
	v_fma_f64 v[4:5], v[4:5], v[8:9], v[4:5]
	v_fma_f64 v[2:3], v[2:3], v[8:9], v[2:3]
	s_delay_alu instid0(VALU_DEP_2) | instskip(NEXT) | instid1(VALU_DEP_1)
	v_fma_f64 v[8:9], -v[4:5], v[4:5], v[0:1]
	v_fma_f64 v[4:5], v[8:9], v[2:3], v[4:5]
	s_delay_alu instid0(VALU_DEP_1) | instskip(NEXT) | instid1(VALU_DEP_1)
	v_fma_f64 v[8:9], -v[4:5], v[4:5], v[0:1]
	v_fma_f64 v[2:3], v[8:9], v[2:3], v[4:5]
	s_delay_alu instid0(VALU_DEP_1) | instskip(NEXT) | instid1(VALU_DEP_1)
	v_ldexp_f64 v[3:4], v[2:3], s1
	v_dual_mov_b32 v2, 0 :: v_dual_cndmask_b32 v1, v4, v1
	s_delay_alu instid0(VALU_DEP_1)
	v_dual_cndmask_b32 v0, v3, v0 :: v_dual_mov_b32 v3, v2
	ds_store_b128 v2, v[0:3] offset:1472
.LBB64_79:
	s_or_b32 exec_lo, exec_lo, s4
	v_mov_b32_e32 v0, 0
	s_waitcnt lgkmcnt(0)
	buffer_gl0_inv
	ds_load_b128 v[0:3], v0 offset:1472
	s_waitcnt lgkmcnt(0)
	v_cmp_neq_f64_e32 vcc_lo, 0, v[0:1]
	v_cmp_neq_f64_e64 s1, 0, v[2:3]
	s_delay_alu instid0(VALU_DEP_1) | instskip(SKIP_4) | instid1(SALU_CYCLE_1)
	s_or_b32 vcc_lo, vcc_lo, s1
	v_cndmask_b32_e32 v1, 0x3ff00000, v1, vcc_lo
	v_dual_cndmask_b32 v0, 0, v0 :: v_dual_cndmask_b32 v3, 0, v3
	v_cndmask_b32_e32 v2, 0, v2, vcc_lo
	s_or_b32 s1, vcc_lo, s0
	s_xor_b32 s4, s1, -1
	s_delay_alu instid0(SALU_CYCLE_1)
	s_and_saveexec_b32 s1, s4
	s_cbranch_execz .LBB64_83
; %bb.80:
	v_mbcnt_lo_u32_b32 v0, exec_lo, 0
	s_mov_b32 s4, exec_lo
	s_delay_alu instid0(VALU_DEP_1)
	v_cmpx_eq_u32_e32 0, v0
	s_cbranch_execz .LBB64_82
; %bb.81:
	v_dual_mov_b32 v0, 0 :: v_dual_mov_b32 v1, s2
	global_atomic_min_i32 v0, v1, s[10:11]
.LBB64_82:
	s_or_b32 exec_lo, exec_lo, s4
	v_mov_b32_e32 v0, 0
	v_dual_mov_b32 v1, 0x3ff00000 :: v_dual_mov_b32 v2, 0
	v_mov_b32_e32 v3, 0
.LBB64_83:
	s_or_b32 exec_lo, exec_lo, s1
	s_delay_alu instid0(SALU_CYCLE_1)
	s_mov_b32 s1, exec_lo
	v_cmpx_lt_u32_e32 1, v15
	s_cbranch_execz .LBB64_85
; %bb.84:
	v_mul_f64 v[4:5], v[2:3], v[2:3]
	v_mul_u32_u24_e32 v29, 0x70, v15
	s_delay_alu instid0(VALU_DEP_2) | instskip(NEXT) | instid1(VALU_DEP_1)
	v_fma_f64 v[4:5], v[0:1], v[0:1], v[4:5]
	v_div_scale_f64 v[12:13], null, v[4:5], v[4:5], 1.0
	v_div_scale_f64 v[23:24], vcc_lo, 1.0, v[4:5], 1.0
	s_delay_alu instid0(VALU_DEP_2) | instskip(SKIP_2) | instid1(VALU_DEP_1)
	v_rcp_f64_e32 v[8:9], v[12:13]
	s_waitcnt_depctr 0xfff
	v_fma_f64 v[10:11], -v[12:13], v[8:9], 1.0
	v_fma_f64 v[8:9], v[8:9], v[10:11], v[8:9]
	s_delay_alu instid0(VALU_DEP_1) | instskip(NEXT) | instid1(VALU_DEP_1)
	v_fma_f64 v[10:11], -v[12:13], v[8:9], 1.0
	v_fma_f64 v[25:26], v[8:9], v[10:11], v[8:9]
	ds_load_b128 v[8:11], v29 offset:1360
	ds_load_b128 v[19:22], v29 offset:2032
	s_waitcnt lgkmcnt(0)
	v_add_f64 v[10:11], v[10:11], -v[21:22]
	v_add_f64 v[8:9], v[8:9], -v[19:20]
	v_mul_f64 v[27:28], v[23:24], v[25:26]
	s_delay_alu instid0(VALU_DEP_3) | instskip(NEXT) | instid1(VALU_DEP_3)
	v_mul_f64 v[19:20], v[2:3], v[10:11]
	v_mul_f64 v[2:3], v[2:3], -v[8:9]
	s_delay_alu instid0(VALU_DEP_3) | instskip(NEXT) | instid1(VALU_DEP_3)
	v_fma_f64 v[12:13], -v[12:13], v[27:28], v[23:24]
	v_fma_f64 v[8:9], v[8:9], v[0:1], v[19:20]
	s_delay_alu instid0(VALU_DEP_3) | instskip(NEXT) | instid1(VALU_DEP_3)
	v_fma_f64 v[2:3], v[10:11], v[0:1], v[2:3]
	v_div_fmas_f64 v[12:13], v[12:13], v[25:26], v[27:28]
	s_delay_alu instid0(VALU_DEP_1) | instskip(NEXT) | instid1(VALU_DEP_1)
	v_div_fixup_f64 v[4:5], v[12:13], v[4:5], 1.0
	v_mul_f64 v[0:1], v[4:5], v[8:9]
	s_delay_alu instid0(VALU_DEP_4)
	v_mul_f64 v[2:3], v[4:5], v[2:3]
	v_mul_u32_u24_e32 v4, 0x70, v14
	ds_store_b128 v29, v[0:3] offset:1360
	s_waitcnt lgkmcnt(0)
	s_waitcnt_vscnt null, 0x0
	buffer_gl0_inv
	ds_load_b128 v[8:11], v4 offset:1360
	ds_load_b128 v[19:22], v18
	s_waitcnt lgkmcnt(0)
	v_fma_f64 v[4:5], v[0:1], v[8:9], v[19:20]
	v_fma_f64 v[8:9], v[2:3], v[8:9], v[21:22]
	s_delay_alu instid0(VALU_DEP_2) | instskip(NEXT) | instid1(VALU_DEP_2)
	v_fma_f64 v[2:3], v[2:3], v[10:11], v[4:5]
	v_fma_f64 v[4:5], v[0:1], -v[10:11], v[8:9]
	ds_store_b128 v18, v[2:5]
.LBB64_85:
	s_or_b32 exec_lo, exec_lo, s1
	s_delay_alu instid0(SALU_CYCLE_1)
	s_mov_b32 s4, exec_lo
	s_waitcnt lgkmcnt(0)
	s_waitcnt_vscnt null, 0x0
	buffer_gl0_inv
	v_cmpx_eq_u32_e32 2, v15
	s_cbranch_execz .LBB64_93
; %bb.86:
	v_mov_b32_e32 v4, 0
	ds_load_b128 v[0:3], v4 offset:2272
	ds_load_b128 v[8:11], v4 offset:1600
	s_waitcnt lgkmcnt(0)
	v_add_f64 v[0:1], v[8:9], -v[0:1]
	v_add_f64 v[4:5], v[10:11], -v[2:3]
	s_delay_alu instid0(VALU_DEP_2) | instskip(NEXT) | instid1(VALU_DEP_2)
	v_cmp_gt_f64_e32 vcc_lo, 0, v[0:1]
	v_cmp_gt_f64_e64 s1, 0, v[4:5]
	v_xor_b32_e32 v2, 0x80000000, v1
	v_xor_b32_e32 v3, 0x80000000, v5
	s_delay_alu instid0(VALU_DEP_2) | instskip(NEXT) | instid1(VALU_DEP_2)
	v_cndmask_b32_e32 v1, v1, v2, vcc_lo
	v_cndmask_b32_e64 v3, v5, v3, s1
	v_cndmask_b32_e32 v0, v0, v0, vcc_lo
	v_cndmask_b32_e64 v2, v4, v4, s1
	s_delay_alu instid0(VALU_DEP_1)
	v_cmp_gt_f64_e32 vcc_lo, v[0:1], v[2:3]
	s_cbranch_vccnz .LBB64_90
; %bb.87:
	v_cmp_eq_f64_e32 vcc_lo, 0, v[4:5]
	v_mov_b32_e32 v4, 0
	v_mov_b32_e32 v5, 0
	s_cbranch_vccnz .LBB64_89
; %bb.88:
	v_div_scale_f64 v[4:5], null, v[2:3], v[2:3], v[0:1]
	v_div_scale_f64 v[12:13], vcc_lo, v[0:1], v[2:3], v[0:1]
	s_delay_alu instid0(VALU_DEP_2) | instskip(SKIP_2) | instid1(VALU_DEP_1)
	v_rcp_f64_e32 v[8:9], v[4:5]
	s_waitcnt_depctr 0xfff
	v_fma_f64 v[10:11], -v[4:5], v[8:9], 1.0
	v_fma_f64 v[8:9], v[8:9], v[10:11], v[8:9]
	s_delay_alu instid0(VALU_DEP_1) | instskip(NEXT) | instid1(VALU_DEP_1)
	v_fma_f64 v[10:11], -v[4:5], v[8:9], 1.0
	v_fma_f64 v[8:9], v[8:9], v[10:11], v[8:9]
	s_delay_alu instid0(VALU_DEP_1) | instskip(NEXT) | instid1(VALU_DEP_1)
	v_mul_f64 v[10:11], v[12:13], v[8:9]
	v_fma_f64 v[4:5], -v[4:5], v[10:11], v[12:13]
	s_delay_alu instid0(VALU_DEP_1) | instskip(NEXT) | instid1(VALU_DEP_1)
	v_div_fmas_f64 v[4:5], v[4:5], v[8:9], v[10:11]
	v_div_fixup_f64 v[4:5], v[4:5], v[2:3], v[0:1]
	s_delay_alu instid0(VALU_DEP_1) | instskip(NEXT) | instid1(VALU_DEP_1)
	v_fma_f64 v[4:5], v[4:5], v[4:5], 1.0
	v_cmp_gt_f64_e32 vcc_lo, 0x10000000, v[4:5]
	v_cndmask_b32_e64 v8, 0, 1, vcc_lo
	s_and_b32 s1, vcc_lo, exec_lo
	s_cselect_b32 s1, 0xffffff80, 0
	s_delay_alu instid0(VALU_DEP_1) | instskip(NEXT) | instid1(VALU_DEP_1)
	v_lshlrev_b32_e32 v8, 8, v8
	v_ldexp_f64 v[4:5], v[4:5], v8
	s_delay_alu instid0(VALU_DEP_1) | instskip(SKIP_4) | instid1(VALU_DEP_1)
	v_rsq_f64_e32 v[8:9], v[4:5]
	v_cmp_class_f64_e64 vcc_lo, v[4:5], 0x260
	s_waitcnt_depctr 0xfff
	v_mul_f64 v[10:11], v[4:5], v[8:9]
	v_mul_f64 v[8:9], v[8:9], 0.5
	v_fma_f64 v[12:13], -v[8:9], v[10:11], 0.5
	s_delay_alu instid0(VALU_DEP_1) | instskip(SKIP_1) | instid1(VALU_DEP_2)
	v_fma_f64 v[10:11], v[10:11], v[12:13], v[10:11]
	v_fma_f64 v[8:9], v[8:9], v[12:13], v[8:9]
	v_fma_f64 v[12:13], -v[10:11], v[10:11], v[4:5]
	s_delay_alu instid0(VALU_DEP_1) | instskip(NEXT) | instid1(VALU_DEP_1)
	v_fma_f64 v[10:11], v[12:13], v[8:9], v[10:11]
	v_fma_f64 v[12:13], -v[10:11], v[10:11], v[4:5]
	s_delay_alu instid0(VALU_DEP_1) | instskip(NEXT) | instid1(VALU_DEP_1)
	v_fma_f64 v[8:9], v[12:13], v[8:9], v[10:11]
	v_ldexp_f64 v[8:9], v[8:9], s1
	s_delay_alu instid0(VALU_DEP_1) | instskip(NEXT) | instid1(VALU_DEP_1)
	v_dual_cndmask_b32 v5, v9, v5 :: v_dual_cndmask_b32 v4, v8, v4
	v_mul_f64 v[4:5], v[2:3], v[4:5]
.LBB64_89:
	s_cbranch_execz .LBB64_91
	s_branch .LBB64_92
.LBB64_90:
                                        ; implicit-def: $vgpr4_vgpr5
.LBB64_91:
	v_div_scale_f64 v[4:5], null, v[0:1], v[0:1], v[2:3]
	v_div_scale_f64 v[12:13], vcc_lo, v[2:3], v[0:1], v[2:3]
	s_delay_alu instid0(VALU_DEP_2) | instskip(SKIP_2) | instid1(VALU_DEP_1)
	v_rcp_f64_e32 v[8:9], v[4:5]
	s_waitcnt_depctr 0xfff
	v_fma_f64 v[10:11], -v[4:5], v[8:9], 1.0
	v_fma_f64 v[8:9], v[8:9], v[10:11], v[8:9]
	s_delay_alu instid0(VALU_DEP_1) | instskip(NEXT) | instid1(VALU_DEP_1)
	v_fma_f64 v[10:11], -v[4:5], v[8:9], 1.0
	v_fma_f64 v[8:9], v[8:9], v[10:11], v[8:9]
	s_delay_alu instid0(VALU_DEP_1) | instskip(NEXT) | instid1(VALU_DEP_1)
	v_mul_f64 v[10:11], v[12:13], v[8:9]
	v_fma_f64 v[4:5], -v[4:5], v[10:11], v[12:13]
	s_delay_alu instid0(VALU_DEP_1) | instskip(NEXT) | instid1(VALU_DEP_1)
	v_div_fmas_f64 v[4:5], v[4:5], v[8:9], v[10:11]
	v_div_fixup_f64 v[2:3], v[4:5], v[0:1], v[2:3]
	s_delay_alu instid0(VALU_DEP_1) | instskip(NEXT) | instid1(VALU_DEP_1)
	v_fma_f64 v[2:3], v[2:3], v[2:3], 1.0
	v_cmp_gt_f64_e32 vcc_lo, 0x10000000, v[2:3]
	v_cndmask_b32_e64 v4, 0, 1, vcc_lo
	s_and_b32 s1, vcc_lo, exec_lo
	s_cselect_b32 s1, 0xffffff80, 0
	s_delay_alu instid0(VALU_DEP_1) | instskip(NEXT) | instid1(VALU_DEP_1)
	v_lshlrev_b32_e32 v4, 8, v4
	v_ldexp_f64 v[2:3], v[2:3], v4
	s_delay_alu instid0(VALU_DEP_1) | instskip(SKIP_4) | instid1(VALU_DEP_1)
	v_rsq_f64_e32 v[4:5], v[2:3]
	v_cmp_class_f64_e64 vcc_lo, v[2:3], 0x260
	s_waitcnt_depctr 0xfff
	v_mul_f64 v[8:9], v[2:3], v[4:5]
	v_mul_f64 v[4:5], v[4:5], 0.5
	v_fma_f64 v[10:11], -v[4:5], v[8:9], 0.5
	s_delay_alu instid0(VALU_DEP_1) | instskip(SKIP_1) | instid1(VALU_DEP_2)
	v_fma_f64 v[8:9], v[8:9], v[10:11], v[8:9]
	v_fma_f64 v[4:5], v[4:5], v[10:11], v[4:5]
	v_fma_f64 v[10:11], -v[8:9], v[8:9], v[2:3]
	s_delay_alu instid0(VALU_DEP_1) | instskip(NEXT) | instid1(VALU_DEP_1)
	v_fma_f64 v[8:9], v[10:11], v[4:5], v[8:9]
	v_fma_f64 v[10:11], -v[8:9], v[8:9], v[2:3]
	s_delay_alu instid0(VALU_DEP_1) | instskip(NEXT) | instid1(VALU_DEP_1)
	v_fma_f64 v[4:5], v[10:11], v[4:5], v[8:9]
	v_ldexp_f64 v[4:5], v[4:5], s1
	s_delay_alu instid0(VALU_DEP_1) | instskip(NEXT) | instid1(VALU_DEP_1)
	v_dual_cndmask_b32 v3, v5, v3 :: v_dual_cndmask_b32 v2, v4, v2
	v_mul_f64 v[4:5], v[0:1], v[2:3]
.LBB64_92:
	s_delay_alu instid0(VALU_DEP_1) | instskip(SKIP_3) | instid1(VALU_DEP_1)
	v_cmp_gt_f64_e32 vcc_lo, 0x10000000, v[4:5]
	v_cndmask_b32_e64 v0, 0, 1, vcc_lo
	s_and_b32 s1, vcc_lo, exec_lo
	s_cselect_b32 s1, 0xffffff80, 0
	v_lshlrev_b32_e32 v0, 8, v0
	s_delay_alu instid0(VALU_DEP_1) | instskip(NEXT) | instid1(VALU_DEP_1)
	v_ldexp_f64 v[0:1], v[4:5], v0
	v_rsq_f64_e32 v[2:3], v[0:1]
	v_cmp_class_f64_e64 vcc_lo, v[0:1], 0x260
	s_waitcnt_depctr 0xfff
	v_mul_f64 v[4:5], v[0:1], v[2:3]
	v_mul_f64 v[2:3], v[2:3], 0.5
	s_delay_alu instid0(VALU_DEP_1) | instskip(NEXT) | instid1(VALU_DEP_1)
	v_fma_f64 v[8:9], -v[2:3], v[4:5], 0.5
	v_fma_f64 v[4:5], v[4:5], v[8:9], v[4:5]
	v_fma_f64 v[2:3], v[2:3], v[8:9], v[2:3]
	s_delay_alu instid0(VALU_DEP_2) | instskip(NEXT) | instid1(VALU_DEP_1)
	v_fma_f64 v[8:9], -v[4:5], v[4:5], v[0:1]
	v_fma_f64 v[4:5], v[8:9], v[2:3], v[4:5]
	s_delay_alu instid0(VALU_DEP_1) | instskip(NEXT) | instid1(VALU_DEP_1)
	v_fma_f64 v[8:9], -v[4:5], v[4:5], v[0:1]
	v_fma_f64 v[2:3], v[8:9], v[2:3], v[4:5]
	s_delay_alu instid0(VALU_DEP_1) | instskip(NEXT) | instid1(VALU_DEP_1)
	v_ldexp_f64 v[3:4], v[2:3], s1
	v_dual_mov_b32 v2, 0 :: v_dual_cndmask_b32 v1, v4, v1
	s_delay_alu instid0(VALU_DEP_1)
	v_dual_cndmask_b32 v0, v3, v0 :: v_dual_mov_b32 v3, v2
	ds_store_b128 v2, v[0:3] offset:1600
.LBB64_93:
	s_or_b32 exec_lo, exec_lo, s4
	v_mov_b32_e32 v0, 0
	s_waitcnt lgkmcnt(0)
	buffer_gl0_inv
	ds_load_b128 v[0:3], v0 offset:1600
	s_waitcnt lgkmcnt(0)
	v_cmp_neq_f64_e32 vcc_lo, 0, v[0:1]
	v_cmp_neq_f64_e64 s1, 0, v[2:3]
	s_delay_alu instid0(VALU_DEP_1) | instskip(SKIP_4) | instid1(SALU_CYCLE_1)
	s_or_b32 vcc_lo, vcc_lo, s1
	v_cndmask_b32_e32 v1, 0x3ff00000, v1, vcc_lo
	v_dual_cndmask_b32 v0, 0, v0 :: v_dual_cndmask_b32 v3, 0, v3
	v_cndmask_b32_e32 v2, 0, v2, vcc_lo
	s_or_b32 s1, vcc_lo, s0
	s_xor_b32 s4, s1, -1
	s_delay_alu instid0(SALU_CYCLE_1)
	s_and_saveexec_b32 s1, s4
	s_cbranch_execz .LBB64_97
; %bb.94:
	v_mbcnt_lo_u32_b32 v0, exec_lo, 0
	s_mov_b32 s4, exec_lo
	s_delay_alu instid0(VALU_DEP_1)
	v_cmpx_eq_u32_e32 0, v0
	s_cbranch_execz .LBB64_96
; %bb.95:
	v_dual_mov_b32 v0, 0 :: v_dual_mov_b32 v1, s2
	global_atomic_min_i32 v0, v1, s[10:11]
.LBB64_96:
	s_or_b32 exec_lo, exec_lo, s4
	v_mov_b32_e32 v0, 0
	v_dual_mov_b32 v1, 0x3ff00000 :: v_dual_mov_b32 v2, 0
	v_mov_b32_e32 v3, 0
.LBB64_97:
	s_or_b32 exec_lo, exec_lo, s1
	s_delay_alu instid0(SALU_CYCLE_1)
	s_mov_b32 s1, exec_lo
	v_cmpx_lt_u32_e32 2, v15
	s_cbranch_execz .LBB64_99
; %bb.98:
	v_mul_f64 v[4:5], v[2:3], v[2:3]
	v_mul_u32_u24_e32 v29, 0x70, v15
	s_delay_alu instid0(VALU_DEP_2) | instskip(NEXT) | instid1(VALU_DEP_1)
	v_fma_f64 v[4:5], v[0:1], v[0:1], v[4:5]
	v_div_scale_f64 v[12:13], null, v[4:5], v[4:5], 1.0
	v_div_scale_f64 v[23:24], vcc_lo, 1.0, v[4:5], 1.0
	s_delay_alu instid0(VALU_DEP_2) | instskip(SKIP_2) | instid1(VALU_DEP_1)
	v_rcp_f64_e32 v[8:9], v[12:13]
	s_waitcnt_depctr 0xfff
	v_fma_f64 v[10:11], -v[12:13], v[8:9], 1.0
	v_fma_f64 v[8:9], v[8:9], v[10:11], v[8:9]
	s_delay_alu instid0(VALU_DEP_1) | instskip(NEXT) | instid1(VALU_DEP_1)
	v_fma_f64 v[10:11], -v[12:13], v[8:9], 1.0
	v_fma_f64 v[25:26], v[8:9], v[10:11], v[8:9]
	ds_load_b128 v[8:11], v29 offset:1376
	ds_load_b128 v[19:22], v29 offset:2048
	s_waitcnt lgkmcnt(0)
	v_add_f64 v[10:11], v[10:11], -v[21:22]
	v_add_f64 v[8:9], v[8:9], -v[19:20]
	v_mul_f64 v[27:28], v[23:24], v[25:26]
	s_delay_alu instid0(VALU_DEP_3) | instskip(NEXT) | instid1(VALU_DEP_3)
	v_mul_f64 v[19:20], v[2:3], v[10:11]
	v_mul_f64 v[2:3], v[2:3], -v[8:9]
	s_delay_alu instid0(VALU_DEP_3) | instskip(NEXT) | instid1(VALU_DEP_3)
	v_fma_f64 v[12:13], -v[12:13], v[27:28], v[23:24]
	v_fma_f64 v[8:9], v[8:9], v[0:1], v[19:20]
	s_delay_alu instid0(VALU_DEP_3) | instskip(NEXT) | instid1(VALU_DEP_3)
	v_fma_f64 v[2:3], v[10:11], v[0:1], v[2:3]
	v_div_fmas_f64 v[12:13], v[12:13], v[25:26], v[27:28]
	s_delay_alu instid0(VALU_DEP_1) | instskip(NEXT) | instid1(VALU_DEP_1)
	v_div_fixup_f64 v[4:5], v[12:13], v[4:5], 1.0
	v_mul_f64 v[0:1], v[4:5], v[8:9]
	s_delay_alu instid0(VALU_DEP_4)
	v_mul_f64 v[2:3], v[4:5], v[2:3]
	v_mul_u32_u24_e32 v4, 0x70, v14
	ds_store_b128 v29, v[0:3] offset:1376
	s_waitcnt lgkmcnt(0)
	s_waitcnt_vscnt null, 0x0
	buffer_gl0_inv
	ds_load_b128 v[8:11], v4 offset:1376
	ds_load_b128 v[19:22], v18
	s_waitcnt lgkmcnt(0)
	v_fma_f64 v[4:5], v[0:1], v[8:9], v[19:20]
	v_fma_f64 v[8:9], v[2:3], v[8:9], v[21:22]
	s_delay_alu instid0(VALU_DEP_2) | instskip(NEXT) | instid1(VALU_DEP_2)
	v_fma_f64 v[2:3], v[2:3], v[10:11], v[4:5]
	v_fma_f64 v[4:5], v[0:1], -v[10:11], v[8:9]
	ds_store_b128 v18, v[2:5]
.LBB64_99:
	s_or_b32 exec_lo, exec_lo, s1
	s_delay_alu instid0(SALU_CYCLE_1)
	s_mov_b32 s4, exec_lo
	s_waitcnt lgkmcnt(0)
	s_waitcnt_vscnt null, 0x0
	buffer_gl0_inv
	v_cmpx_eq_u32_e32 3, v15
	s_cbranch_execz .LBB64_107
; %bb.100:
	v_mov_b32_e32 v4, 0
	ds_load_b128 v[0:3], v4 offset:2400
	ds_load_b128 v[8:11], v4 offset:1728
	s_waitcnt lgkmcnt(0)
	v_add_f64 v[0:1], v[8:9], -v[0:1]
	v_add_f64 v[4:5], v[10:11], -v[2:3]
	s_delay_alu instid0(VALU_DEP_2) | instskip(NEXT) | instid1(VALU_DEP_2)
	v_cmp_gt_f64_e32 vcc_lo, 0, v[0:1]
	v_cmp_gt_f64_e64 s1, 0, v[4:5]
	v_xor_b32_e32 v2, 0x80000000, v1
	v_xor_b32_e32 v3, 0x80000000, v5
	s_delay_alu instid0(VALU_DEP_2) | instskip(NEXT) | instid1(VALU_DEP_2)
	v_cndmask_b32_e32 v1, v1, v2, vcc_lo
	v_cndmask_b32_e64 v3, v5, v3, s1
	v_cndmask_b32_e32 v0, v0, v0, vcc_lo
	v_cndmask_b32_e64 v2, v4, v4, s1
	s_delay_alu instid0(VALU_DEP_1)
	v_cmp_gt_f64_e32 vcc_lo, v[0:1], v[2:3]
	s_cbranch_vccnz .LBB64_104
; %bb.101:
	v_cmp_eq_f64_e32 vcc_lo, 0, v[4:5]
	v_mov_b32_e32 v4, 0
	v_mov_b32_e32 v5, 0
	s_cbranch_vccnz .LBB64_103
; %bb.102:
	v_div_scale_f64 v[4:5], null, v[2:3], v[2:3], v[0:1]
	v_div_scale_f64 v[12:13], vcc_lo, v[0:1], v[2:3], v[0:1]
	s_delay_alu instid0(VALU_DEP_2) | instskip(SKIP_2) | instid1(VALU_DEP_1)
	v_rcp_f64_e32 v[8:9], v[4:5]
	s_waitcnt_depctr 0xfff
	v_fma_f64 v[10:11], -v[4:5], v[8:9], 1.0
	v_fma_f64 v[8:9], v[8:9], v[10:11], v[8:9]
	s_delay_alu instid0(VALU_DEP_1) | instskip(NEXT) | instid1(VALU_DEP_1)
	v_fma_f64 v[10:11], -v[4:5], v[8:9], 1.0
	v_fma_f64 v[8:9], v[8:9], v[10:11], v[8:9]
	s_delay_alu instid0(VALU_DEP_1) | instskip(NEXT) | instid1(VALU_DEP_1)
	v_mul_f64 v[10:11], v[12:13], v[8:9]
	v_fma_f64 v[4:5], -v[4:5], v[10:11], v[12:13]
	s_delay_alu instid0(VALU_DEP_1) | instskip(NEXT) | instid1(VALU_DEP_1)
	v_div_fmas_f64 v[4:5], v[4:5], v[8:9], v[10:11]
	v_div_fixup_f64 v[4:5], v[4:5], v[2:3], v[0:1]
	s_delay_alu instid0(VALU_DEP_1) | instskip(NEXT) | instid1(VALU_DEP_1)
	v_fma_f64 v[4:5], v[4:5], v[4:5], 1.0
	v_cmp_gt_f64_e32 vcc_lo, 0x10000000, v[4:5]
	v_cndmask_b32_e64 v8, 0, 1, vcc_lo
	s_and_b32 s1, vcc_lo, exec_lo
	s_cselect_b32 s1, 0xffffff80, 0
	s_delay_alu instid0(VALU_DEP_1) | instskip(NEXT) | instid1(VALU_DEP_1)
	v_lshlrev_b32_e32 v8, 8, v8
	v_ldexp_f64 v[4:5], v[4:5], v8
	s_delay_alu instid0(VALU_DEP_1) | instskip(SKIP_4) | instid1(VALU_DEP_1)
	v_rsq_f64_e32 v[8:9], v[4:5]
	v_cmp_class_f64_e64 vcc_lo, v[4:5], 0x260
	s_waitcnt_depctr 0xfff
	v_mul_f64 v[10:11], v[4:5], v[8:9]
	v_mul_f64 v[8:9], v[8:9], 0.5
	v_fma_f64 v[12:13], -v[8:9], v[10:11], 0.5
	s_delay_alu instid0(VALU_DEP_1) | instskip(SKIP_1) | instid1(VALU_DEP_2)
	v_fma_f64 v[10:11], v[10:11], v[12:13], v[10:11]
	v_fma_f64 v[8:9], v[8:9], v[12:13], v[8:9]
	v_fma_f64 v[12:13], -v[10:11], v[10:11], v[4:5]
	s_delay_alu instid0(VALU_DEP_1) | instskip(NEXT) | instid1(VALU_DEP_1)
	v_fma_f64 v[10:11], v[12:13], v[8:9], v[10:11]
	v_fma_f64 v[12:13], -v[10:11], v[10:11], v[4:5]
	s_delay_alu instid0(VALU_DEP_1) | instskip(NEXT) | instid1(VALU_DEP_1)
	v_fma_f64 v[8:9], v[12:13], v[8:9], v[10:11]
	v_ldexp_f64 v[8:9], v[8:9], s1
	s_delay_alu instid0(VALU_DEP_1) | instskip(NEXT) | instid1(VALU_DEP_1)
	v_dual_cndmask_b32 v5, v9, v5 :: v_dual_cndmask_b32 v4, v8, v4
	v_mul_f64 v[4:5], v[2:3], v[4:5]
.LBB64_103:
	s_cbranch_execz .LBB64_105
	s_branch .LBB64_106
.LBB64_104:
                                        ; implicit-def: $vgpr4_vgpr5
.LBB64_105:
	v_div_scale_f64 v[4:5], null, v[0:1], v[0:1], v[2:3]
	v_div_scale_f64 v[12:13], vcc_lo, v[2:3], v[0:1], v[2:3]
	s_delay_alu instid0(VALU_DEP_2) | instskip(SKIP_2) | instid1(VALU_DEP_1)
	v_rcp_f64_e32 v[8:9], v[4:5]
	s_waitcnt_depctr 0xfff
	v_fma_f64 v[10:11], -v[4:5], v[8:9], 1.0
	v_fma_f64 v[8:9], v[8:9], v[10:11], v[8:9]
	s_delay_alu instid0(VALU_DEP_1) | instskip(NEXT) | instid1(VALU_DEP_1)
	v_fma_f64 v[10:11], -v[4:5], v[8:9], 1.0
	v_fma_f64 v[8:9], v[8:9], v[10:11], v[8:9]
	s_delay_alu instid0(VALU_DEP_1) | instskip(NEXT) | instid1(VALU_DEP_1)
	v_mul_f64 v[10:11], v[12:13], v[8:9]
	v_fma_f64 v[4:5], -v[4:5], v[10:11], v[12:13]
	s_delay_alu instid0(VALU_DEP_1) | instskip(NEXT) | instid1(VALU_DEP_1)
	v_div_fmas_f64 v[4:5], v[4:5], v[8:9], v[10:11]
	v_div_fixup_f64 v[2:3], v[4:5], v[0:1], v[2:3]
	s_delay_alu instid0(VALU_DEP_1) | instskip(NEXT) | instid1(VALU_DEP_1)
	v_fma_f64 v[2:3], v[2:3], v[2:3], 1.0
	v_cmp_gt_f64_e32 vcc_lo, 0x10000000, v[2:3]
	v_cndmask_b32_e64 v4, 0, 1, vcc_lo
	s_and_b32 s1, vcc_lo, exec_lo
	s_cselect_b32 s1, 0xffffff80, 0
	s_delay_alu instid0(VALU_DEP_1) | instskip(NEXT) | instid1(VALU_DEP_1)
	v_lshlrev_b32_e32 v4, 8, v4
	v_ldexp_f64 v[2:3], v[2:3], v4
	s_delay_alu instid0(VALU_DEP_1) | instskip(SKIP_4) | instid1(VALU_DEP_1)
	v_rsq_f64_e32 v[4:5], v[2:3]
	v_cmp_class_f64_e64 vcc_lo, v[2:3], 0x260
	s_waitcnt_depctr 0xfff
	v_mul_f64 v[8:9], v[2:3], v[4:5]
	v_mul_f64 v[4:5], v[4:5], 0.5
	v_fma_f64 v[10:11], -v[4:5], v[8:9], 0.5
	s_delay_alu instid0(VALU_DEP_1) | instskip(SKIP_1) | instid1(VALU_DEP_2)
	v_fma_f64 v[8:9], v[8:9], v[10:11], v[8:9]
	v_fma_f64 v[4:5], v[4:5], v[10:11], v[4:5]
	v_fma_f64 v[10:11], -v[8:9], v[8:9], v[2:3]
	s_delay_alu instid0(VALU_DEP_1) | instskip(NEXT) | instid1(VALU_DEP_1)
	v_fma_f64 v[8:9], v[10:11], v[4:5], v[8:9]
	v_fma_f64 v[10:11], -v[8:9], v[8:9], v[2:3]
	s_delay_alu instid0(VALU_DEP_1) | instskip(NEXT) | instid1(VALU_DEP_1)
	v_fma_f64 v[4:5], v[10:11], v[4:5], v[8:9]
	v_ldexp_f64 v[4:5], v[4:5], s1
	s_delay_alu instid0(VALU_DEP_1) | instskip(NEXT) | instid1(VALU_DEP_1)
	v_dual_cndmask_b32 v3, v5, v3 :: v_dual_cndmask_b32 v2, v4, v2
	v_mul_f64 v[4:5], v[0:1], v[2:3]
.LBB64_106:
	s_delay_alu instid0(VALU_DEP_1) | instskip(SKIP_3) | instid1(VALU_DEP_1)
	v_cmp_gt_f64_e32 vcc_lo, 0x10000000, v[4:5]
	v_cndmask_b32_e64 v0, 0, 1, vcc_lo
	s_and_b32 s1, vcc_lo, exec_lo
	s_cselect_b32 s1, 0xffffff80, 0
	v_lshlrev_b32_e32 v0, 8, v0
	s_delay_alu instid0(VALU_DEP_1) | instskip(NEXT) | instid1(VALU_DEP_1)
	v_ldexp_f64 v[0:1], v[4:5], v0
	v_rsq_f64_e32 v[2:3], v[0:1]
	v_cmp_class_f64_e64 vcc_lo, v[0:1], 0x260
	s_waitcnt_depctr 0xfff
	v_mul_f64 v[4:5], v[0:1], v[2:3]
	v_mul_f64 v[2:3], v[2:3], 0.5
	s_delay_alu instid0(VALU_DEP_1) | instskip(NEXT) | instid1(VALU_DEP_1)
	v_fma_f64 v[8:9], -v[2:3], v[4:5], 0.5
	v_fma_f64 v[4:5], v[4:5], v[8:9], v[4:5]
	v_fma_f64 v[2:3], v[2:3], v[8:9], v[2:3]
	s_delay_alu instid0(VALU_DEP_2) | instskip(NEXT) | instid1(VALU_DEP_1)
	v_fma_f64 v[8:9], -v[4:5], v[4:5], v[0:1]
	v_fma_f64 v[4:5], v[8:9], v[2:3], v[4:5]
	s_delay_alu instid0(VALU_DEP_1) | instskip(NEXT) | instid1(VALU_DEP_1)
	v_fma_f64 v[8:9], -v[4:5], v[4:5], v[0:1]
	v_fma_f64 v[2:3], v[8:9], v[2:3], v[4:5]
	s_delay_alu instid0(VALU_DEP_1) | instskip(NEXT) | instid1(VALU_DEP_1)
	v_ldexp_f64 v[3:4], v[2:3], s1
	v_dual_mov_b32 v2, 0 :: v_dual_cndmask_b32 v1, v4, v1
	s_delay_alu instid0(VALU_DEP_1)
	v_dual_cndmask_b32 v0, v3, v0 :: v_dual_mov_b32 v3, v2
	ds_store_b128 v2, v[0:3] offset:1728
.LBB64_107:
	s_or_b32 exec_lo, exec_lo, s4
	v_mov_b32_e32 v0, 0
	s_waitcnt lgkmcnt(0)
	buffer_gl0_inv
	ds_load_b128 v[0:3], v0 offset:1728
	s_waitcnt lgkmcnt(0)
	v_cmp_neq_f64_e32 vcc_lo, 0, v[0:1]
	v_cmp_neq_f64_e64 s1, 0, v[2:3]
	s_delay_alu instid0(VALU_DEP_1) | instskip(SKIP_4) | instid1(SALU_CYCLE_1)
	s_or_b32 vcc_lo, vcc_lo, s1
	v_cndmask_b32_e32 v1, 0x3ff00000, v1, vcc_lo
	v_dual_cndmask_b32 v0, 0, v0 :: v_dual_cndmask_b32 v3, 0, v3
	v_cndmask_b32_e32 v2, 0, v2, vcc_lo
	s_or_b32 s1, vcc_lo, s0
	s_xor_b32 s4, s1, -1
	s_delay_alu instid0(SALU_CYCLE_1)
	s_and_saveexec_b32 s1, s4
	s_cbranch_execz .LBB64_111
; %bb.108:
	v_mbcnt_lo_u32_b32 v0, exec_lo, 0
	s_mov_b32 s4, exec_lo
	s_delay_alu instid0(VALU_DEP_1)
	v_cmpx_eq_u32_e32 0, v0
	s_cbranch_execz .LBB64_110
; %bb.109:
	v_dual_mov_b32 v0, 0 :: v_dual_mov_b32 v1, s2
	global_atomic_min_i32 v0, v1, s[10:11]
.LBB64_110:
	s_or_b32 exec_lo, exec_lo, s4
	v_mov_b32_e32 v0, 0
	v_dual_mov_b32 v1, 0x3ff00000 :: v_dual_mov_b32 v2, 0
	v_mov_b32_e32 v3, 0
.LBB64_111:
	s_or_b32 exec_lo, exec_lo, s1
	s_delay_alu instid0(SALU_CYCLE_1)
	s_mov_b32 s1, exec_lo
	v_cmpx_lt_u32_e32 3, v15
	s_cbranch_execz .LBB64_113
; %bb.112:
	v_mul_f64 v[4:5], v[2:3], v[2:3]
	v_mul_u32_u24_e32 v29, 0x70, v15
	s_delay_alu instid0(VALU_DEP_2) | instskip(NEXT) | instid1(VALU_DEP_1)
	v_fma_f64 v[4:5], v[0:1], v[0:1], v[4:5]
	v_div_scale_f64 v[12:13], null, v[4:5], v[4:5], 1.0
	v_div_scale_f64 v[23:24], vcc_lo, 1.0, v[4:5], 1.0
	s_delay_alu instid0(VALU_DEP_2) | instskip(SKIP_2) | instid1(VALU_DEP_1)
	v_rcp_f64_e32 v[8:9], v[12:13]
	s_waitcnt_depctr 0xfff
	v_fma_f64 v[10:11], -v[12:13], v[8:9], 1.0
	v_fma_f64 v[8:9], v[8:9], v[10:11], v[8:9]
	s_delay_alu instid0(VALU_DEP_1) | instskip(NEXT) | instid1(VALU_DEP_1)
	v_fma_f64 v[10:11], -v[12:13], v[8:9], 1.0
	v_fma_f64 v[25:26], v[8:9], v[10:11], v[8:9]
	ds_load_b128 v[8:11], v29 offset:1392
	ds_load_b128 v[19:22], v29 offset:2064
	s_waitcnt lgkmcnt(0)
	v_add_f64 v[10:11], v[10:11], -v[21:22]
	v_add_f64 v[8:9], v[8:9], -v[19:20]
	v_mul_f64 v[27:28], v[23:24], v[25:26]
	s_delay_alu instid0(VALU_DEP_3) | instskip(NEXT) | instid1(VALU_DEP_3)
	v_mul_f64 v[19:20], v[2:3], v[10:11]
	v_mul_f64 v[2:3], v[2:3], -v[8:9]
	s_delay_alu instid0(VALU_DEP_3) | instskip(NEXT) | instid1(VALU_DEP_3)
	v_fma_f64 v[12:13], -v[12:13], v[27:28], v[23:24]
	v_fma_f64 v[8:9], v[8:9], v[0:1], v[19:20]
	s_delay_alu instid0(VALU_DEP_3) | instskip(NEXT) | instid1(VALU_DEP_3)
	v_fma_f64 v[2:3], v[10:11], v[0:1], v[2:3]
	v_div_fmas_f64 v[12:13], v[12:13], v[25:26], v[27:28]
	s_delay_alu instid0(VALU_DEP_1) | instskip(NEXT) | instid1(VALU_DEP_1)
	v_div_fixup_f64 v[4:5], v[12:13], v[4:5], 1.0
	v_mul_f64 v[0:1], v[4:5], v[8:9]
	s_delay_alu instid0(VALU_DEP_4)
	v_mul_f64 v[2:3], v[4:5], v[2:3]
	v_mul_u32_u24_e32 v4, 0x70, v14
	ds_store_b128 v29, v[0:3] offset:1392
	s_waitcnt lgkmcnt(0)
	s_waitcnt_vscnt null, 0x0
	buffer_gl0_inv
	ds_load_b128 v[8:11], v4 offset:1392
	ds_load_b128 v[19:22], v18
	s_waitcnt lgkmcnt(0)
	v_fma_f64 v[4:5], v[0:1], v[8:9], v[19:20]
	v_fma_f64 v[8:9], v[2:3], v[8:9], v[21:22]
	s_delay_alu instid0(VALU_DEP_2) | instskip(NEXT) | instid1(VALU_DEP_2)
	v_fma_f64 v[2:3], v[2:3], v[10:11], v[4:5]
	v_fma_f64 v[4:5], v[0:1], -v[10:11], v[8:9]
	ds_store_b128 v18, v[2:5]
.LBB64_113:
	s_or_b32 exec_lo, exec_lo, s1
	s_delay_alu instid0(SALU_CYCLE_1)
	s_mov_b32 s4, exec_lo
	s_waitcnt lgkmcnt(0)
	s_waitcnt_vscnt null, 0x0
	buffer_gl0_inv
	v_cmpx_eq_u32_e32 4, v15
	s_cbranch_execz .LBB64_121
; %bb.114:
	v_mov_b32_e32 v4, 0
	ds_load_b128 v[0:3], v4 offset:2528
	ds_load_b128 v[8:11], v4 offset:1856
	s_waitcnt lgkmcnt(0)
	v_add_f64 v[0:1], v[8:9], -v[0:1]
	v_add_f64 v[4:5], v[10:11], -v[2:3]
	s_delay_alu instid0(VALU_DEP_2) | instskip(NEXT) | instid1(VALU_DEP_2)
	v_cmp_gt_f64_e32 vcc_lo, 0, v[0:1]
	v_cmp_gt_f64_e64 s1, 0, v[4:5]
	v_xor_b32_e32 v2, 0x80000000, v1
	v_xor_b32_e32 v3, 0x80000000, v5
	s_delay_alu instid0(VALU_DEP_2) | instskip(NEXT) | instid1(VALU_DEP_2)
	v_cndmask_b32_e32 v1, v1, v2, vcc_lo
	v_cndmask_b32_e64 v3, v5, v3, s1
	v_cndmask_b32_e32 v0, v0, v0, vcc_lo
	v_cndmask_b32_e64 v2, v4, v4, s1
	s_delay_alu instid0(VALU_DEP_1)
	v_cmp_gt_f64_e32 vcc_lo, v[0:1], v[2:3]
	s_cbranch_vccnz .LBB64_118
; %bb.115:
	v_cmp_eq_f64_e32 vcc_lo, 0, v[4:5]
	v_mov_b32_e32 v4, 0
	v_mov_b32_e32 v5, 0
	s_cbranch_vccnz .LBB64_117
; %bb.116:
	v_div_scale_f64 v[4:5], null, v[2:3], v[2:3], v[0:1]
	v_div_scale_f64 v[12:13], vcc_lo, v[0:1], v[2:3], v[0:1]
	s_delay_alu instid0(VALU_DEP_2) | instskip(SKIP_2) | instid1(VALU_DEP_1)
	v_rcp_f64_e32 v[8:9], v[4:5]
	s_waitcnt_depctr 0xfff
	v_fma_f64 v[10:11], -v[4:5], v[8:9], 1.0
	v_fma_f64 v[8:9], v[8:9], v[10:11], v[8:9]
	s_delay_alu instid0(VALU_DEP_1) | instskip(NEXT) | instid1(VALU_DEP_1)
	v_fma_f64 v[10:11], -v[4:5], v[8:9], 1.0
	v_fma_f64 v[8:9], v[8:9], v[10:11], v[8:9]
	s_delay_alu instid0(VALU_DEP_1) | instskip(NEXT) | instid1(VALU_DEP_1)
	v_mul_f64 v[10:11], v[12:13], v[8:9]
	v_fma_f64 v[4:5], -v[4:5], v[10:11], v[12:13]
	s_delay_alu instid0(VALU_DEP_1) | instskip(NEXT) | instid1(VALU_DEP_1)
	v_div_fmas_f64 v[4:5], v[4:5], v[8:9], v[10:11]
	v_div_fixup_f64 v[4:5], v[4:5], v[2:3], v[0:1]
	s_delay_alu instid0(VALU_DEP_1) | instskip(NEXT) | instid1(VALU_DEP_1)
	v_fma_f64 v[4:5], v[4:5], v[4:5], 1.0
	v_cmp_gt_f64_e32 vcc_lo, 0x10000000, v[4:5]
	v_cndmask_b32_e64 v8, 0, 1, vcc_lo
	s_and_b32 s1, vcc_lo, exec_lo
	s_cselect_b32 s1, 0xffffff80, 0
	s_delay_alu instid0(VALU_DEP_1) | instskip(NEXT) | instid1(VALU_DEP_1)
	v_lshlrev_b32_e32 v8, 8, v8
	v_ldexp_f64 v[4:5], v[4:5], v8
	s_delay_alu instid0(VALU_DEP_1) | instskip(SKIP_4) | instid1(VALU_DEP_1)
	v_rsq_f64_e32 v[8:9], v[4:5]
	v_cmp_class_f64_e64 vcc_lo, v[4:5], 0x260
	s_waitcnt_depctr 0xfff
	v_mul_f64 v[10:11], v[4:5], v[8:9]
	v_mul_f64 v[8:9], v[8:9], 0.5
	v_fma_f64 v[12:13], -v[8:9], v[10:11], 0.5
	s_delay_alu instid0(VALU_DEP_1) | instskip(SKIP_1) | instid1(VALU_DEP_2)
	v_fma_f64 v[10:11], v[10:11], v[12:13], v[10:11]
	v_fma_f64 v[8:9], v[8:9], v[12:13], v[8:9]
	v_fma_f64 v[12:13], -v[10:11], v[10:11], v[4:5]
	s_delay_alu instid0(VALU_DEP_1) | instskip(NEXT) | instid1(VALU_DEP_1)
	v_fma_f64 v[10:11], v[12:13], v[8:9], v[10:11]
	v_fma_f64 v[12:13], -v[10:11], v[10:11], v[4:5]
	s_delay_alu instid0(VALU_DEP_1) | instskip(NEXT) | instid1(VALU_DEP_1)
	v_fma_f64 v[8:9], v[12:13], v[8:9], v[10:11]
	v_ldexp_f64 v[8:9], v[8:9], s1
	s_delay_alu instid0(VALU_DEP_1) | instskip(NEXT) | instid1(VALU_DEP_1)
	v_dual_cndmask_b32 v5, v9, v5 :: v_dual_cndmask_b32 v4, v8, v4
	v_mul_f64 v[4:5], v[2:3], v[4:5]
.LBB64_117:
	s_cbranch_execz .LBB64_119
	s_branch .LBB64_120
.LBB64_118:
                                        ; implicit-def: $vgpr4_vgpr5
.LBB64_119:
	v_div_scale_f64 v[4:5], null, v[0:1], v[0:1], v[2:3]
	v_div_scale_f64 v[12:13], vcc_lo, v[2:3], v[0:1], v[2:3]
	s_delay_alu instid0(VALU_DEP_2) | instskip(SKIP_2) | instid1(VALU_DEP_1)
	v_rcp_f64_e32 v[8:9], v[4:5]
	s_waitcnt_depctr 0xfff
	v_fma_f64 v[10:11], -v[4:5], v[8:9], 1.0
	v_fma_f64 v[8:9], v[8:9], v[10:11], v[8:9]
	s_delay_alu instid0(VALU_DEP_1) | instskip(NEXT) | instid1(VALU_DEP_1)
	v_fma_f64 v[10:11], -v[4:5], v[8:9], 1.0
	v_fma_f64 v[8:9], v[8:9], v[10:11], v[8:9]
	s_delay_alu instid0(VALU_DEP_1) | instskip(NEXT) | instid1(VALU_DEP_1)
	v_mul_f64 v[10:11], v[12:13], v[8:9]
	v_fma_f64 v[4:5], -v[4:5], v[10:11], v[12:13]
	s_delay_alu instid0(VALU_DEP_1) | instskip(NEXT) | instid1(VALU_DEP_1)
	v_div_fmas_f64 v[4:5], v[4:5], v[8:9], v[10:11]
	v_div_fixup_f64 v[2:3], v[4:5], v[0:1], v[2:3]
	s_delay_alu instid0(VALU_DEP_1) | instskip(NEXT) | instid1(VALU_DEP_1)
	v_fma_f64 v[2:3], v[2:3], v[2:3], 1.0
	v_cmp_gt_f64_e32 vcc_lo, 0x10000000, v[2:3]
	v_cndmask_b32_e64 v4, 0, 1, vcc_lo
	s_and_b32 s1, vcc_lo, exec_lo
	s_cselect_b32 s1, 0xffffff80, 0
	s_delay_alu instid0(VALU_DEP_1) | instskip(NEXT) | instid1(VALU_DEP_1)
	v_lshlrev_b32_e32 v4, 8, v4
	v_ldexp_f64 v[2:3], v[2:3], v4
	s_delay_alu instid0(VALU_DEP_1) | instskip(SKIP_4) | instid1(VALU_DEP_1)
	v_rsq_f64_e32 v[4:5], v[2:3]
	v_cmp_class_f64_e64 vcc_lo, v[2:3], 0x260
	s_waitcnt_depctr 0xfff
	v_mul_f64 v[8:9], v[2:3], v[4:5]
	v_mul_f64 v[4:5], v[4:5], 0.5
	v_fma_f64 v[10:11], -v[4:5], v[8:9], 0.5
	s_delay_alu instid0(VALU_DEP_1) | instskip(SKIP_1) | instid1(VALU_DEP_2)
	v_fma_f64 v[8:9], v[8:9], v[10:11], v[8:9]
	v_fma_f64 v[4:5], v[4:5], v[10:11], v[4:5]
	v_fma_f64 v[10:11], -v[8:9], v[8:9], v[2:3]
	s_delay_alu instid0(VALU_DEP_1) | instskip(NEXT) | instid1(VALU_DEP_1)
	v_fma_f64 v[8:9], v[10:11], v[4:5], v[8:9]
	v_fma_f64 v[10:11], -v[8:9], v[8:9], v[2:3]
	s_delay_alu instid0(VALU_DEP_1) | instskip(NEXT) | instid1(VALU_DEP_1)
	v_fma_f64 v[4:5], v[10:11], v[4:5], v[8:9]
	v_ldexp_f64 v[4:5], v[4:5], s1
	s_delay_alu instid0(VALU_DEP_1) | instskip(NEXT) | instid1(VALU_DEP_1)
	v_dual_cndmask_b32 v3, v5, v3 :: v_dual_cndmask_b32 v2, v4, v2
	v_mul_f64 v[4:5], v[0:1], v[2:3]
.LBB64_120:
	s_delay_alu instid0(VALU_DEP_1) | instskip(SKIP_3) | instid1(VALU_DEP_1)
	v_cmp_gt_f64_e32 vcc_lo, 0x10000000, v[4:5]
	v_cndmask_b32_e64 v0, 0, 1, vcc_lo
	s_and_b32 s1, vcc_lo, exec_lo
	s_cselect_b32 s1, 0xffffff80, 0
	v_lshlrev_b32_e32 v0, 8, v0
	s_delay_alu instid0(VALU_DEP_1) | instskip(NEXT) | instid1(VALU_DEP_1)
	v_ldexp_f64 v[0:1], v[4:5], v0
	v_rsq_f64_e32 v[2:3], v[0:1]
	v_cmp_class_f64_e64 vcc_lo, v[0:1], 0x260
	s_waitcnt_depctr 0xfff
	v_mul_f64 v[4:5], v[0:1], v[2:3]
	v_mul_f64 v[2:3], v[2:3], 0.5
	s_delay_alu instid0(VALU_DEP_1) | instskip(NEXT) | instid1(VALU_DEP_1)
	v_fma_f64 v[8:9], -v[2:3], v[4:5], 0.5
	v_fma_f64 v[4:5], v[4:5], v[8:9], v[4:5]
	v_fma_f64 v[2:3], v[2:3], v[8:9], v[2:3]
	s_delay_alu instid0(VALU_DEP_2) | instskip(NEXT) | instid1(VALU_DEP_1)
	v_fma_f64 v[8:9], -v[4:5], v[4:5], v[0:1]
	v_fma_f64 v[4:5], v[8:9], v[2:3], v[4:5]
	s_delay_alu instid0(VALU_DEP_1) | instskip(NEXT) | instid1(VALU_DEP_1)
	v_fma_f64 v[8:9], -v[4:5], v[4:5], v[0:1]
	v_fma_f64 v[2:3], v[8:9], v[2:3], v[4:5]
	s_delay_alu instid0(VALU_DEP_1) | instskip(NEXT) | instid1(VALU_DEP_1)
	v_ldexp_f64 v[3:4], v[2:3], s1
	v_dual_mov_b32 v2, 0 :: v_dual_cndmask_b32 v1, v4, v1
	s_delay_alu instid0(VALU_DEP_1)
	v_dual_cndmask_b32 v0, v3, v0 :: v_dual_mov_b32 v3, v2
	ds_store_b128 v2, v[0:3] offset:1856
.LBB64_121:
	s_or_b32 exec_lo, exec_lo, s4
	v_mov_b32_e32 v0, 0
	s_waitcnt lgkmcnt(0)
	buffer_gl0_inv
	ds_load_b128 v[0:3], v0 offset:1856
	s_waitcnt lgkmcnt(0)
	v_cmp_neq_f64_e32 vcc_lo, 0, v[0:1]
	v_cmp_neq_f64_e64 s1, 0, v[2:3]
	s_delay_alu instid0(VALU_DEP_1) | instskip(SKIP_4) | instid1(SALU_CYCLE_1)
	s_or_b32 vcc_lo, vcc_lo, s1
	v_cndmask_b32_e32 v1, 0x3ff00000, v1, vcc_lo
	v_dual_cndmask_b32 v0, 0, v0 :: v_dual_cndmask_b32 v3, 0, v3
	v_cndmask_b32_e32 v2, 0, v2, vcc_lo
	s_or_b32 s1, vcc_lo, s0
	s_xor_b32 s4, s1, -1
	s_delay_alu instid0(SALU_CYCLE_1)
	s_and_saveexec_b32 s1, s4
	s_cbranch_execz .LBB64_125
; %bb.122:
	v_mbcnt_lo_u32_b32 v0, exec_lo, 0
	s_mov_b32 s4, exec_lo
	s_delay_alu instid0(VALU_DEP_1)
	v_cmpx_eq_u32_e32 0, v0
	s_cbranch_execz .LBB64_124
; %bb.123:
	v_dual_mov_b32 v0, 0 :: v_dual_mov_b32 v1, s2
	global_atomic_min_i32 v0, v1, s[10:11]
.LBB64_124:
	s_or_b32 exec_lo, exec_lo, s4
	v_mov_b32_e32 v0, 0
	v_dual_mov_b32 v1, 0x3ff00000 :: v_dual_mov_b32 v2, 0
	v_mov_b32_e32 v3, 0
.LBB64_125:
	s_or_b32 exec_lo, exec_lo, s1
	s_delay_alu instid0(SALU_CYCLE_1)
	s_mov_b32 s1, exec_lo
	v_cmpx_lt_u32_e32 4, v15
	s_cbranch_execz .LBB64_127
; %bb.126:
	v_mul_f64 v[4:5], v[2:3], v[2:3]
	v_mul_u32_u24_e32 v29, 0x70, v15
	s_delay_alu instid0(VALU_DEP_2) | instskip(NEXT) | instid1(VALU_DEP_1)
	v_fma_f64 v[4:5], v[0:1], v[0:1], v[4:5]
	v_div_scale_f64 v[12:13], null, v[4:5], v[4:5], 1.0
	v_div_scale_f64 v[23:24], vcc_lo, 1.0, v[4:5], 1.0
	s_delay_alu instid0(VALU_DEP_2) | instskip(SKIP_2) | instid1(VALU_DEP_1)
	v_rcp_f64_e32 v[8:9], v[12:13]
	s_waitcnt_depctr 0xfff
	v_fma_f64 v[10:11], -v[12:13], v[8:9], 1.0
	v_fma_f64 v[8:9], v[8:9], v[10:11], v[8:9]
	s_delay_alu instid0(VALU_DEP_1) | instskip(NEXT) | instid1(VALU_DEP_1)
	v_fma_f64 v[10:11], -v[12:13], v[8:9], 1.0
	v_fma_f64 v[25:26], v[8:9], v[10:11], v[8:9]
	ds_load_b128 v[8:11], v29 offset:1408
	ds_load_b128 v[19:22], v29 offset:2080
	s_waitcnt lgkmcnt(0)
	v_add_f64 v[10:11], v[10:11], -v[21:22]
	v_add_f64 v[8:9], v[8:9], -v[19:20]
	v_mul_f64 v[27:28], v[23:24], v[25:26]
	s_delay_alu instid0(VALU_DEP_3) | instskip(NEXT) | instid1(VALU_DEP_3)
	v_mul_f64 v[19:20], v[2:3], v[10:11]
	v_mul_f64 v[2:3], v[2:3], -v[8:9]
	s_delay_alu instid0(VALU_DEP_3) | instskip(NEXT) | instid1(VALU_DEP_3)
	v_fma_f64 v[12:13], -v[12:13], v[27:28], v[23:24]
	v_fma_f64 v[8:9], v[8:9], v[0:1], v[19:20]
	s_delay_alu instid0(VALU_DEP_3) | instskip(NEXT) | instid1(VALU_DEP_3)
	v_fma_f64 v[2:3], v[10:11], v[0:1], v[2:3]
	v_div_fmas_f64 v[12:13], v[12:13], v[25:26], v[27:28]
	s_delay_alu instid0(VALU_DEP_1) | instskip(NEXT) | instid1(VALU_DEP_1)
	v_div_fixup_f64 v[4:5], v[12:13], v[4:5], 1.0
	v_mul_f64 v[0:1], v[4:5], v[8:9]
	s_delay_alu instid0(VALU_DEP_4)
	v_mul_f64 v[2:3], v[4:5], v[2:3]
	v_mul_u32_u24_e32 v4, 0x70, v14
	ds_store_b128 v29, v[0:3] offset:1408
	s_waitcnt lgkmcnt(0)
	s_waitcnt_vscnt null, 0x0
	buffer_gl0_inv
	ds_load_b128 v[8:11], v4 offset:1408
	ds_load_b128 v[19:22], v18
	s_waitcnt lgkmcnt(0)
	v_fma_f64 v[4:5], v[0:1], v[8:9], v[19:20]
	v_fma_f64 v[8:9], v[2:3], v[8:9], v[21:22]
	s_delay_alu instid0(VALU_DEP_2) | instskip(NEXT) | instid1(VALU_DEP_2)
	v_fma_f64 v[2:3], v[2:3], v[10:11], v[4:5]
	v_fma_f64 v[4:5], v[0:1], -v[10:11], v[8:9]
	ds_store_b128 v18, v[2:5]
.LBB64_127:
	s_or_b32 exec_lo, exec_lo, s1
	s_delay_alu instid0(SALU_CYCLE_1)
	s_mov_b32 s4, exec_lo
	s_waitcnt lgkmcnt(0)
	s_waitcnt_vscnt null, 0x0
	buffer_gl0_inv
	v_cmpx_eq_u32_e32 5, v15
	s_cbranch_execz .LBB64_135
; %bb.128:
	v_mov_b32_e32 v4, 0
	ds_load_b128 v[0:3], v4 offset:2656
	ds_load_b128 v[8:11], v4 offset:1984
	s_waitcnt lgkmcnt(0)
	v_add_f64 v[0:1], v[8:9], -v[0:1]
	v_add_f64 v[4:5], v[10:11], -v[2:3]
	s_delay_alu instid0(VALU_DEP_2) | instskip(NEXT) | instid1(VALU_DEP_2)
	v_cmp_gt_f64_e32 vcc_lo, 0, v[0:1]
	v_cmp_gt_f64_e64 s1, 0, v[4:5]
	v_xor_b32_e32 v2, 0x80000000, v1
	v_xor_b32_e32 v3, 0x80000000, v5
	s_delay_alu instid0(VALU_DEP_2) | instskip(NEXT) | instid1(VALU_DEP_2)
	v_cndmask_b32_e32 v1, v1, v2, vcc_lo
	v_cndmask_b32_e64 v3, v5, v3, s1
	v_cndmask_b32_e32 v0, v0, v0, vcc_lo
	v_cndmask_b32_e64 v2, v4, v4, s1
	s_delay_alu instid0(VALU_DEP_1)
	v_cmp_gt_f64_e32 vcc_lo, v[0:1], v[2:3]
	s_cbranch_vccnz .LBB64_132
; %bb.129:
	v_cmp_eq_f64_e32 vcc_lo, 0, v[4:5]
	v_mov_b32_e32 v4, 0
	v_mov_b32_e32 v5, 0
	s_cbranch_vccnz .LBB64_131
; %bb.130:
	v_div_scale_f64 v[4:5], null, v[2:3], v[2:3], v[0:1]
	v_div_scale_f64 v[12:13], vcc_lo, v[0:1], v[2:3], v[0:1]
	s_delay_alu instid0(VALU_DEP_2) | instskip(SKIP_2) | instid1(VALU_DEP_1)
	v_rcp_f64_e32 v[8:9], v[4:5]
	s_waitcnt_depctr 0xfff
	v_fma_f64 v[10:11], -v[4:5], v[8:9], 1.0
	v_fma_f64 v[8:9], v[8:9], v[10:11], v[8:9]
	s_delay_alu instid0(VALU_DEP_1) | instskip(NEXT) | instid1(VALU_DEP_1)
	v_fma_f64 v[10:11], -v[4:5], v[8:9], 1.0
	v_fma_f64 v[8:9], v[8:9], v[10:11], v[8:9]
	s_delay_alu instid0(VALU_DEP_1) | instskip(NEXT) | instid1(VALU_DEP_1)
	v_mul_f64 v[10:11], v[12:13], v[8:9]
	v_fma_f64 v[4:5], -v[4:5], v[10:11], v[12:13]
	s_delay_alu instid0(VALU_DEP_1) | instskip(NEXT) | instid1(VALU_DEP_1)
	v_div_fmas_f64 v[4:5], v[4:5], v[8:9], v[10:11]
	v_div_fixup_f64 v[4:5], v[4:5], v[2:3], v[0:1]
	s_delay_alu instid0(VALU_DEP_1) | instskip(NEXT) | instid1(VALU_DEP_1)
	v_fma_f64 v[4:5], v[4:5], v[4:5], 1.0
	v_cmp_gt_f64_e32 vcc_lo, 0x10000000, v[4:5]
	v_cndmask_b32_e64 v8, 0, 1, vcc_lo
	s_and_b32 s1, vcc_lo, exec_lo
	s_cselect_b32 s1, 0xffffff80, 0
	s_delay_alu instid0(VALU_DEP_1) | instskip(NEXT) | instid1(VALU_DEP_1)
	v_lshlrev_b32_e32 v8, 8, v8
	v_ldexp_f64 v[4:5], v[4:5], v8
	s_delay_alu instid0(VALU_DEP_1) | instskip(SKIP_4) | instid1(VALU_DEP_1)
	v_rsq_f64_e32 v[8:9], v[4:5]
	v_cmp_class_f64_e64 vcc_lo, v[4:5], 0x260
	s_waitcnt_depctr 0xfff
	v_mul_f64 v[10:11], v[4:5], v[8:9]
	v_mul_f64 v[8:9], v[8:9], 0.5
	v_fma_f64 v[12:13], -v[8:9], v[10:11], 0.5
	s_delay_alu instid0(VALU_DEP_1) | instskip(SKIP_1) | instid1(VALU_DEP_2)
	v_fma_f64 v[10:11], v[10:11], v[12:13], v[10:11]
	v_fma_f64 v[8:9], v[8:9], v[12:13], v[8:9]
	v_fma_f64 v[12:13], -v[10:11], v[10:11], v[4:5]
	s_delay_alu instid0(VALU_DEP_1) | instskip(NEXT) | instid1(VALU_DEP_1)
	v_fma_f64 v[10:11], v[12:13], v[8:9], v[10:11]
	v_fma_f64 v[12:13], -v[10:11], v[10:11], v[4:5]
	s_delay_alu instid0(VALU_DEP_1) | instskip(NEXT) | instid1(VALU_DEP_1)
	v_fma_f64 v[8:9], v[12:13], v[8:9], v[10:11]
	v_ldexp_f64 v[8:9], v[8:9], s1
	s_delay_alu instid0(VALU_DEP_1) | instskip(NEXT) | instid1(VALU_DEP_1)
	v_dual_cndmask_b32 v5, v9, v5 :: v_dual_cndmask_b32 v4, v8, v4
	v_mul_f64 v[4:5], v[2:3], v[4:5]
.LBB64_131:
	s_cbranch_execz .LBB64_133
	s_branch .LBB64_134
.LBB64_132:
                                        ; implicit-def: $vgpr4_vgpr5
.LBB64_133:
	v_div_scale_f64 v[4:5], null, v[0:1], v[0:1], v[2:3]
	v_div_scale_f64 v[12:13], vcc_lo, v[2:3], v[0:1], v[2:3]
	s_delay_alu instid0(VALU_DEP_2) | instskip(SKIP_2) | instid1(VALU_DEP_1)
	v_rcp_f64_e32 v[8:9], v[4:5]
	s_waitcnt_depctr 0xfff
	v_fma_f64 v[10:11], -v[4:5], v[8:9], 1.0
	v_fma_f64 v[8:9], v[8:9], v[10:11], v[8:9]
	s_delay_alu instid0(VALU_DEP_1) | instskip(NEXT) | instid1(VALU_DEP_1)
	v_fma_f64 v[10:11], -v[4:5], v[8:9], 1.0
	v_fma_f64 v[8:9], v[8:9], v[10:11], v[8:9]
	s_delay_alu instid0(VALU_DEP_1) | instskip(NEXT) | instid1(VALU_DEP_1)
	v_mul_f64 v[10:11], v[12:13], v[8:9]
	v_fma_f64 v[4:5], -v[4:5], v[10:11], v[12:13]
	s_delay_alu instid0(VALU_DEP_1) | instskip(NEXT) | instid1(VALU_DEP_1)
	v_div_fmas_f64 v[4:5], v[4:5], v[8:9], v[10:11]
	v_div_fixup_f64 v[2:3], v[4:5], v[0:1], v[2:3]
	s_delay_alu instid0(VALU_DEP_1) | instskip(NEXT) | instid1(VALU_DEP_1)
	v_fma_f64 v[2:3], v[2:3], v[2:3], 1.0
	v_cmp_gt_f64_e32 vcc_lo, 0x10000000, v[2:3]
	v_cndmask_b32_e64 v4, 0, 1, vcc_lo
	s_and_b32 s1, vcc_lo, exec_lo
	s_cselect_b32 s1, 0xffffff80, 0
	s_delay_alu instid0(VALU_DEP_1) | instskip(NEXT) | instid1(VALU_DEP_1)
	v_lshlrev_b32_e32 v4, 8, v4
	v_ldexp_f64 v[2:3], v[2:3], v4
	s_delay_alu instid0(VALU_DEP_1) | instskip(SKIP_4) | instid1(VALU_DEP_1)
	v_rsq_f64_e32 v[4:5], v[2:3]
	v_cmp_class_f64_e64 vcc_lo, v[2:3], 0x260
	s_waitcnt_depctr 0xfff
	v_mul_f64 v[8:9], v[2:3], v[4:5]
	v_mul_f64 v[4:5], v[4:5], 0.5
	v_fma_f64 v[10:11], -v[4:5], v[8:9], 0.5
	s_delay_alu instid0(VALU_DEP_1) | instskip(SKIP_1) | instid1(VALU_DEP_2)
	v_fma_f64 v[8:9], v[8:9], v[10:11], v[8:9]
	v_fma_f64 v[4:5], v[4:5], v[10:11], v[4:5]
	v_fma_f64 v[10:11], -v[8:9], v[8:9], v[2:3]
	s_delay_alu instid0(VALU_DEP_1) | instskip(NEXT) | instid1(VALU_DEP_1)
	v_fma_f64 v[8:9], v[10:11], v[4:5], v[8:9]
	v_fma_f64 v[10:11], -v[8:9], v[8:9], v[2:3]
	s_delay_alu instid0(VALU_DEP_1) | instskip(NEXT) | instid1(VALU_DEP_1)
	v_fma_f64 v[4:5], v[10:11], v[4:5], v[8:9]
	v_ldexp_f64 v[4:5], v[4:5], s1
	s_delay_alu instid0(VALU_DEP_1) | instskip(NEXT) | instid1(VALU_DEP_1)
	v_dual_cndmask_b32 v3, v5, v3 :: v_dual_cndmask_b32 v2, v4, v2
	v_mul_f64 v[4:5], v[0:1], v[2:3]
.LBB64_134:
	s_delay_alu instid0(VALU_DEP_1) | instskip(SKIP_3) | instid1(VALU_DEP_1)
	v_cmp_gt_f64_e32 vcc_lo, 0x10000000, v[4:5]
	v_cndmask_b32_e64 v0, 0, 1, vcc_lo
	s_and_b32 s1, vcc_lo, exec_lo
	s_cselect_b32 s1, 0xffffff80, 0
	v_lshlrev_b32_e32 v0, 8, v0
	s_delay_alu instid0(VALU_DEP_1) | instskip(NEXT) | instid1(VALU_DEP_1)
	v_ldexp_f64 v[0:1], v[4:5], v0
	v_rsq_f64_e32 v[2:3], v[0:1]
	v_cmp_class_f64_e64 vcc_lo, v[0:1], 0x260
	s_waitcnt_depctr 0xfff
	v_mul_f64 v[4:5], v[0:1], v[2:3]
	v_mul_f64 v[2:3], v[2:3], 0.5
	s_delay_alu instid0(VALU_DEP_1) | instskip(NEXT) | instid1(VALU_DEP_1)
	v_fma_f64 v[8:9], -v[2:3], v[4:5], 0.5
	v_fma_f64 v[4:5], v[4:5], v[8:9], v[4:5]
	v_fma_f64 v[2:3], v[2:3], v[8:9], v[2:3]
	s_delay_alu instid0(VALU_DEP_2) | instskip(NEXT) | instid1(VALU_DEP_1)
	v_fma_f64 v[8:9], -v[4:5], v[4:5], v[0:1]
	v_fma_f64 v[4:5], v[8:9], v[2:3], v[4:5]
	s_delay_alu instid0(VALU_DEP_1) | instskip(NEXT) | instid1(VALU_DEP_1)
	v_fma_f64 v[8:9], -v[4:5], v[4:5], v[0:1]
	v_fma_f64 v[2:3], v[8:9], v[2:3], v[4:5]
	s_delay_alu instid0(VALU_DEP_1) | instskip(NEXT) | instid1(VALU_DEP_1)
	v_ldexp_f64 v[3:4], v[2:3], s1
	v_dual_mov_b32 v2, 0 :: v_dual_cndmask_b32 v1, v4, v1
	s_delay_alu instid0(VALU_DEP_1)
	v_dual_cndmask_b32 v0, v3, v0 :: v_dual_mov_b32 v3, v2
	ds_store_b128 v2, v[0:3] offset:1984
.LBB64_135:
	s_or_b32 exec_lo, exec_lo, s4
	v_mov_b32_e32 v0, 0
	s_waitcnt lgkmcnt(0)
	buffer_gl0_inv
	ds_load_b128 v[0:3], v0 offset:1984
	s_waitcnt lgkmcnt(0)
	v_cmp_neq_f64_e32 vcc_lo, 0, v[0:1]
	v_cmp_neq_f64_e64 s1, 0, v[2:3]
	s_delay_alu instid0(VALU_DEP_1) | instskip(SKIP_4) | instid1(SALU_CYCLE_1)
	s_or_b32 vcc_lo, vcc_lo, s1
	v_cndmask_b32_e32 v1, 0x3ff00000, v1, vcc_lo
	v_dual_cndmask_b32 v0, 0, v0 :: v_dual_cndmask_b32 v3, 0, v3
	v_cndmask_b32_e32 v2, 0, v2, vcc_lo
	s_or_b32 s0, vcc_lo, s0
	s_xor_b32 s1, s0, -1
	s_delay_alu instid0(SALU_CYCLE_1)
	s_and_saveexec_b32 s0, s1
	s_cbranch_execz .LBB64_139
; %bb.136:
	v_mbcnt_lo_u32_b32 v0, exec_lo, 0
	s_mov_b32 s1, exec_lo
	s_delay_alu instid0(VALU_DEP_1)
	v_cmpx_eq_u32_e32 0, v0
	s_cbranch_execz .LBB64_138
; %bb.137:
	v_dual_mov_b32 v0, 0 :: v_dual_mov_b32 v1, s2
	global_atomic_min_i32 v0, v1, s[10:11]
.LBB64_138:
	s_or_b32 exec_lo, exec_lo, s1
	v_mov_b32_e32 v0, 0
	v_dual_mov_b32 v1, 0x3ff00000 :: v_dual_mov_b32 v2, 0
	v_mov_b32_e32 v3, 0
.LBB64_139:
	s_or_b32 exec_lo, exec_lo, s0
	s_delay_alu instid0(SALU_CYCLE_1)
	s_mov_b32 s0, exec_lo
	v_cmpx_lt_u32_e32 5, v15
	s_cbranch_execz .LBB64_141
; %bb.140:
	v_mul_f64 v[4:5], v[2:3], v[2:3]
	v_mul_u32_u24_e32 v29, 0x70, v15
	s_delay_alu instid0(VALU_DEP_2) | instskip(NEXT) | instid1(VALU_DEP_1)
	v_fma_f64 v[4:5], v[0:1], v[0:1], v[4:5]
	v_div_scale_f64 v[12:13], null, v[4:5], v[4:5], 1.0
	v_div_scale_f64 v[23:24], vcc_lo, 1.0, v[4:5], 1.0
	s_delay_alu instid0(VALU_DEP_2) | instskip(SKIP_2) | instid1(VALU_DEP_1)
	v_rcp_f64_e32 v[8:9], v[12:13]
	s_waitcnt_depctr 0xfff
	v_fma_f64 v[10:11], -v[12:13], v[8:9], 1.0
	v_fma_f64 v[8:9], v[8:9], v[10:11], v[8:9]
	s_delay_alu instid0(VALU_DEP_1) | instskip(NEXT) | instid1(VALU_DEP_1)
	v_fma_f64 v[10:11], -v[12:13], v[8:9], 1.0
	v_fma_f64 v[25:26], v[8:9], v[10:11], v[8:9]
	ds_load_b128 v[8:11], v29 offset:1424
	ds_load_b128 v[19:22], v29 offset:2096
	s_waitcnt lgkmcnt(0)
	v_add_f64 v[10:11], v[10:11], -v[21:22]
	v_add_f64 v[8:9], v[8:9], -v[19:20]
	v_mul_f64 v[27:28], v[23:24], v[25:26]
	s_delay_alu instid0(VALU_DEP_3) | instskip(NEXT) | instid1(VALU_DEP_3)
	v_mul_f64 v[19:20], v[2:3], v[10:11]
	v_mul_f64 v[2:3], v[2:3], -v[8:9]
	s_delay_alu instid0(VALU_DEP_3) | instskip(NEXT) | instid1(VALU_DEP_3)
	v_fma_f64 v[12:13], -v[12:13], v[27:28], v[23:24]
	v_fma_f64 v[8:9], v[8:9], v[0:1], v[19:20]
	s_delay_alu instid0(VALU_DEP_3) | instskip(NEXT) | instid1(VALU_DEP_3)
	v_fma_f64 v[2:3], v[10:11], v[0:1], v[2:3]
	v_div_fmas_f64 v[12:13], v[12:13], v[25:26], v[27:28]
	s_delay_alu instid0(VALU_DEP_1) | instskip(NEXT) | instid1(VALU_DEP_1)
	v_div_fixup_f64 v[4:5], v[12:13], v[4:5], 1.0
	v_mul_f64 v[0:1], v[4:5], v[8:9]
	s_delay_alu instid0(VALU_DEP_4)
	v_mul_f64 v[2:3], v[4:5], v[2:3]
	v_mul_u32_u24_e32 v4, 0x70, v14
	ds_store_b128 v29, v[0:3] offset:1424
	s_waitcnt lgkmcnt(0)
	s_waitcnt_vscnt null, 0x0
	buffer_gl0_inv
	ds_load_b128 v[8:11], v4 offset:1424
	ds_load_b128 v[19:22], v18
	s_waitcnt lgkmcnt(0)
	v_fma_f64 v[4:5], v[0:1], v[8:9], v[19:20]
	v_fma_f64 v[8:9], v[2:3], v[8:9], v[21:22]
	s_delay_alu instid0(VALU_DEP_2) | instskip(NEXT) | instid1(VALU_DEP_2)
	v_fma_f64 v[2:3], v[2:3], v[10:11], v[4:5]
	v_fma_f64 v[4:5], v[0:1], -v[10:11], v[8:9]
	ds_store_b128 v18, v[2:5]
.LBB64_141:
	s_or_b32 exec_lo, exec_lo, s0
	s_delay_alu instid0(SALU_CYCLE_1)
	s_and_not1_b32 vcc_lo, exec_lo, s3
	s_waitcnt lgkmcnt(0)
	s_waitcnt_vscnt null, 0x0
	buffer_gl0_inv
	s_cbranch_vccnz .LBB64_143
; %bb.142:
	v_mov_b32_e32 v16, v17
.LBB64_143:
	s_delay_alu instid0(VALU_DEP_1) | instskip(SKIP_3) | instid1(VALU_DEP_1)
	v_add_nc_u32_e32 v4, s26, v16
	ds_load_2addr_b64 v[0:3], v6 offset1:1
	v_cmp_eq_u32_e64 s3, 0, v7
	v_ashrrev_i32_e32 v5, 31, v4
	v_lshlrev_b64 v[4:5], 4, v[4:5]
	s_delay_alu instid0(VALU_DEP_1) | instskip(NEXT) | instid1(VALU_DEP_2)
	v_add_co_u32 v4, vcc_lo, s18, v4
	v_add_co_ci_u32_e32 v5, vcc_lo, s19, v5, vcc_lo
	s_waitcnt lgkmcnt(0)
	global_store_b128 v[4:5], v[0:3], off
	s_branch .LBB64_149
.LBB64_144:
	v_or_b32_e32 v0, v14, v15
	s_mov_b32 s0, exec_lo
	s_delay_alu instid0(VALU_DEP_1)
	v_cmpx_eq_u32_e32 0, v0
	s_cbranch_execz .LBB64_148
; %bb.145:
	v_mbcnt_lo_u32_b32 v0, exec_lo, 0
	s_mov_b32 s1, exec_lo
	s_delay_alu instid0(VALU_DEP_1)
	v_cmpx_eq_u32_e32 0, v0
	s_cbranch_execz .LBB64_147
; %bb.146:
	s_add_i32 s2, s16, s17
	s_delay_alu instid0(SALU_CYCLE_1)
	v_dual_mov_b32 v0, 0 :: v_dual_mov_b32 v1, s2
	global_atomic_min_i32 v0, v1, s[10:11]
.LBB64_147:
	s_or_b32 exec_lo, exec_lo, s1
	s_delay_alu instid0(SALU_CYCLE_1)
	s_or_b32 s3, s3, exec_lo
.LBB64_148:
	s_or_b32 exec_lo, exec_lo, s0
.LBB64_149:
	s_and_saveexec_b32 s0, s3
	s_cbranch_execnz .LBB64_151
; %bb.150:
	s_nop 0
	s_sendmsg sendmsg(MSG_DEALLOC_VGPRS)
	s_endpgm
.LBB64_151:
	v_dual_mov_b32 v0, 0 :: v_dual_mov_b32 v1, 1
	s_add_u32 s0, s6, s8
	s_addc_u32 s1, s7, s9
	s_waitcnt_vscnt null, 0x0
	global_store_b32 v0, v1, s[0:1]
	s_nop 0
	s_sendmsg sendmsg(MSG_DEALLOC_VGPRS)
	s_endpgm
	.section	.rodata,"a",@progbits
	.p2align	6, 0x0
	.amdhsa_kernel _ZN9rocsparseL26bsric0_2_8_unrolled_kernelILi36ELi32ELi6E21rocsparse_complex_numIdEEEv20rocsparse_direction_iiPKiS5_PT2_S5_PiS5_S8_21rocsparse_index_base_
		.amdhsa_group_segment_fixed_size 3072
		.amdhsa_private_segment_fixed_size 0
		.amdhsa_kernarg_size 76
		.amdhsa_user_sgpr_count 15
		.amdhsa_user_sgpr_dispatch_ptr 0
		.amdhsa_user_sgpr_queue_ptr 0
		.amdhsa_user_sgpr_kernarg_segment_ptr 1
		.amdhsa_user_sgpr_dispatch_id 0
		.amdhsa_user_sgpr_private_segment_size 0
		.amdhsa_wavefront_size32 1
		.amdhsa_uses_dynamic_stack 0
		.amdhsa_enable_private_segment 0
		.amdhsa_system_sgpr_workgroup_id_x 1
		.amdhsa_system_sgpr_workgroup_id_y 0
		.amdhsa_system_sgpr_workgroup_id_z 0
		.amdhsa_system_sgpr_workgroup_info 0
		.amdhsa_system_vgpr_workitem_id 1
		.amdhsa_next_free_vgpr 71
		.amdhsa_next_free_sgpr 37
		.amdhsa_reserve_vcc 1
		.amdhsa_float_round_mode_32 0
		.amdhsa_float_round_mode_16_64 0
		.amdhsa_float_denorm_mode_32 3
		.amdhsa_float_denorm_mode_16_64 3
		.amdhsa_dx10_clamp 1
		.amdhsa_ieee_mode 1
		.amdhsa_fp16_overflow 0
		.amdhsa_workgroup_processor_mode 1
		.amdhsa_memory_ordered 1
		.amdhsa_forward_progress 0
		.amdhsa_shared_vgpr_count 0
		.amdhsa_exception_fp_ieee_invalid_op 0
		.amdhsa_exception_fp_denorm_src 0
		.amdhsa_exception_fp_ieee_div_zero 0
		.amdhsa_exception_fp_ieee_overflow 0
		.amdhsa_exception_fp_ieee_underflow 0
		.amdhsa_exception_fp_ieee_inexact 0
		.amdhsa_exception_int_div_zero 0
	.end_amdhsa_kernel
	.section	.text._ZN9rocsparseL26bsric0_2_8_unrolled_kernelILi36ELi32ELi6E21rocsparse_complex_numIdEEEv20rocsparse_direction_iiPKiS5_PT2_S5_PiS5_S8_21rocsparse_index_base_,"axG",@progbits,_ZN9rocsparseL26bsric0_2_8_unrolled_kernelILi36ELi32ELi6E21rocsparse_complex_numIdEEEv20rocsparse_direction_iiPKiS5_PT2_S5_PiS5_S8_21rocsparse_index_base_,comdat
.Lfunc_end64:
	.size	_ZN9rocsparseL26bsric0_2_8_unrolled_kernelILi36ELi32ELi6E21rocsparse_complex_numIdEEEv20rocsparse_direction_iiPKiS5_PT2_S5_PiS5_S8_21rocsparse_index_base_, .Lfunc_end64-_ZN9rocsparseL26bsric0_2_8_unrolled_kernelILi36ELi32ELi6E21rocsparse_complex_numIdEEEv20rocsparse_direction_iiPKiS5_PT2_S5_PiS5_S8_21rocsparse_index_base_
                                        ; -- End function
	.section	.AMDGPU.csdata,"",@progbits
; Kernel info:
; codeLenInByte = 15204
; NumSgprs: 39
; NumVgprs: 71
; ScratchSize: 0
; MemoryBound: 1
; FloatMode: 240
; IeeeMode: 1
; LDSByteSize: 3072 bytes/workgroup (compile time only)
; SGPRBlocks: 4
; VGPRBlocks: 8
; NumSGPRsForWavesPerEU: 39
; NumVGPRsForWavesPerEU: 71
; Occupancy: 16
; WaveLimiterHint : 1
; COMPUTE_PGM_RSRC2:SCRATCH_EN: 0
; COMPUTE_PGM_RSRC2:USER_SGPR: 15
; COMPUTE_PGM_RSRC2:TRAP_HANDLER: 0
; COMPUTE_PGM_RSRC2:TGID_X_EN: 1
; COMPUTE_PGM_RSRC2:TGID_Y_EN: 0
; COMPUTE_PGM_RSRC2:TGID_Z_EN: 0
; COMPUTE_PGM_RSRC2:TIDIG_COMP_CNT: 1
	.section	.text._ZN9rocsparseL26bsric0_2_8_unrolled_kernelILi49ELi32ELi7E21rocsparse_complex_numIdEEEv20rocsparse_direction_iiPKiS5_PT2_S5_PiS5_S8_21rocsparse_index_base_,"axG",@progbits,_ZN9rocsparseL26bsric0_2_8_unrolled_kernelILi49ELi32ELi7E21rocsparse_complex_numIdEEEv20rocsparse_direction_iiPKiS5_PT2_S5_PiS5_S8_21rocsparse_index_base_,comdat
	.globl	_ZN9rocsparseL26bsric0_2_8_unrolled_kernelILi49ELi32ELi7E21rocsparse_complex_numIdEEEv20rocsparse_direction_iiPKiS5_PT2_S5_PiS5_S8_21rocsparse_index_base_ ; -- Begin function _ZN9rocsparseL26bsric0_2_8_unrolled_kernelILi49ELi32ELi7E21rocsparse_complex_numIdEEEv20rocsparse_direction_iiPKiS5_PT2_S5_PiS5_S8_21rocsparse_index_base_
	.p2align	8
	.type	_ZN9rocsparseL26bsric0_2_8_unrolled_kernelILi49ELi32ELi7E21rocsparse_complex_numIdEEEv20rocsparse_direction_iiPKiS5_PT2_S5_PiS5_S8_21rocsparse_index_base_,@function
_ZN9rocsparseL26bsric0_2_8_unrolled_kernelILi49ELi32ELi7E21rocsparse_complex_numIdEEEv20rocsparse_direction_iiPKiS5_PT2_S5_PiS5_S8_21rocsparse_index_base_: ; @_ZN9rocsparseL26bsric0_2_8_unrolled_kernelILi49ELi32ELi7E21rocsparse_complex_numIdEEEv20rocsparse_direction_iiPKiS5_PT2_S5_PiS5_S8_21rocsparse_index_base_
; %bb.0:
	s_load_b256 s[4:11], s[0:1], 0x28
	s_mov_b32 s2, s15
	s_mov_b32 s3, 0
	v_and_b32_e32 v14, 0x3ff, v0
	s_lshl_b64 s[12:13], s[2:3], 2
	v_bfe_u32 v15, v0, 10, 10
	s_waitcnt lgkmcnt(0)
	s_add_u32 s8, s8, s12
	s_addc_u32 s9, s9, s13
	s_load_b32 s16, s[8:9], 0x0
	s_waitcnt lgkmcnt(0)
	s_ashr_i32 s17, s16, 31
	s_delay_alu instid0(SALU_CYCLE_1) | instskip(NEXT) | instid1(SALU_CYCLE_1)
	s_lshl_b64 s[8:9], s[16:17], 2
	s_add_u32 s12, s4, s8
	s_addc_u32 s13, s5, s9
	s_load_b32 s26, s[12:13], 0x0
	s_load_b32 s17, s[0:1], 0x48
	s_waitcnt lgkmcnt(0)
	s_cmp_lg_u32 s26, -1
	s_cbranch_scc0 .LBB65_65
; %bb.1:
	s_clause 0x1
	s_load_b128 s[12:15], s[0:1], 0x10
	s_load_b64 s[18:19], s[0:1], 0x20
	v_mad_u32_u24 v16, v15, 7, v14
	s_waitcnt lgkmcnt(0)
	s_add_u32 s2, s12, s8
	s_addc_u32 s3, s13, s9
	s_load_b32 s2, s[2:3], 0x0
	s_mov_b32 s3, exec_lo
	s_waitcnt lgkmcnt(0)
	s_sub_i32 s27, s2, s17
	s_delay_alu instid0(SALU_CYCLE_1) | instskip(NEXT) | instid1(VALU_DEP_1)
	v_add_nc_u32_e32 v0, s27, v16
	v_cmpx_ge_i32_e64 s26, v0
	s_cbranch_execz .LBB65_4
; %bb.2:
	v_ashrrev_i32_e32 v1, 31, v0
	v_lshl_add_u32 v3, v16, 2, 0xf00
	s_mov_b32 s20, 0
	s_delay_alu instid0(VALU_DEP_2) | instskip(NEXT) | instid1(VALU_DEP_1)
	v_lshlrev_b64 v[1:2], 2, v[0:1]
	v_add_co_u32 v1, vcc_lo, s14, v1
	s_delay_alu instid0(VALU_DEP_2)
	v_add_co_ci_u32_e32 v2, vcc_lo, s15, v2, vcc_lo
	.p2align	6
.LBB65_3:                               ; =>This Inner Loop Header: Depth=1
	global_load_b32 v4, v[1:2], off
	v_add_nc_u32_e32 v0, 49, v0
	v_add_co_u32 v1, vcc_lo, 0xc4, v1
	v_add_co_ci_u32_e32 v2, vcc_lo, 0, v2, vcc_lo
	s_delay_alu instid0(VALU_DEP_3) | instskip(NEXT) | instid1(VALU_DEP_1)
	v_cmp_lt_i32_e64 s2, s26, v0
	s_or_b32 s20, s2, s20
	s_waitcnt vmcnt(0)
	v_subrev_nc_u32_e32 v4, s17, v4
	ds_store_b32 v3, v4
	v_add_nc_u32_e32 v3, 0xc4, v3
	s_and_not1_b32 exec_lo, exec_lo, s20
	s_cbranch_execnz .LBB65_3
.LBB65_4:
	s_or_b32 exec_lo, exec_lo, s3
	s_load_b32 s28, s[0:1], 0x0
	v_mov_b32_e32 v0, 0
	v_lshlrev_b32_e32 v4, 4, v14
	v_mul_u32_u24_e32 v20, 7, v15
	v_mad_u32_u24 v17, v14, 7, v15
	s_cmp_ge_i32 s27, s26
	v_mov_b32_e32 v1, v0
	v_lshl_add_u32 v19, v15, 7, v4
	v_mov_b32_e32 v2, v0
	s_delay_alu instid0(VALU_DEP_2)
	v_dual_mov_b32 v3, v0 :: v_dual_add_nc_u32 v18, 0xa80, v19
	ds_store_b128 v19, v[0:3] offset:2688
	s_waitcnt lgkmcnt(0)
	buffer_gl0_inv
	s_cbranch_scc1 .LBB65_58
; %bb.5:
	v_lshlrev_b32_e32 v1, 7, v15
	s_cmp_eq_u32 s28, 0
	v_mad_u32_u24 v2, v14, 7, v15
	v_or_b32_e32 v3, v14, v15
	s_cselect_b32 vcc_lo, -1, 0
	v_add_nc_u32_e32 v22, 0x700, v1
	v_add_nc_u32_e32 v23, 0x380, v1
	v_cndmask_b32_e32 v5, v2, v16, vcc_lo
	v_mul_u32_u24_e32 v21, 7, v14
	v_add_nc_u32_e32 v24, v1, v4
	v_add_nc_u32_e32 v25, v22, v4
	;; [unrolled: 1-line block ×3, first 2 shown]
	v_cmp_ne_u32_e64 s0, 0, v3
	v_lshl_add_u32 v27, v14, 7, 0x700
	s_cmp_lg_u32 s28, 0
	s_mov_b32 s2, s27
	s_cselect_b32 s29, -1, 0
	s_branch .LBB65_9
.LBB65_6:                               ;   in Loop: Header=BB65_9 Depth=1
	s_or_b32 exec_lo, exec_lo, s20
	v_mov_b32_e32 v8, 0
	v_dual_mov_b32 v9, 0x3ff00000 :: v_dual_mov_b32 v10, 0
	v_mov_b32_e32 v11, 0
.LBB65_7:                               ;   in Loop: Header=BB65_9 Depth=1
	s_or_b32 exec_lo, exec_lo, s1
	ds_load_b128 v[28:31], v0 offset:768
	ds_load_b128 v[32:35], v23 offset:96
	ds_load_b128 v[36:39], v22
	ds_load_b128 v[40:43], v22 offset:16
	s_add_i32 s2, s2, 1
	s_delay_alu instid0(SALU_CYCLE_1) | instskip(SKIP_4) | instid1(VALU_DEP_2)
	s_cmp_ge_i32 s2, s26
	s_cselect_b32 s23, -1, 0
	s_waitcnt lgkmcnt(1)
	v_fma_f64 v[12:13], v[30:31], v[36:37], v[34:35]
	v_fma_f64 v[32:33], v[28:29], v[36:37], v[32:33]
	v_fma_f64 v[12:13], v[28:29], -v[38:39], v[12:13]
	s_delay_alu instid0(VALU_DEP_2)
	v_fma_f64 v[36:37], v[30:31], v[38:39], v[32:33]
	ds_load_b128 v[28:31], v0 offset:784
	ds_load_b128 v[32:35], v0 offset:800
	v_mul_f64 v[38:39], v[10:11], v[10:11]
	s_waitcnt lgkmcnt(1)
	v_fma_f64 v[12:13], v[30:31], v[40:41], v[12:13]
	v_fma_f64 v[36:37], v[28:29], v[40:41], v[36:37]
	s_delay_alu instid0(VALU_DEP_2) | instskip(NEXT) | instid1(VALU_DEP_2)
	v_fma_f64 v[12:13], v[28:29], -v[42:43], v[12:13]
	v_fma_f64 v[40:41], v[30:31], v[42:43], v[36:37]
	ds_load_b128 v[28:31], v22 offset:32
	v_fma_f64 v[42:43], v[8:9], v[8:9], v[38:39]
	ds_load_b128 v[36:39], v22 offset:48
	s_waitcnt lgkmcnt(1)
	v_fma_f64 v[12:13], v[34:35], v[28:29], v[12:13]
	v_fma_f64 v[28:29], v[32:33], v[28:29], v[40:41]
	v_div_scale_f64 v[40:41], null, v[42:43], v[42:43], 1.0
	v_div_scale_f64 v[46:47], vcc_lo, 1.0, v[42:43], 1.0
	s_delay_alu instid0(VALU_DEP_4) | instskip(NEXT) | instid1(VALU_DEP_4)
	v_fma_f64 v[12:13], v[32:33], -v[30:31], v[12:13]
	v_fma_f64 v[32:33], v[34:35], v[30:31], v[28:29]
	ds_load_b128 v[28:31], v0 offset:816
	v_rcp_f64_e32 v[44:45], v[40:41]
	s_waitcnt lgkmcnt(0)
	v_fma_f64 v[12:13], v[30:31], v[36:37], v[12:13]
	v_fma_f64 v[32:33], v[28:29], v[36:37], v[32:33]
	s_waitcnt_depctr 0xfff
	v_fma_f64 v[36:37], -v[40:41], v[44:45], 1.0
	v_fma_f64 v[12:13], v[28:29], -v[38:39], v[12:13]
	v_fma_f64 v[38:39], v[30:31], v[38:39], v[32:33]
	ds_load_b128 v[28:31], v0 offset:832
	ds_load_b128 v[32:35], v22 offset:64
	v_fma_f64 v[36:37], v[44:45], v[36:37], v[44:45]
	s_waitcnt lgkmcnt(0)
	v_fma_f64 v[12:13], v[30:31], v[32:33], v[12:13]
	v_fma_f64 v[32:33], v[28:29], v[32:33], v[38:39]
	s_delay_alu instid0(VALU_DEP_3) | instskip(NEXT) | instid1(VALU_DEP_3)
	v_fma_f64 v[38:39], -v[40:41], v[36:37], 1.0
	v_fma_f64 v[12:13], v[28:29], -v[34:35], v[12:13]
	s_delay_alu instid0(VALU_DEP_3)
	v_fma_f64 v[44:45], v[30:31], v[34:35], v[32:33]
	ds_load_b128 v[28:31], v22 offset:80
	ds_load_b128 v[32:35], v0 offset:848
	v_fma_f64 v[36:37], v[36:37], v[38:39], v[36:37]
	s_waitcnt lgkmcnt(0)
	v_fma_f64 v[12:13], v[34:35], v[28:29], v[12:13]
	v_fma_f64 v[28:29], v[32:33], v[28:29], v[44:45]
	s_delay_alu instid0(VALU_DEP_3) | instskip(NEXT) | instid1(VALU_DEP_3)
	v_mul_f64 v[38:39], v[46:47], v[36:37]
	v_fma_f64 v[12:13], v[32:33], -v[30:31], v[12:13]
	s_delay_alu instid0(VALU_DEP_3) | instskip(NEXT) | instid1(VALU_DEP_3)
	v_fma_f64 v[28:29], v[34:35], v[30:31], v[28:29]
	v_fma_f64 v[30:31], -v[40:41], v[38:39], v[46:47]
	s_delay_alu instid0(VALU_DEP_3) | instskip(NEXT) | instid1(VALU_DEP_3)
	v_add_f64 v[3:4], v[3:4], -v[12:13]
	v_add_f64 v[1:2], v[1:2], -v[28:29]
	s_delay_alu instid0(VALU_DEP_3) | instskip(NEXT) | instid1(VALU_DEP_3)
	v_div_fmas_f64 v[12:13], v[30:31], v[36:37], v[38:39]
	v_mul_f64 v[28:29], v[10:11], v[3:4]
	s_delay_alu instid0(VALU_DEP_3) | instskip(NEXT) | instid1(VALU_DEP_3)
	v_mul_f64 v[10:11], v[10:11], -v[1:2]
	v_div_fixup_f64 v[12:13], v[12:13], v[42:43], 1.0
	s_delay_alu instid0(VALU_DEP_3) | instskip(NEXT) | instid1(VALU_DEP_3)
	v_fma_f64 v[1:2], v[1:2], v[8:9], v[28:29]
	v_fma_f64 v[3:4], v[3:4], v[8:9], v[10:11]
	s_delay_alu instid0(VALU_DEP_2) | instskip(NEXT) | instid1(VALU_DEP_2)
	v_mul_f64 v[1:2], v[12:13], v[1:2]
	v_mul_f64 v[3:4], v[12:13], v[3:4]
	ds_store_b128 v22, v[1:4] offset:96
	s_waitcnt lgkmcnt(0)
	s_waitcnt_vscnt null, 0x0
	buffer_gl0_inv
	ds_load_b128 v[8:11], v27 offset:96
	ds_load_b128 v[28:31], v18
	s_waitcnt lgkmcnt(0)
	v_fma_f64 v[12:13], v[1:2], v[8:9], v[28:29]
	v_fma_f64 v[28:29], v[3:4], v[8:9], v[30:31]
	s_delay_alu instid0(VALU_DEP_2) | instskip(NEXT) | instid1(VALU_DEP_2)
	v_fma_f64 v[8:9], v[3:4], v[10:11], v[12:13]
	v_fma_f64 v[10:11], v[1:2], -v[10:11], v[28:29]
	ds_store_b128 v18, v[8:11]
	s_waitcnt lgkmcnt(0)
	buffer_gl0_inv
	ds_load_2addr_b64 v[1:4], v25 offset1:1
	s_waitcnt lgkmcnt(0)
	global_store_b128 v[6:7], v[1:4], off
	s_waitcnt_vscnt null, 0x0
	buffer_gl1_inv
	buffer_gl0_inv
.LBB65_8:                               ;   in Loop: Header=BB65_9 Depth=1
	s_and_b32 vcc_lo, exec_lo, s23
	s_cbranch_vccnz .LBB65_58
.LBB65_9:                               ; =>This Loop Header: Depth=1
                                        ;     Child Loop BB65_12 Depth 2
                                        ;     Child Loop BB65_23 Depth 2
	s_ashr_i32 s3, s2, 31
	s_delay_alu instid0(SALU_CYCLE_1) | instskip(NEXT) | instid1(SALU_CYCLE_1)
	s_lshl_b64 s[20:21], s[2:3], 2
	s_add_u32 s20, s14, s20
	s_addc_u32 s21, s15, s21
	s_load_b32 s3, s[20:21], 0x0
	s_waitcnt lgkmcnt(0)
	s_sub_i32 s22, s3, s17
	s_delay_alu instid0(SALU_CYCLE_1) | instskip(NEXT) | instid1(SALU_CYCLE_1)
	s_ashr_i32 s23, s22, 31
	s_lshl_b64 s[20:21], s[22:23], 2
	s_mov_b32 s23, -1
	s_add_u32 s24, s4, s20
	s_addc_u32 s25, s5, s21
	s_load_b32 s1, s[24:25], 0x0
	s_waitcnt lgkmcnt(0)
	s_cmp_eq_u32 s1, -1
	s_cbranch_scc1 .LBB65_8
; %bb.10:                               ;   in Loop: Header=BB65_9 Depth=1
	v_mad_u64_u32 v[1:2], null, s2, 49, v[5:6]
	s_add_u32 s24, s12, s20
	s_addc_u32 s25, s13, s21
	ds_load_b32 v8, v0 offset:3840
	s_load_b32 s23, s[24:25], 0x0
	v_ashrrev_i32_e32 v2, 31, v1
	s_delay_alu instid0(VALU_DEP_1) | instskip(NEXT) | instid1(VALU_DEP_1)
	v_lshlrev_b64 v[1:2], 4, v[1:2]
	v_add_co_u32 v6, vcc_lo, s18, v1
	s_delay_alu instid0(VALU_DEP_2)
	v_add_co_ci_u32_e32 v7, vcc_lo, s19, v2, vcc_lo
	s_waitcnt lgkmcnt(0)
	v_cmp_ge_i32_e32 vcc_lo, s22, v8
	s_sub_i32 s24, s23, s17
	global_load_b128 v[1:4], v[6:7], off
	s_cmp_le_i32 s24, s1
	s_cselect_b32 s23, -1, 0
	s_delay_alu instid0(SALU_CYCLE_1) | instskip(NEXT) | instid1(SALU_CYCLE_1)
	s_and_b32 s23, s23, vcc_lo
	s_and_not1_b32 vcc_lo, exec_lo, s23
	s_mov_b32 s23, 0
	s_waitcnt vmcnt(0)
	ds_store_2addr_b64 v25, v[1:2], v[3:4] offset1:1
	s_cbranch_vccnz .LBB65_22
; %bb.11:                               ;   in Loop: Header=BB65_9 Depth=1
	s_mov_b32 s30, 0
	s_mov_b32 s31, 0
.LBB65_12:                              ;   Parent Loop BB65_9 Depth=1
                                        ; =>  This Inner Loop Header: Depth=2
	s_ashr_i32 s25, s24, 31
                                        ; implicit-def: $sgpr33
	s_delay_alu instid0(SALU_CYCLE_1) | instskip(NEXT) | instid1(SALU_CYCLE_1)
	s_lshl_b64 s[34:35], s[24:25], 2
	s_add_u32 s34, s14, s34
	s_addc_u32 s35, s15, s35
	s_lshl_b32 s23, s31, 2
	s_delay_alu instid0(SALU_CYCLE_1)
	v_mov_b32_e32 v1, s23
	s_load_b32 s23, s[34:35], 0x0
	s_mov_b32 s35, -1
                                        ; implicit-def: $sgpr34
	ds_load_b32 v1, v1 offset:3840
	s_waitcnt lgkmcnt(0)
	s_sub_i32 s36, s23, s17
                                        ; implicit-def: $sgpr23
	s_delay_alu instid0(SALU_CYCLE_1)
	v_cmp_ge_i32_e32 vcc_lo, s36, v1
	v_readfirstlane_b32 s25, v1
	s_cbranch_vccz .LBB65_18
; %bb.13:                               ;   in Loop: Header=BB65_12 Depth=2
	s_delay_alu instid0(VALU_DEP_1)
	s_cmp_le_i32 s36, s25
                                        ; implicit-def: $sgpr23
                                        ; implicit-def: $sgpr34
                                        ; implicit-def: $sgpr33
	s_cbranch_scc0 .LBB65_15
; %bb.14:                               ;   in Loop: Header=BB65_12 Depth=2
	s_add_i32 s23, s31, s27
	s_lshl_b32 s33, s30, 2
	s_mul_i32 s23, s23, 49
	s_mul_i32 s34, s24, 49
	s_delay_alu instid0(SALU_CYCLE_1)
	v_dual_mov_b32 v1, s23 :: v_dual_mov_b32 v2, s34
	v_add_nc_u32_e64 v3, 0xc00, s33
	s_add_i32 s33, s31, 1
	s_add_i32 s34, s24, 1
	;; [unrolled: 1-line block ×3, first 2 shown]
	s_mov_b32 s35, 0
	ds_store_2addr_b32 v3, v2, v1 offset0:128 offset1:160
.LBB65_15:                              ;   in Loop: Header=BB65_12 Depth=2
	s_and_not1_b32 vcc_lo, exec_lo, s35
	s_cbranch_vccnz .LBB65_17
; %bb.16:                               ;   in Loop: Header=BB65_12 Depth=2
	s_add_i32 s33, s31, 1
	s_mov_b32 s23, s30
	s_mov_b32 s34, s24
.LBB65_17:                              ;   in Loop: Header=BB65_12 Depth=2
	s_mov_b32 s35, 0
.LBB65_18:                              ;   in Loop: Header=BB65_12 Depth=2
	s_delay_alu instid0(SALU_CYCLE_1)
	s_and_not1_b32 vcc_lo, exec_lo, s35
	s_cbranch_vccnz .LBB65_20
; %bb.19:                               ;   in Loop: Header=BB65_12 Depth=2
	s_add_i32 s34, s24, 1
	s_mov_b32 s33, s31
	s_mov_b32 s23, s30
.LBB65_20:                              ;   in Loop: Header=BB65_12 Depth=2
	s_cmp_le_i32 s34, s1
	s_cselect_b32 s24, -1, 0
	s_cmp_le_i32 s25, s22
	s_cselect_b32 s25, -1, 0
	s_delay_alu instid0(SALU_CYCLE_1) | instskip(NEXT) | instid1(SALU_CYCLE_1)
	s_and_b32 s24, s24, s25
	s_and_b32 vcc_lo, exec_lo, s24
	s_cbranch_vccz .LBB65_22
; %bb.21:                               ;   in Loop: Header=BB65_12 Depth=2
	s_mov_b32 s30, s23
	s_mov_b32 s24, s34
	;; [unrolled: 1-line block ×3, first 2 shown]
	s_branch .LBB65_12
.LBB65_22:                              ;   in Loop: Header=BB65_9 Depth=1
	s_add_u32 s20, s6, s20
	s_addc_u32 s21, s7, s21
	s_waitcnt lgkmcnt(0)
	buffer_gl0_inv
.LBB65_23:                              ;   Parent Loop BB65_9 Depth=1
                                        ; =>  This Inner Loop Header: Depth=2
	global_load_b32 v1, v0, s[20:21] glc
	s_waitcnt vmcnt(0)
	v_cmp_eq_u32_e32 vcc_lo, 0, v1
	s_cbranch_vccnz .LBB65_23
; %bb.24:                               ;   in Loop: Header=BB65_9 Depth=1
	v_mad_u64_u32 v[1:2], null, s1, 49, v[5:6]
	buffer_gl1_inv
	buffer_gl0_inv
	v_mov_b32_e32 v3, 0
	v_mov_b32_e32 v4, 0
	s_cmp_lt_i32 s23, 2
	v_ashrrev_i32_e32 v2, 31, v1
	s_delay_alu instid0(VALU_DEP_1) | instskip(NEXT) | instid1(VALU_DEP_1)
	v_lshlrev_b64 v[1:2], 4, v[1:2]
	v_add_co_u32 v1, vcc_lo, s18, v1
	s_delay_alu instid0(VALU_DEP_2)
	v_add_co_ci_u32_e32 v2, vcc_lo, s19, v2, vcc_lo
	global_load_b128 v[8:11], v[1:2], off
	v_dual_mov_b32 v1, v3 :: v_dual_mov_b32 v2, v4
	s_waitcnt vmcnt(0)
	ds_store_2addr_b64 v24, v[8:9], v[10:11] offset1:1
	s_waitcnt lgkmcnt(0)
	buffer_gl0_inv
	s_cbranch_scc1 .LBB65_31
; %bb.25:                               ;   in Loop: Header=BB65_9 Depth=1
	v_mov_b32_e32 v8, 0
	v_mov_b32_e32 v9, 0
	s_add_i32 s1, s23, -1
	s_movk_i32 s20, 0xe00
	s_delay_alu instid0(VALU_DEP_1)
	v_dual_mov_b32 v11, v9 :: v_dual_mov_b32 v10, v8
	v_mov_b32_e32 v1, s20
	s_and_b32 vcc_lo, exec_lo, s29
	ds_load_2addr_b32 v[12:13], v1 offset1:32
	s_cbranch_vccz .LBB65_27
.LBB65_26:                              ;   in Loop: Header=BB65_9 Depth=1
	s_waitcnt lgkmcnt(0)
	v_add_nc_u32_e32 v64, v12, v14
	v_add_nc_u32_e32 v66, v13, v15
	s_delay_alu instid0(VALU_DEP_2) | instskip(NEXT) | instid1(VALU_DEP_2)
	v_ashrrev_i32_e32 v65, 31, v64
	v_ashrrev_i32_e32 v67, 31, v66
	v_add_nc_u32_e32 v32, 7, v64
	v_add_nc_u32_e32 v34, 7, v66
	;; [unrolled: 1-line block ×3, first 2 shown]
	v_lshlrev_b64 v[1:2], 4, v[64:65]
	v_lshlrev_b64 v[3:4], 4, v[66:67]
	v_ashrrev_i32_e32 v33, 31, v32
	v_ashrrev_i32_e32 v35, 31, v34
	v_add_nc_u32_e32 v42, 14, v66
	v_ashrrev_i32_e32 v41, 31, v40
	v_add_co_u32 v1, vcc_lo, s18, v1
	v_add_co_ci_u32_e32 v2, vcc_lo, s19, v2, vcc_lo
	v_add_co_u32 v28, vcc_lo, s18, v3
	v_add_co_ci_u32_e32 v29, vcc_lo, s19, v4, vcc_lo
	v_lshlrev_b64 v[32:33], 4, v[32:33]
	s_clause 0x1
	global_load_b128 v[1:4], v[1:2], off
	global_load_b128 v[28:31], v[28:29], off
	v_lshlrev_b64 v[34:35], 4, v[34:35]
	v_ashrrev_i32_e32 v43, 31, v42
	v_lshlrev_b64 v[40:41], 4, v[40:41]
	v_add_co_u32 v32, vcc_lo, s18, v32
	v_add_co_ci_u32_e32 v33, vcc_lo, s19, v33, vcc_lo
	v_add_co_u32 v36, vcc_lo, s18, v34
	v_add_co_ci_u32_e32 v37, vcc_lo, s19, v35, vcc_lo
	s_clause 0x1
	global_load_b128 v[32:35], v[32:33], off
	global_load_b128 v[36:39], v[36:37], off
	v_lshlrev_b64 v[42:43], 4, v[42:43]
	v_add_co_u32 v40, vcc_lo, s18, v40
	v_add_co_ci_u32_e32 v41, vcc_lo, s19, v41, vcc_lo
	v_add_nc_u32_e32 v48, 21, v64
	s_delay_alu instid0(VALU_DEP_4)
	v_add_co_u32 v44, vcc_lo, s18, v42
	v_add_co_ci_u32_e32 v45, vcc_lo, s19, v43, vcc_lo
	s_clause 0x1
	global_load_b128 v[40:43], v[40:41], off
	global_load_b128 v[44:47], v[44:45], off
	v_add_nc_u32_e32 v50, 21, v66
	v_ashrrev_i32_e32 v49, 31, v48
	v_add_nc_u32_e32 v56, 28, v64
	v_add_nc_u32_e32 v58, 28, v66
	;; [unrolled: 1-line block ×3, first 2 shown]
	v_ashrrev_i32_e32 v51, 31, v50
	v_lshlrev_b64 v[48:49], 4, v[48:49]
	v_ashrrev_i32_e32 v57, 31, v56
	v_ashrrev_i32_e32 v59, 31, v58
	v_add_nc_u32_e32 v71, 35, v66
	v_lshlrev_b64 v[50:51], 4, v[50:51]
	v_ashrrev_i32_e32 v70, 31, v69
	v_add_co_u32 v48, vcc_lo, s18, v48
	v_add_co_ci_u32_e32 v49, vcc_lo, s19, v49, vcc_lo
	s_delay_alu instid0(VALU_DEP_4)
	v_add_co_u32 v52, vcc_lo, s18, v50
	v_add_co_ci_u32_e32 v53, vcc_lo, s19, v51, vcc_lo
	s_clause 0x1
	global_load_b128 v[48:51], v[48:49], off
	global_load_b128 v[52:55], v[52:53], off
	v_lshlrev_b64 v[56:57], 4, v[56:57]
	v_lshlrev_b64 v[58:59], 4, v[58:59]
	v_ashrrev_i32_e32 v72, 31, v71
	v_add_nc_u32_e32 v64, 42, v64
	v_add_nc_u32_e32 v66, 42, v66
	v_add_co_u32 v56, vcc_lo, s18, v56
	v_add_co_ci_u32_e32 v57, vcc_lo, s19, v57, vcc_lo
	v_add_co_u32 v60, vcc_lo, s18, v58
	v_add_co_ci_u32_e32 v61, vcc_lo, s19, v59, vcc_lo
	s_clause 0x1
	global_load_b128 v[56:59], v[56:57], off
	global_load_b128 v[60:63], v[60:61], off
	v_ashrrev_i32_e32 v65, 31, v64
	s_waitcnt vmcnt(8)
	v_fma_f64 v[67:68], v[1:2], v[28:29], v[10:11]
	v_fma_f64 v[28:29], v[3:4], v[28:29], v[8:9]
	s_delay_alu instid0(VALU_DEP_2) | instskip(NEXT) | instid1(VALU_DEP_2)
	v_fma_f64 v[67:68], v[3:4], v[30:31], v[67:68]
	v_fma_f64 v[73:74], v[1:2], -v[30:31], v[28:29]
	v_lshlrev_b64 v[1:2], 4, v[69:70]
	v_lshlrev_b64 v[3:4], 4, v[71:72]
	s_delay_alu instid0(VALU_DEP_2) | instskip(NEXT) | instid1(VALU_DEP_3)
	v_add_co_u32 v1, vcc_lo, s18, v1
	v_add_co_ci_u32_e32 v2, vcc_lo, s19, v2, vcc_lo
	s_delay_alu instid0(VALU_DEP_3) | instskip(NEXT) | instid1(VALU_DEP_4)
	v_add_co_u32 v28, vcc_lo, s18, v3
	v_add_co_ci_u32_e32 v29, vcc_lo, s19, v4, vcc_lo
	s_clause 0x1
	global_load_b128 v[1:4], v[1:2], off
	global_load_b128 v[28:31], v[28:29], off
	s_waitcnt vmcnt(8)
	v_fma_f64 v[67:68], v[32:33], v[36:37], v[67:68]
	v_fma_f64 v[36:37], v[34:35], v[36:37], v[73:74]
	s_delay_alu instid0(VALU_DEP_2) | instskip(NEXT) | instid1(VALU_DEP_2)
	v_fma_f64 v[68:69], v[34:35], v[38:39], v[67:68]
	v_fma_f64 v[70:71], v[32:33], -v[38:39], v[36:37]
	v_ashrrev_i32_e32 v67, 31, v66
	v_lshlrev_b64 v[32:33], 4, v[64:65]
	s_delay_alu instid0(VALU_DEP_2) | instskip(NEXT) | instid1(VALU_DEP_2)
	v_lshlrev_b64 v[34:35], 4, v[66:67]
	v_add_co_u32 v32, vcc_lo, s18, v32
	s_delay_alu instid0(VALU_DEP_3) | instskip(NEXT) | instid1(VALU_DEP_3)
	v_add_co_ci_u32_e32 v33, vcc_lo, s19, v33, vcc_lo
	v_add_co_u32 v36, vcc_lo, s18, v34
	s_delay_alu instid0(VALU_DEP_4)
	v_add_co_ci_u32_e32 v37, vcc_lo, s19, v35, vcc_lo
	s_clause 0x1
	global_load_b128 v[32:35], v[32:33], off
	global_load_b128 v[36:39], v[36:37], off
	s_waitcnt vmcnt(8)
	v_fma_f64 v[64:65], v[40:41], v[44:45], v[68:69]
	v_fma_f64 v[44:45], v[42:43], v[44:45], v[70:71]
	s_delay_alu instid0(VALU_DEP_2) | instskip(NEXT) | instid1(VALU_DEP_2)
	v_fma_f64 v[42:43], v[42:43], v[46:47], v[64:65]
	v_fma_f64 v[40:41], v[40:41], -v[46:47], v[44:45]
	s_waitcnt vmcnt(6)
	s_delay_alu instid0(VALU_DEP_2) | instskip(NEXT) | instid1(VALU_DEP_2)
	v_fma_f64 v[42:43], v[48:49], v[52:53], v[42:43]
	v_fma_f64 v[40:41], v[50:51], v[52:53], v[40:41]
	s_delay_alu instid0(VALU_DEP_2) | instskip(NEXT) | instid1(VALU_DEP_2)
	v_fma_f64 v[42:43], v[50:51], v[54:55], v[42:43]
	v_fma_f64 v[40:41], v[48:49], -v[54:55], v[40:41]
	s_waitcnt vmcnt(4)
	s_delay_alu instid0(VALU_DEP_2) | instskip(NEXT) | instid1(VALU_DEP_2)
	;; [unrolled: 7-line block ×4, first 2 shown]
	v_fma_f64 v[3:4], v[32:33], v[36:37], v[3:4]
	v_fma_f64 v[28:29], v[34:35], v[36:37], v[1:2]
	s_delay_alu instid0(VALU_DEP_2) | instskip(NEXT) | instid1(VALU_DEP_2)
	v_fma_f64 v[1:2], v[34:35], v[38:39], v[3:4]
	v_fma_f64 v[3:4], v[32:33], -v[38:39], v[28:29]
	s_cbranch_execz .LBB65_28
	s_branch .LBB65_29
.LBB65_27:                              ;   in Loop: Header=BB65_9 Depth=1
                                        ; implicit-def: $vgpr3_vgpr4
.LBB65_28:                              ;   in Loop: Header=BB65_9 Depth=1
	s_waitcnt lgkmcnt(0)
	v_add_nc_u32_e32 v1, v12, v21
	v_add_nc_u32_e32 v3, v13, v20
	s_delay_alu instid0(VALU_DEP_2) | instskip(NEXT) | instid1(VALU_DEP_2)
	v_ashrrev_i32_e32 v2, 31, v1
	v_ashrrev_i32_e32 v4, 31, v3
	s_delay_alu instid0(VALU_DEP_2) | instskip(NEXT) | instid1(VALU_DEP_2)
	v_lshlrev_b64 v[1:2], 4, v[1:2]
	v_lshlrev_b64 v[3:4], 4, v[3:4]
	s_delay_alu instid0(VALU_DEP_2) | instskip(NEXT) | instid1(VALU_DEP_3)
	v_add_co_u32 v12, vcc_lo, s18, v1
	v_add_co_ci_u32_e32 v13, vcc_lo, s19, v2, vcc_lo
	s_delay_alu instid0(VALU_DEP_3) | instskip(NEXT) | instid1(VALU_DEP_4)
	v_add_co_u32 v68, vcc_lo, s18, v3
	v_add_co_ci_u32_e32 v69, vcc_lo, s19, v4, vcc_lo
	s_clause 0xa
	global_load_b128 v[1:4], v[12:13], off
	global_load_b128 v[28:31], v[68:69], off
	global_load_b128 v[32:35], v[12:13], off offset:16
	global_load_b128 v[36:39], v[68:69], off offset:16
	;; [unrolled: 1-line block ×9, first 2 shown]
	s_waitcnt vmcnt(9)
	v_fma_f64 v[10:11], v[1:2], v[28:29], v[10:11]
	v_fma_f64 v[8:9], v[3:4], v[28:29], v[8:9]
	s_delay_alu instid0(VALU_DEP_2) | instskip(NEXT) | instid1(VALU_DEP_2)
	v_fma_f64 v[28:29], v[3:4], v[30:31], v[10:11]
	v_fma_f64 v[30:31], v[1:2], -v[30:31], v[8:9]
	s_clause 0x1
	global_load_b128 v[1:4], v[12:13], off offset:80
	global_load_b128 v[8:11], v[68:69], off offset:80
	s_waitcnt vmcnt(9)
	v_fma_f64 v[12:13], v[32:33], v[36:37], v[28:29]
	v_fma_f64 v[28:29], v[34:35], v[36:37], v[30:31]
	s_delay_alu instid0(VALU_DEP_2) | instskip(NEXT) | instid1(VALU_DEP_2)
	v_fma_f64 v[12:13], v[34:35], v[38:39], v[12:13]
	v_fma_f64 v[32:33], v[32:33], -v[38:39], v[28:29]
	global_load_b128 v[28:31], v[68:69], off offset:96
	s_waitcnt vmcnt(8)
	v_fma_f64 v[12:13], v[44:45], v[40:41], v[12:13]
	v_fma_f64 v[32:33], v[46:47], v[40:41], v[32:33]
	s_delay_alu instid0(VALU_DEP_2) | instskip(NEXT) | instid1(VALU_DEP_2)
	v_fma_f64 v[12:13], v[46:47], v[42:43], v[12:13]
	v_fma_f64 v[32:33], v[44:45], -v[42:43], v[32:33]
	s_waitcnt vmcnt(6)
	s_delay_alu instid0(VALU_DEP_2) | instskip(NEXT) | instid1(VALU_DEP_2)
	v_fma_f64 v[12:13], v[48:49], v[52:53], v[12:13]
	v_fma_f64 v[32:33], v[50:51], v[52:53], v[32:33]
	s_delay_alu instid0(VALU_DEP_2) | instskip(NEXT) | instid1(VALU_DEP_2)
	v_fma_f64 v[12:13], v[50:51], v[54:55], v[12:13]
	v_fma_f64 v[32:33], v[48:49], -v[54:55], v[32:33]
	s_waitcnt vmcnt(4)
	s_delay_alu instid0(VALU_DEP_2) | instskip(NEXT) | instid1(VALU_DEP_2)
	;; [unrolled: 7-line block ×4, first 2 shown]
	v_fma_f64 v[3:4], v[64:65], v[28:29], v[3:4]
	v_fma_f64 v[8:9], v[66:67], v[28:29], v[1:2]
	s_delay_alu instid0(VALU_DEP_2) | instskip(NEXT) | instid1(VALU_DEP_2)
	v_fma_f64 v[1:2], v[66:67], v[30:31], v[3:4]
	v_fma_f64 v[3:4], v[64:65], -v[30:31], v[8:9]
.LBB65_29:                              ;   in Loop: Header=BB65_9 Depth=1
	s_add_i32 s1, s1, -1
	s_add_i32 s20, s20, 4
	s_cmp_eq_u32 s1, 0
	s_cbranch_scc1 .LBB65_31
; %bb.30:                               ;   in Loop: Header=BB65_9 Depth=1
	s_delay_alu instid0(VALU_DEP_1) | instskip(NEXT) | instid1(VALU_DEP_3)
	v_dual_mov_b32 v9, v4 :: v_dual_mov_b32 v8, v3
	v_dual_mov_b32 v11, v2 :: v_dual_mov_b32 v10, v1
	v_mov_b32_e32 v1, s20
	s_and_b32 vcc_lo, exec_lo, s29
	s_waitcnt lgkmcnt(0)
	ds_load_2addr_b32 v[12:13], v1 offset1:32
	s_cbranch_vccz .LBB65_27
	s_branch .LBB65_26
.LBB65_31:                              ;   in Loop: Header=BB65_9 Depth=1
	ds_store_b128 v26, v[1:4]
	s_waitcnt lgkmcnt(0)
	buffer_gl0_inv
	ds_load_b128 v[8:11], v0
	ds_load_b128 v[1:4], v22
	s_waitcnt lgkmcnt(1)
	v_cmp_neq_f64_e32 vcc_lo, 0, v[8:9]
	v_cmp_neq_f64_e64 s1, 0, v[10:11]
	s_delay_alu instid0(VALU_DEP_1) | instskip(SKIP_4) | instid1(SALU_CYCLE_1)
	s_or_b32 vcc_lo, vcc_lo, s1
	v_cndmask_b32_e32 v9, 0x3ff00000, v9, vcc_lo
	v_dual_cndmask_b32 v8, 0, v8 :: v_dual_cndmask_b32 v11, 0, v11
	v_cndmask_b32_e32 v10, 0, v10, vcc_lo
	s_or_b32 s1, vcc_lo, s0
	s_xor_b32 s20, s1, -1
	s_delay_alu instid0(SALU_CYCLE_1)
	s_and_saveexec_b32 s1, s20
	s_cbranch_execz .LBB65_35
; %bb.32:                               ;   in Loop: Header=BB65_9 Depth=1
	v_mbcnt_lo_u32_b32 v8, exec_lo, 0
	s_mov_b32 s20, exec_lo
	s_delay_alu instid0(VALU_DEP_1)
	v_cmpx_eq_u32_e32 0, v8
	s_cbranch_execz .LBB65_34
; %bb.33:                               ;   in Loop: Header=BB65_9 Depth=1
	v_mov_b32_e32 v8, s3
	global_atomic_min_i32 v0, v8, s[10:11]
.LBB65_34:                              ;   in Loop: Header=BB65_9 Depth=1
	s_or_b32 exec_lo, exec_lo, s20
	v_mov_b32_e32 v8, 0
	v_dual_mov_b32 v9, 0x3ff00000 :: v_dual_mov_b32 v10, 0
	v_mov_b32_e32 v11, 0
.LBB65_35:                              ;   in Loop: Header=BB65_9 Depth=1
	s_or_b32 exec_lo, exec_lo, s1
	s_delay_alu instid0(VALU_DEP_1) | instskip(NEXT) | instid1(VALU_DEP_1)
	v_mul_f64 v[12:13], v[10:11], v[10:11]
	v_fma_f64 v[12:13], v[8:9], v[8:9], v[12:13]
	s_delay_alu instid0(VALU_DEP_1) | instskip(SKIP_1) | instid1(VALU_DEP_2)
	v_div_scale_f64 v[32:33], null, v[12:13], v[12:13], 1.0
	v_div_scale_f64 v[34:35], vcc_lo, 1.0, v[12:13], 1.0
	v_rcp_f64_e32 v[28:29], v[32:33]
	s_waitcnt_depctr 0xfff
	v_fma_f64 v[30:31], -v[32:33], v[28:29], 1.0
	s_delay_alu instid0(VALU_DEP_1) | instskip(NEXT) | instid1(VALU_DEP_1)
	v_fma_f64 v[28:29], v[28:29], v[30:31], v[28:29]
	v_fma_f64 v[30:31], -v[32:33], v[28:29], 1.0
	s_delay_alu instid0(VALU_DEP_1)
	v_fma_f64 v[36:37], v[28:29], v[30:31], v[28:29]
	ds_load_b128 v[28:31], v23
	s_waitcnt lgkmcnt(0)
	v_add_f64 v[3:4], v[3:4], -v[30:31]
	v_add_f64 v[1:2], v[1:2], -v[28:29]
	v_mul_f64 v[38:39], v[34:35], v[36:37]
	s_delay_alu instid0(VALU_DEP_3) | instskip(NEXT) | instid1(VALU_DEP_3)
	v_mul_f64 v[28:29], v[10:11], v[3:4]
	v_mul_f64 v[10:11], v[10:11], -v[1:2]
	s_delay_alu instid0(VALU_DEP_3) | instskip(NEXT) | instid1(VALU_DEP_3)
	v_fma_f64 v[30:31], -v[32:33], v[38:39], v[34:35]
	v_fma_f64 v[1:2], v[1:2], v[8:9], v[28:29]
	s_delay_alu instid0(VALU_DEP_3) | instskip(NEXT) | instid1(VALU_DEP_3)
	v_fma_f64 v[3:4], v[3:4], v[8:9], v[10:11]
	v_div_fmas_f64 v[30:31], v[30:31], v[36:37], v[38:39]
	s_delay_alu instid0(VALU_DEP_1) | instskip(NEXT) | instid1(VALU_DEP_1)
	v_div_fixup_f64 v[12:13], v[30:31], v[12:13], 1.0
	v_mul_f64 v[1:2], v[12:13], v[1:2]
	s_delay_alu instid0(VALU_DEP_4)
	v_mul_f64 v[3:4], v[12:13], v[3:4]
	ds_store_b128 v22, v[1:4]
	s_waitcnt lgkmcnt(0)
	s_waitcnt_vscnt null, 0x0
	buffer_gl0_inv
	ds_load_b128 v[8:11], v27
	ds_load_b128 v[28:31], v18
	s_waitcnt lgkmcnt(0)
	v_fma_f64 v[12:13], v[1:2], v[8:9], v[28:29]
	v_fma_f64 v[28:29], v[3:4], v[8:9], v[30:31]
	s_delay_alu instid0(VALU_DEP_2) | instskip(NEXT) | instid1(VALU_DEP_2)
	v_fma_f64 v[8:9], v[3:4], v[10:11], v[12:13]
	v_fma_f64 v[10:11], v[1:2], -v[10:11], v[28:29]
	ds_store_b128 v18, v[8:11]
	s_waitcnt lgkmcnt(0)
	buffer_gl0_inv
	ds_load_b128 v[8:11], v0 offset:144
	ds_load_b128 v[1:4], v22 offset:16
	s_waitcnt lgkmcnt(1)
	v_cmp_neq_f64_e32 vcc_lo, 0, v[8:9]
	v_cmp_neq_f64_e64 s1, 0, v[10:11]
	s_delay_alu instid0(VALU_DEP_1) | instskip(SKIP_4) | instid1(SALU_CYCLE_1)
	s_or_b32 vcc_lo, vcc_lo, s1
	v_cndmask_b32_e32 v9, 0x3ff00000, v9, vcc_lo
	v_dual_cndmask_b32 v8, 0, v8 :: v_dual_cndmask_b32 v11, 0, v11
	v_cndmask_b32_e32 v10, 0, v10, vcc_lo
	s_or_b32 s1, vcc_lo, s0
	s_xor_b32 s20, s1, -1
	s_delay_alu instid0(SALU_CYCLE_1)
	s_and_saveexec_b32 s1, s20
	s_cbranch_execz .LBB65_39
; %bb.36:                               ;   in Loop: Header=BB65_9 Depth=1
	v_mbcnt_lo_u32_b32 v8, exec_lo, 0
	s_mov_b32 s20, exec_lo
	s_delay_alu instid0(VALU_DEP_1)
	v_cmpx_eq_u32_e32 0, v8
	s_cbranch_execz .LBB65_38
; %bb.37:                               ;   in Loop: Header=BB65_9 Depth=1
	v_mov_b32_e32 v8, s3
	global_atomic_min_i32 v0, v8, s[10:11]
.LBB65_38:                              ;   in Loop: Header=BB65_9 Depth=1
	s_or_b32 exec_lo, exec_lo, s20
	v_mov_b32_e32 v8, 0
	v_dual_mov_b32 v9, 0x3ff00000 :: v_dual_mov_b32 v10, 0
	v_mov_b32_e32 v11, 0
.LBB65_39:                              ;   in Loop: Header=BB65_9 Depth=1
	s_or_b32 exec_lo, exec_lo, s1
	s_delay_alu instid0(VALU_DEP_1) | instskip(NEXT) | instid1(VALU_DEP_1)
	v_mul_f64 v[12:13], v[10:11], v[10:11]
	v_fma_f64 v[12:13], v[8:9], v[8:9], v[12:13]
	s_delay_alu instid0(VALU_DEP_1) | instskip(SKIP_1) | instid1(VALU_DEP_2)
	v_div_scale_f64 v[40:41], null, v[12:13], v[12:13], 1.0
	v_div_scale_f64 v[46:47], vcc_lo, 1.0, v[12:13], 1.0
	v_rcp_f64_e32 v[28:29], v[40:41]
	s_waitcnt_depctr 0xfff
	v_fma_f64 v[30:31], -v[40:41], v[28:29], 1.0
	s_delay_alu instid0(VALU_DEP_1)
	v_fma_f64 v[42:43], v[28:29], v[30:31], v[28:29]
	ds_load_b128 v[28:31], v0 offset:128
	ds_load_b128 v[32:35], v22
	ds_load_b128 v[36:39], v23 offset:16
	s_waitcnt lgkmcnt(0)
	v_fma_f64 v[38:39], v[30:31], v[32:33], v[38:39]
	v_fma_f64 v[32:33], v[28:29], v[32:33], v[36:37]
	v_fma_f64 v[44:45], -v[40:41], v[42:43], 1.0
	s_delay_alu instid0(VALU_DEP_3) | instskip(NEXT) | instid1(VALU_DEP_3)
	v_fma_f64 v[28:29], v[28:29], -v[34:35], v[38:39]
	v_fma_f64 v[30:31], v[30:31], v[34:35], v[32:33]
	s_delay_alu instid0(VALU_DEP_3) | instskip(NEXT) | instid1(VALU_DEP_3)
	v_fma_f64 v[42:43], v[42:43], v[44:45], v[42:43]
	v_add_f64 v[3:4], v[3:4], -v[28:29]
	s_delay_alu instid0(VALU_DEP_3) | instskip(NEXT) | instid1(VALU_DEP_3)
	v_add_f64 v[1:2], v[1:2], -v[30:31]
	v_mul_f64 v[36:37], v[46:47], v[42:43]
	s_delay_alu instid0(VALU_DEP_3) | instskip(NEXT) | instid1(VALU_DEP_3)
	v_mul_f64 v[30:31], v[10:11], v[3:4]
	v_mul_f64 v[10:11], v[10:11], -v[1:2]
	s_delay_alu instid0(VALU_DEP_3) | instskip(NEXT) | instid1(VALU_DEP_3)
	v_fma_f64 v[28:29], -v[40:41], v[36:37], v[46:47]
	v_fma_f64 v[1:2], v[1:2], v[8:9], v[30:31]
	s_delay_alu instid0(VALU_DEP_3) | instskip(NEXT) | instid1(VALU_DEP_3)
	v_fma_f64 v[3:4], v[3:4], v[8:9], v[10:11]
	v_div_fmas_f64 v[28:29], v[28:29], v[42:43], v[36:37]
	s_delay_alu instid0(VALU_DEP_1) | instskip(NEXT) | instid1(VALU_DEP_1)
	v_div_fixup_f64 v[12:13], v[28:29], v[12:13], 1.0
	v_mul_f64 v[1:2], v[12:13], v[1:2]
	s_delay_alu instid0(VALU_DEP_4)
	v_mul_f64 v[3:4], v[12:13], v[3:4]
	ds_store_b128 v22, v[1:4] offset:16
	s_waitcnt lgkmcnt(0)
	s_waitcnt_vscnt null, 0x0
	buffer_gl0_inv
	ds_load_b128 v[8:11], v27 offset:16
	ds_load_b128 v[28:31], v18
	s_waitcnt lgkmcnt(0)
	v_fma_f64 v[12:13], v[1:2], v[8:9], v[28:29]
	v_fma_f64 v[28:29], v[3:4], v[8:9], v[30:31]
	s_delay_alu instid0(VALU_DEP_2) | instskip(NEXT) | instid1(VALU_DEP_2)
	v_fma_f64 v[8:9], v[3:4], v[10:11], v[12:13]
	v_fma_f64 v[10:11], v[1:2], -v[10:11], v[28:29]
	ds_store_b128 v18, v[8:11]
	s_waitcnt lgkmcnt(0)
	buffer_gl0_inv
	ds_load_b128 v[8:11], v0 offset:288
	ds_load_b128 v[1:4], v22 offset:32
	s_waitcnt lgkmcnt(1)
	v_cmp_neq_f64_e32 vcc_lo, 0, v[8:9]
	v_cmp_neq_f64_e64 s1, 0, v[10:11]
	s_delay_alu instid0(VALU_DEP_1) | instskip(SKIP_4) | instid1(SALU_CYCLE_1)
	s_or_b32 vcc_lo, vcc_lo, s1
	v_cndmask_b32_e32 v9, 0x3ff00000, v9, vcc_lo
	v_dual_cndmask_b32 v8, 0, v8 :: v_dual_cndmask_b32 v11, 0, v11
	v_cndmask_b32_e32 v10, 0, v10, vcc_lo
	s_or_b32 s1, vcc_lo, s0
	s_xor_b32 s20, s1, -1
	s_delay_alu instid0(SALU_CYCLE_1)
	s_and_saveexec_b32 s1, s20
	s_cbranch_execz .LBB65_43
; %bb.40:                               ;   in Loop: Header=BB65_9 Depth=1
	v_mbcnt_lo_u32_b32 v8, exec_lo, 0
	s_mov_b32 s20, exec_lo
	s_delay_alu instid0(VALU_DEP_1)
	v_cmpx_eq_u32_e32 0, v8
	s_cbranch_execz .LBB65_42
; %bb.41:                               ;   in Loop: Header=BB65_9 Depth=1
	v_mov_b32_e32 v8, s3
	global_atomic_min_i32 v0, v8, s[10:11]
.LBB65_42:                              ;   in Loop: Header=BB65_9 Depth=1
	s_or_b32 exec_lo, exec_lo, s20
	v_mov_b32_e32 v8, 0
	v_dual_mov_b32 v9, 0x3ff00000 :: v_dual_mov_b32 v10, 0
	v_mov_b32_e32 v11, 0
.LBB65_43:                              ;   in Loop: Header=BB65_9 Depth=1
	s_or_b32 exec_lo, exec_lo, s1
	s_delay_alu instid0(VALU_DEP_1)
	v_mul_f64 v[12:13], v[10:11], v[10:11]
	ds_load_b128 v[28:31], v0 offset:256
	ds_load_b128 v[32:35], v23 offset:32
	ds_load_b128 v[36:39], v22
	ds_load_b128 v[40:43], v22 offset:16
	s_waitcnt lgkmcnt(1)
	v_fma_f64 v[34:35], v[30:31], v[36:37], v[34:35]
	v_fma_f64 v[32:33], v[28:29], v[36:37], v[32:33]
	;; [unrolled: 1-line block ×3, first 2 shown]
	s_delay_alu instid0(VALU_DEP_3) | instskip(NEXT) | instid1(VALU_DEP_3)
	v_fma_f64 v[34:35], v[28:29], -v[38:39], v[34:35]
	v_fma_f64 v[32:33], v[30:31], v[38:39], v[32:33]
	ds_load_b128 v[28:31], v0 offset:272
	v_div_scale_f64 v[44:45], null, v[12:13], v[12:13], 1.0
	v_div_scale_f64 v[38:39], vcc_lo, 1.0, v[12:13], 1.0
	s_waitcnt lgkmcnt(0)
	v_fma_f64 v[34:35], v[30:31], v[40:41], v[34:35]
	v_fma_f64 v[32:33], v[28:29], v[40:41], v[32:33]
	s_delay_alu instid0(VALU_DEP_4) | instskip(NEXT) | instid1(VALU_DEP_2)
	v_rcp_f64_e32 v[46:47], v[44:45]
	v_fma_f64 v[28:29], v[28:29], -v[42:43], v[34:35]
	s_delay_alu instid0(VALU_DEP_2) | instskip(SKIP_4) | instid1(VALU_DEP_3)
	v_fma_f64 v[30:31], v[30:31], v[42:43], v[32:33]
	s_waitcnt_depctr 0xfff
	v_fma_f64 v[48:49], -v[44:45], v[46:47], 1.0
	v_add_f64 v[3:4], v[3:4], -v[28:29]
	v_add_f64 v[1:2], v[1:2], -v[30:31]
	v_fma_f64 v[46:47], v[46:47], v[48:49], v[46:47]
	s_delay_alu instid0(VALU_DEP_3) | instskip(NEXT) | instid1(VALU_DEP_3)
	v_mul_f64 v[30:31], v[10:11], v[3:4]
	v_mul_f64 v[10:11], v[10:11], -v[1:2]
	s_delay_alu instid0(VALU_DEP_3) | instskip(NEXT) | instid1(VALU_DEP_3)
	v_fma_f64 v[36:37], -v[44:45], v[46:47], 1.0
	v_fma_f64 v[1:2], v[1:2], v[8:9], v[30:31]
	s_delay_alu instid0(VALU_DEP_3) | instskip(NEXT) | instid1(VALU_DEP_3)
	v_fma_f64 v[3:4], v[3:4], v[8:9], v[10:11]
	v_fma_f64 v[36:37], v[46:47], v[36:37], v[46:47]
	s_delay_alu instid0(VALU_DEP_1) | instskip(NEXT) | instid1(VALU_DEP_1)
	v_mul_f64 v[34:35], v[38:39], v[36:37]
	v_fma_f64 v[28:29], -v[44:45], v[34:35], v[38:39]
	s_delay_alu instid0(VALU_DEP_1) | instskip(NEXT) | instid1(VALU_DEP_1)
	v_div_fmas_f64 v[28:29], v[28:29], v[36:37], v[34:35]
	v_div_fixup_f64 v[12:13], v[28:29], v[12:13], 1.0
	s_delay_alu instid0(VALU_DEP_1)
	v_mul_f64 v[1:2], v[12:13], v[1:2]
	v_mul_f64 v[3:4], v[12:13], v[3:4]
	ds_store_b128 v22, v[1:4] offset:32
	s_waitcnt lgkmcnt(0)
	s_waitcnt_vscnt null, 0x0
	buffer_gl0_inv
	ds_load_b128 v[8:11], v27 offset:32
	ds_load_b128 v[28:31], v18
	s_waitcnt lgkmcnt(0)
	v_fma_f64 v[12:13], v[1:2], v[8:9], v[28:29]
	v_fma_f64 v[28:29], v[3:4], v[8:9], v[30:31]
	s_delay_alu instid0(VALU_DEP_2) | instskip(NEXT) | instid1(VALU_DEP_2)
	v_fma_f64 v[8:9], v[3:4], v[10:11], v[12:13]
	v_fma_f64 v[10:11], v[1:2], -v[10:11], v[28:29]
	ds_store_b128 v18, v[8:11]
	s_waitcnt lgkmcnt(0)
	buffer_gl0_inv
	ds_load_b128 v[8:11], v0 offset:432
	ds_load_b128 v[1:4], v22 offset:48
	s_waitcnt lgkmcnt(1)
	v_cmp_neq_f64_e32 vcc_lo, 0, v[8:9]
	v_cmp_neq_f64_e64 s1, 0, v[10:11]
	s_delay_alu instid0(VALU_DEP_1) | instskip(SKIP_4) | instid1(SALU_CYCLE_1)
	s_or_b32 vcc_lo, vcc_lo, s1
	v_cndmask_b32_e32 v9, 0x3ff00000, v9, vcc_lo
	v_dual_cndmask_b32 v8, 0, v8 :: v_dual_cndmask_b32 v11, 0, v11
	v_cndmask_b32_e32 v10, 0, v10, vcc_lo
	s_or_b32 s1, vcc_lo, s0
	s_xor_b32 s20, s1, -1
	s_delay_alu instid0(SALU_CYCLE_1)
	s_and_saveexec_b32 s1, s20
	s_cbranch_execz .LBB65_47
; %bb.44:                               ;   in Loop: Header=BB65_9 Depth=1
	v_mbcnt_lo_u32_b32 v8, exec_lo, 0
	s_mov_b32 s20, exec_lo
	s_delay_alu instid0(VALU_DEP_1)
	v_cmpx_eq_u32_e32 0, v8
	s_cbranch_execz .LBB65_46
; %bb.45:                               ;   in Loop: Header=BB65_9 Depth=1
	v_mov_b32_e32 v8, s3
	global_atomic_min_i32 v0, v8, s[10:11]
.LBB65_46:                              ;   in Loop: Header=BB65_9 Depth=1
	s_or_b32 exec_lo, exec_lo, s20
	v_mov_b32_e32 v8, 0
	v_dual_mov_b32 v9, 0x3ff00000 :: v_dual_mov_b32 v10, 0
	v_mov_b32_e32 v11, 0
.LBB65_47:                              ;   in Loop: Header=BB65_9 Depth=1
	s_or_b32 exec_lo, exec_lo, s1
	s_delay_alu instid0(VALU_DEP_1)
	v_mul_f64 v[12:13], v[10:11], v[10:11]
	ds_load_b128 v[28:31], v22
	ds_load_b128 v[32:35], v23 offset:48
	ds_load_b128 v[36:39], v0 offset:384
	;; [unrolled: 1-line block ×4, first 2 shown]
	s_waitcnt lgkmcnt(2)
	v_fma_f64 v[34:35], v[38:39], v[28:29], v[34:35]
	v_fma_f64 v[28:29], v[36:37], v[28:29], v[32:33]
	;; [unrolled: 1-line block ×3, first 2 shown]
	s_delay_alu instid0(VALU_DEP_3) | instskip(NEXT) | instid1(VALU_DEP_3)
	v_fma_f64 v[32:33], v[36:37], -v[30:31], v[34:35]
	v_fma_f64 v[28:29], v[38:39], v[30:31], v[28:29]
	s_delay_alu instid0(VALU_DEP_3) | instskip(SKIP_1) | instid1(VALU_DEP_3)
	v_div_scale_f64 v[48:49], null, v[12:13], v[12:13], 1.0
	s_waitcnt lgkmcnt(0)
	v_fma_f64 v[30:31], v[42:43], v[44:45], v[32:33]
	s_delay_alu instid0(VALU_DEP_3) | instskip(SKIP_1) | instid1(VALU_DEP_4)
	v_fma_f64 v[28:29], v[40:41], v[44:45], v[28:29]
	v_div_scale_f64 v[44:45], vcc_lo, 1.0, v[12:13], 1.0
	v_rcp_f64_e32 v[50:51], v[48:49]
	s_delay_alu instid0(VALU_DEP_3) | instskip(NEXT) | instid1(VALU_DEP_3)
	v_fma_f64 v[38:39], v[40:41], -v[46:47], v[30:31]
	v_fma_f64 v[42:43], v[42:43], v[46:47], v[28:29]
	s_waitcnt_depctr 0xfff
	v_fma_f64 v[34:35], -v[48:49], v[50:51], 1.0
	s_delay_alu instid0(VALU_DEP_1)
	v_fma_f64 v[36:37], v[50:51], v[34:35], v[50:51]
	ds_load_b128 v[28:31], v22 offset:32
	ds_load_b128 v[32:35], v0 offset:416
	s_waitcnt lgkmcnt(0)
	v_fma_f64 v[38:39], v[34:35], v[28:29], v[38:39]
	v_fma_f64 v[28:29], v[32:33], v[28:29], v[42:43]
	v_fma_f64 v[40:41], -v[48:49], v[36:37], 1.0
	s_delay_alu instid0(VALU_DEP_3) | instskip(NEXT) | instid1(VALU_DEP_3)
	v_fma_f64 v[32:33], v[32:33], -v[30:31], v[38:39]
	v_fma_f64 v[28:29], v[34:35], v[30:31], v[28:29]
	s_delay_alu instid0(VALU_DEP_3) | instskip(NEXT) | instid1(VALU_DEP_3)
	v_fma_f64 v[36:37], v[36:37], v[40:41], v[36:37]
	v_add_f64 v[3:4], v[3:4], -v[32:33]
	s_delay_alu instid0(VALU_DEP_3) | instskip(NEXT) | instid1(VALU_DEP_3)
	v_add_f64 v[1:2], v[1:2], -v[28:29]
	v_mul_f64 v[38:39], v[44:45], v[36:37]
	s_delay_alu instid0(VALU_DEP_3) | instskip(NEXT) | instid1(VALU_DEP_3)
	v_mul_f64 v[28:29], v[10:11], v[3:4]
	v_mul_f64 v[10:11], v[10:11], -v[1:2]
	s_delay_alu instid0(VALU_DEP_3) | instskip(NEXT) | instid1(VALU_DEP_3)
	v_fma_f64 v[30:31], -v[48:49], v[38:39], v[44:45]
	v_fma_f64 v[1:2], v[1:2], v[8:9], v[28:29]
	s_delay_alu instid0(VALU_DEP_3) | instskip(NEXT) | instid1(VALU_DEP_3)
	v_fma_f64 v[3:4], v[3:4], v[8:9], v[10:11]
	v_div_fmas_f64 v[30:31], v[30:31], v[36:37], v[38:39]
	s_delay_alu instid0(VALU_DEP_1) | instskip(NEXT) | instid1(VALU_DEP_1)
	v_div_fixup_f64 v[12:13], v[30:31], v[12:13], 1.0
	v_mul_f64 v[1:2], v[12:13], v[1:2]
	s_delay_alu instid0(VALU_DEP_4)
	v_mul_f64 v[3:4], v[12:13], v[3:4]
	ds_store_b128 v22, v[1:4] offset:48
	s_waitcnt lgkmcnt(0)
	s_waitcnt_vscnt null, 0x0
	buffer_gl0_inv
	ds_load_b128 v[8:11], v27 offset:48
	ds_load_b128 v[28:31], v18
	s_waitcnt lgkmcnt(0)
	v_fma_f64 v[12:13], v[1:2], v[8:9], v[28:29]
	v_fma_f64 v[28:29], v[3:4], v[8:9], v[30:31]
	s_delay_alu instid0(VALU_DEP_2) | instskip(NEXT) | instid1(VALU_DEP_2)
	v_fma_f64 v[8:9], v[3:4], v[10:11], v[12:13]
	v_fma_f64 v[10:11], v[1:2], -v[10:11], v[28:29]
	ds_store_b128 v18, v[8:11]
	s_waitcnt lgkmcnt(0)
	buffer_gl0_inv
	ds_load_b128 v[8:11], v0 offset:576
	ds_load_b128 v[1:4], v22 offset:64
	s_waitcnt lgkmcnt(1)
	v_cmp_neq_f64_e32 vcc_lo, 0, v[8:9]
	v_cmp_neq_f64_e64 s1, 0, v[10:11]
	s_delay_alu instid0(VALU_DEP_1) | instskip(SKIP_4) | instid1(SALU_CYCLE_1)
	s_or_b32 vcc_lo, vcc_lo, s1
	v_cndmask_b32_e32 v9, 0x3ff00000, v9, vcc_lo
	v_dual_cndmask_b32 v8, 0, v8 :: v_dual_cndmask_b32 v11, 0, v11
	v_cndmask_b32_e32 v10, 0, v10, vcc_lo
	s_or_b32 s1, vcc_lo, s0
	s_xor_b32 s20, s1, -1
	s_delay_alu instid0(SALU_CYCLE_1)
	s_and_saveexec_b32 s1, s20
	s_cbranch_execz .LBB65_51
; %bb.48:                               ;   in Loop: Header=BB65_9 Depth=1
	v_mbcnt_lo_u32_b32 v8, exec_lo, 0
	s_mov_b32 s20, exec_lo
	s_delay_alu instid0(VALU_DEP_1)
	v_cmpx_eq_u32_e32 0, v8
	s_cbranch_execz .LBB65_50
; %bb.49:                               ;   in Loop: Header=BB65_9 Depth=1
	v_mov_b32_e32 v8, s3
	global_atomic_min_i32 v0, v8, s[10:11]
.LBB65_50:                              ;   in Loop: Header=BB65_9 Depth=1
	s_or_b32 exec_lo, exec_lo, s20
	v_mov_b32_e32 v8, 0
	v_dual_mov_b32 v9, 0x3ff00000 :: v_dual_mov_b32 v10, 0
	v_mov_b32_e32 v11, 0
.LBB65_51:                              ;   in Loop: Header=BB65_9 Depth=1
	s_or_b32 exec_lo, exec_lo, s1
	s_delay_alu instid0(VALU_DEP_1)
	v_mul_f64 v[12:13], v[10:11], v[10:11]
	ds_load_b128 v[28:31], v0 offset:512
	ds_load_b128 v[32:35], v23 offset:64
	ds_load_b128 v[36:39], v22
	ds_load_b128 v[40:43], v22 offset:16
	s_waitcnt lgkmcnt(1)
	v_fma_f64 v[34:35], v[30:31], v[36:37], v[34:35]
	v_fma_f64 v[32:33], v[28:29], v[36:37], v[32:33]
	;; [unrolled: 1-line block ×3, first 2 shown]
	s_delay_alu instid0(VALU_DEP_3) | instskip(NEXT) | instid1(VALU_DEP_3)
	v_fma_f64 v[36:37], v[28:29], -v[38:39], v[34:35]
	v_fma_f64 v[38:39], v[30:31], v[38:39], v[32:33]
	ds_load_b128 v[28:31], v0 offset:528
	ds_load_b128 v[32:35], v0 offset:544
	v_div_scale_f64 v[44:45], null, v[12:13], v[12:13], 1.0
	s_waitcnt lgkmcnt(1)
	v_fma_f64 v[36:37], v[30:31], v[40:41], v[36:37]
	v_fma_f64 v[38:39], v[28:29], v[40:41], v[38:39]
	s_delay_alu instid0(VALU_DEP_3) | instskip(NEXT) | instid1(VALU_DEP_2)
	v_rcp_f64_e32 v[46:47], v[44:45]
	v_fma_f64 v[40:41], v[28:29], -v[42:43], v[36:37]
	s_delay_alu instid0(VALU_DEP_2)
	v_fma_f64 v[42:43], v[30:31], v[42:43], v[38:39]
	ds_load_b128 v[28:31], v22 offset:32
	ds_load_b128 v[36:39], v22 offset:48
	v_fma_f64 v[48:49], -v[44:45], v[46:47], 1.0
	s_waitcnt lgkmcnt(1)
	v_fma_f64 v[40:41], v[34:35], v[28:29], v[40:41]
	v_fma_f64 v[28:29], v[32:33], v[28:29], v[42:43]
	v_div_scale_f64 v[42:43], vcc_lo, 1.0, v[12:13], 1.0
	s_delay_alu instid0(VALU_DEP_4) | instskip(NEXT) | instid1(VALU_DEP_4)
	v_fma_f64 v[46:47], v[46:47], v[48:49], v[46:47]
	v_fma_f64 v[32:33], v[32:33], -v[30:31], v[40:41]
	s_delay_alu instid0(VALU_DEP_4)
	v_fma_f64 v[34:35], v[34:35], v[30:31], v[28:29]
	ds_load_b128 v[28:31], v0 offset:560
	v_fma_f64 v[40:41], -v[44:45], v[46:47], 1.0
	s_waitcnt lgkmcnt(0)
	v_fma_f64 v[32:33], v[30:31], v[36:37], v[32:33]
	v_fma_f64 v[34:35], v[28:29], v[36:37], v[34:35]
	s_delay_alu instid0(VALU_DEP_3) | instskip(NEXT) | instid1(VALU_DEP_3)
	v_fma_f64 v[40:41], v[46:47], v[40:41], v[46:47]
	v_fma_f64 v[28:29], v[28:29], -v[38:39], v[32:33]
	s_delay_alu instid0(VALU_DEP_3) | instskip(NEXT) | instid1(VALU_DEP_3)
	v_fma_f64 v[30:31], v[30:31], v[38:39], v[34:35]
	v_mul_f64 v[32:33], v[42:43], v[40:41]
	s_delay_alu instid0(VALU_DEP_3) | instskip(NEXT) | instid1(VALU_DEP_3)
	v_add_f64 v[3:4], v[3:4], -v[28:29]
	v_add_f64 v[1:2], v[1:2], -v[30:31]
	s_delay_alu instid0(VALU_DEP_3) | instskip(NEXT) | instid1(VALU_DEP_3)
	v_fma_f64 v[28:29], -v[44:45], v[32:33], v[42:43]
	v_mul_f64 v[30:31], v[10:11], v[3:4]
	s_delay_alu instid0(VALU_DEP_3) | instskip(NEXT) | instid1(VALU_DEP_3)
	v_mul_f64 v[10:11], v[10:11], -v[1:2]
	v_div_fmas_f64 v[28:29], v[28:29], v[40:41], v[32:33]
	s_delay_alu instid0(VALU_DEP_3) | instskip(NEXT) | instid1(VALU_DEP_3)
	v_fma_f64 v[1:2], v[1:2], v[8:9], v[30:31]
	v_fma_f64 v[3:4], v[3:4], v[8:9], v[10:11]
	s_delay_alu instid0(VALU_DEP_3) | instskip(NEXT) | instid1(VALU_DEP_1)
	v_div_fixup_f64 v[12:13], v[28:29], v[12:13], 1.0
	v_mul_f64 v[1:2], v[12:13], v[1:2]
	s_delay_alu instid0(VALU_DEP_3)
	v_mul_f64 v[3:4], v[12:13], v[3:4]
	ds_store_b128 v22, v[1:4] offset:64
	s_waitcnt lgkmcnt(0)
	s_waitcnt_vscnt null, 0x0
	buffer_gl0_inv
	ds_load_b128 v[8:11], v27 offset:64
	ds_load_b128 v[28:31], v18
	s_waitcnt lgkmcnt(0)
	v_fma_f64 v[12:13], v[1:2], v[8:9], v[28:29]
	v_fma_f64 v[28:29], v[3:4], v[8:9], v[30:31]
	s_delay_alu instid0(VALU_DEP_2) | instskip(NEXT) | instid1(VALU_DEP_2)
	v_fma_f64 v[8:9], v[3:4], v[10:11], v[12:13]
	v_fma_f64 v[10:11], v[1:2], -v[10:11], v[28:29]
	ds_store_b128 v18, v[8:11]
	s_waitcnt lgkmcnt(0)
	buffer_gl0_inv
	ds_load_b128 v[8:11], v0 offset:720
	ds_load_b128 v[1:4], v22 offset:80
	s_waitcnt lgkmcnt(1)
	v_cmp_neq_f64_e32 vcc_lo, 0, v[8:9]
	v_cmp_neq_f64_e64 s1, 0, v[10:11]
	s_delay_alu instid0(VALU_DEP_1) | instskip(SKIP_4) | instid1(SALU_CYCLE_1)
	s_or_b32 vcc_lo, vcc_lo, s1
	v_cndmask_b32_e32 v9, 0x3ff00000, v9, vcc_lo
	v_dual_cndmask_b32 v8, 0, v8 :: v_dual_cndmask_b32 v11, 0, v11
	v_cndmask_b32_e32 v10, 0, v10, vcc_lo
	s_or_b32 s1, vcc_lo, s0
	s_xor_b32 s20, s1, -1
	s_delay_alu instid0(SALU_CYCLE_1)
	s_and_saveexec_b32 s1, s20
	s_cbranch_execz .LBB65_55
; %bb.52:                               ;   in Loop: Header=BB65_9 Depth=1
	v_mbcnt_lo_u32_b32 v8, exec_lo, 0
	s_mov_b32 s20, exec_lo
	s_delay_alu instid0(VALU_DEP_1)
	v_cmpx_eq_u32_e32 0, v8
	s_cbranch_execz .LBB65_54
; %bb.53:                               ;   in Loop: Header=BB65_9 Depth=1
	v_mov_b32_e32 v8, s3
	global_atomic_min_i32 v0, v8, s[10:11]
.LBB65_54:                              ;   in Loop: Header=BB65_9 Depth=1
	s_or_b32 exec_lo, exec_lo, s20
	v_mov_b32_e32 v8, 0
	v_dual_mov_b32 v9, 0x3ff00000 :: v_dual_mov_b32 v10, 0
	v_mov_b32_e32 v11, 0
.LBB65_55:                              ;   in Loop: Header=BB65_9 Depth=1
	s_or_b32 exec_lo, exec_lo, s1
	ds_load_b128 v[28:31], v22
	ds_load_b128 v[32:35], v23 offset:80
	ds_load_b128 v[36:39], v0 offset:640
	;; [unrolled: 1-line block ×4, first 2 shown]
	s_waitcnt lgkmcnt(2)
	v_fma_f64 v[12:13], v[38:39], v[28:29], v[34:35]
	v_fma_f64 v[28:29], v[36:37], v[28:29], v[32:33]
	v_mul_f64 v[32:33], v[10:11], v[10:11]
	s_delay_alu instid0(VALU_DEP_3) | instskip(NEXT) | instid1(VALU_DEP_3)
	v_fma_f64 v[12:13], v[36:37], -v[30:31], v[12:13]
	v_fma_f64 v[28:29], v[38:39], v[30:31], v[28:29]
	s_delay_alu instid0(VALU_DEP_3) | instskip(SKIP_1) | instid1(VALU_DEP_3)
	v_fma_f64 v[48:49], v[8:9], v[8:9], v[32:33]
	s_waitcnt lgkmcnt(0)
	v_fma_f64 v[12:13], v[42:43], v[44:45], v[12:13]
	s_delay_alu instid0(VALU_DEP_3) | instskip(NEXT) | instid1(VALU_DEP_3)
	v_fma_f64 v[28:29], v[40:41], v[44:45], v[28:29]
	v_div_scale_f64 v[44:45], null, v[48:49], v[48:49], 1.0
	s_delay_alu instid0(VALU_DEP_3) | instskip(NEXT) | instid1(VALU_DEP_3)
	v_fma_f64 v[12:13], v[40:41], -v[46:47], v[12:13]
	v_fma_f64 v[46:47], v[42:43], v[46:47], v[28:29]
	ds_load_b128 v[28:31], v22 offset:32
	ds_load_b128 v[32:35], v0 offset:672
	v_rcp_f64_e32 v[50:51], v[44:45]
	ds_load_b128 v[36:39], v0 offset:688
	ds_load_b128 v[40:43], v22 offset:48
	s_waitcnt lgkmcnt(2)
	v_fma_f64 v[12:13], v[34:35], v[28:29], v[12:13]
	v_fma_f64 v[28:29], v[32:33], v[28:29], v[46:47]
	v_fma_f64 v[46:47], -v[44:45], v[50:51], 1.0
	s_delay_alu instid0(VALU_DEP_3) | instskip(NEXT) | instid1(VALU_DEP_3)
	v_fma_f64 v[12:13], v[32:33], -v[30:31], v[12:13]
	v_fma_f64 v[28:29], v[34:35], v[30:31], v[28:29]
	s_delay_alu instid0(VALU_DEP_3) | instskip(SKIP_1) | instid1(VALU_DEP_3)
	v_fma_f64 v[46:47], v[50:51], v[46:47], v[50:51]
	s_waitcnt lgkmcnt(0)
	v_fma_f64 v[12:13], v[38:39], v[40:41], v[12:13]
	s_delay_alu instid0(VALU_DEP_3) | instskip(NEXT) | instid1(VALU_DEP_3)
	v_fma_f64 v[28:29], v[36:37], v[40:41], v[28:29]
	v_fma_f64 v[40:41], -v[44:45], v[46:47], 1.0
	s_delay_alu instid0(VALU_DEP_3) | instskip(NEXT) | instid1(VALU_DEP_3)
	v_fma_f64 v[12:13], v[36:37], -v[42:43], v[12:13]
	v_fma_f64 v[36:37], v[38:39], v[42:43], v[28:29]
	ds_load_b128 v[28:31], v22 offset:64
	ds_load_b128 v[32:35], v0 offset:704
	v_div_scale_f64 v[38:39], vcc_lo, 1.0, v[48:49], 1.0
	v_fma_f64 v[40:41], v[46:47], v[40:41], v[46:47]
	s_waitcnt lgkmcnt(0)
	v_fma_f64 v[12:13], v[34:35], v[28:29], v[12:13]
	v_fma_f64 v[28:29], v[32:33], v[28:29], v[36:37]
	s_delay_alu instid0(VALU_DEP_3) | instskip(NEXT) | instid1(VALU_DEP_3)
	v_mul_f64 v[36:37], v[38:39], v[40:41]
	v_fma_f64 v[12:13], v[32:33], -v[30:31], v[12:13]
	s_delay_alu instid0(VALU_DEP_3) | instskip(NEXT) | instid1(VALU_DEP_3)
	v_fma_f64 v[28:29], v[34:35], v[30:31], v[28:29]
	v_fma_f64 v[30:31], -v[44:45], v[36:37], v[38:39]
	s_delay_alu instid0(VALU_DEP_3) | instskip(NEXT) | instid1(VALU_DEP_3)
	v_add_f64 v[3:4], v[3:4], -v[12:13]
	v_add_f64 v[1:2], v[1:2], -v[28:29]
	s_delay_alu instid0(VALU_DEP_3) | instskip(NEXT) | instid1(VALU_DEP_3)
	v_div_fmas_f64 v[12:13], v[30:31], v[40:41], v[36:37]
	v_mul_f64 v[28:29], v[10:11], v[3:4]
	s_delay_alu instid0(VALU_DEP_3) | instskip(NEXT) | instid1(VALU_DEP_3)
	v_mul_f64 v[10:11], v[10:11], -v[1:2]
	v_div_fixup_f64 v[12:13], v[12:13], v[48:49], 1.0
	s_delay_alu instid0(VALU_DEP_3) | instskip(NEXT) | instid1(VALU_DEP_3)
	v_fma_f64 v[1:2], v[1:2], v[8:9], v[28:29]
	v_fma_f64 v[3:4], v[3:4], v[8:9], v[10:11]
	s_delay_alu instid0(VALU_DEP_2) | instskip(NEXT) | instid1(VALU_DEP_2)
	v_mul_f64 v[1:2], v[12:13], v[1:2]
	v_mul_f64 v[3:4], v[12:13], v[3:4]
	ds_store_b128 v22, v[1:4] offset:80
	s_waitcnt lgkmcnt(0)
	s_waitcnt_vscnt null, 0x0
	buffer_gl0_inv
	ds_load_b128 v[8:11], v27 offset:80
	ds_load_b128 v[28:31], v18
	s_waitcnt lgkmcnt(0)
	v_fma_f64 v[12:13], v[1:2], v[8:9], v[28:29]
	v_fma_f64 v[28:29], v[3:4], v[8:9], v[30:31]
	s_delay_alu instid0(VALU_DEP_2) | instskip(NEXT) | instid1(VALU_DEP_2)
	v_fma_f64 v[8:9], v[3:4], v[10:11], v[12:13]
	v_fma_f64 v[10:11], v[1:2], -v[10:11], v[28:29]
	ds_store_b128 v18, v[8:11]
	s_waitcnt lgkmcnt(0)
	buffer_gl0_inv
	ds_load_b128 v[8:11], v0 offset:864
	ds_load_b128 v[1:4], v22 offset:96
	s_waitcnt lgkmcnt(1)
	v_cmp_neq_f64_e32 vcc_lo, 0, v[8:9]
	v_cmp_neq_f64_e64 s1, 0, v[10:11]
	s_delay_alu instid0(VALU_DEP_1) | instskip(SKIP_4) | instid1(SALU_CYCLE_1)
	s_or_b32 vcc_lo, vcc_lo, s1
	v_cndmask_b32_e32 v9, 0x3ff00000, v9, vcc_lo
	v_dual_cndmask_b32 v8, 0, v8 :: v_dual_cndmask_b32 v11, 0, v11
	v_cndmask_b32_e32 v10, 0, v10, vcc_lo
	s_or_b32 s1, vcc_lo, s0
	s_xor_b32 s20, s1, -1
	s_delay_alu instid0(SALU_CYCLE_1)
	s_and_saveexec_b32 s1, s20
	s_cbranch_execz .LBB65_7
; %bb.56:                               ;   in Loop: Header=BB65_9 Depth=1
	v_mbcnt_lo_u32_b32 v8, exec_lo, 0
	s_mov_b32 s20, exec_lo
	s_delay_alu instid0(VALU_DEP_1)
	v_cmpx_eq_u32_e32 0, v8
	s_cbranch_execz .LBB65_6
; %bb.57:                               ;   in Loop: Header=BB65_9 Depth=1
	v_mov_b32_e32 v8, s3
	global_atomic_min_i32 v0, v8, s[10:11]
	s_branch .LBB65_6
.LBB65_58:
	v_mov_b32_e32 v0, v16
	s_cmp_lg_u32 s28, 0
	s_cselect_b32 s3, -1, 0
	s_cmp_eq_u32 s28, 0
	s_cbranch_scc1 .LBB65_60
; %bb.59:
	v_mad_u32_u24 v0, v14, 7, v15
.LBB65_60:
	s_mul_i32 s26, s26, 49
	v_cmp_ne_u32_e64 s1, 0, v15
	s_delay_alu instid0(VALU_DEP_2) | instskip(SKIP_1) | instid1(VALU_DEP_1)
	v_add_nc_u32_e32 v0, s26, v0
	s_mov_b32 s2, exec_lo
	v_ashrrev_i32_e32 v1, 31, v0
	s_delay_alu instid0(VALU_DEP_1) | instskip(NEXT) | instid1(VALU_DEP_1)
	v_lshlrev_b64 v[0:1], 4, v[0:1]
	v_add_co_u32 v0, vcc_lo, s18, v0
	s_delay_alu instid0(VALU_DEP_2)
	v_add_co_ci_u32_e32 v1, vcc_lo, s19, v1, vcc_lo
	global_load_b128 v[0:3], v[0:1], off
	s_waitcnt vmcnt(0)
	ds_store_2addr_b64 v19, v[0:1], v[2:3] offset0:224 offset1:225
	s_waitcnt lgkmcnt(0)
	buffer_gl0_inv
	v_cmpx_eq_u32_e32 0, v15
	s_cbranch_execz .LBB65_69
; %bb.61:
	v_mov_b32_e32 v4, 0
	ds_load_b128 v[0:3], v4 offset:2688
	ds_load_b128 v[4:7], v4 offset:1792
	s_waitcnt lgkmcnt(0)
	v_add_f64 v[0:1], v[4:5], -v[0:1]
	v_add_f64 v[4:5], v[6:7], -v[2:3]
	s_delay_alu instid0(VALU_DEP_2) | instskip(NEXT) | instid1(VALU_DEP_2)
	v_cmp_gt_f64_e32 vcc_lo, 0, v[0:1]
	v_cmp_gt_f64_e64 s0, 0, v[4:5]
	v_xor_b32_e32 v2, 0x80000000, v1
	v_xor_b32_e32 v3, 0x80000000, v5
	s_delay_alu instid0(VALU_DEP_2) | instskip(NEXT) | instid1(VALU_DEP_2)
	v_cndmask_b32_e32 v1, v1, v2, vcc_lo
	v_cndmask_b32_e64 v3, v5, v3, s0
	v_cndmask_b32_e32 v0, v0, v0, vcc_lo
	v_cndmask_b32_e64 v2, v4, v4, s0
	s_delay_alu instid0(VALU_DEP_1)
	v_cmp_ngt_f64_e32 vcc_lo, v[0:1], v[2:3]
	s_cbranch_vccz .LBB65_66
; %bb.62:
	v_cmp_eq_f64_e32 vcc_lo, 0, v[4:5]
	v_mov_b32_e32 v4, 0
	v_mov_b32_e32 v5, 0
	s_cbranch_vccnz .LBB65_64
; %bb.63:
	v_div_scale_f64 v[4:5], null, v[2:3], v[2:3], v[0:1]
	v_div_scale_f64 v[10:11], vcc_lo, v[0:1], v[2:3], v[0:1]
	s_delay_alu instid0(VALU_DEP_2) | instskip(SKIP_2) | instid1(VALU_DEP_1)
	v_rcp_f64_e32 v[6:7], v[4:5]
	s_waitcnt_depctr 0xfff
	v_fma_f64 v[8:9], -v[4:5], v[6:7], 1.0
	v_fma_f64 v[6:7], v[6:7], v[8:9], v[6:7]
	s_delay_alu instid0(VALU_DEP_1) | instskip(NEXT) | instid1(VALU_DEP_1)
	v_fma_f64 v[8:9], -v[4:5], v[6:7], 1.0
	v_fma_f64 v[6:7], v[6:7], v[8:9], v[6:7]
	s_delay_alu instid0(VALU_DEP_1) | instskip(NEXT) | instid1(VALU_DEP_1)
	v_mul_f64 v[8:9], v[10:11], v[6:7]
	v_fma_f64 v[4:5], -v[4:5], v[8:9], v[10:11]
	s_delay_alu instid0(VALU_DEP_1) | instskip(NEXT) | instid1(VALU_DEP_1)
	v_div_fmas_f64 v[4:5], v[4:5], v[6:7], v[8:9]
	v_div_fixup_f64 v[4:5], v[4:5], v[2:3], v[0:1]
	s_delay_alu instid0(VALU_DEP_1) | instskip(NEXT) | instid1(VALU_DEP_1)
	v_fma_f64 v[4:5], v[4:5], v[4:5], 1.0
	v_cmp_gt_f64_e32 vcc_lo, 0x10000000, v[4:5]
	v_cndmask_b32_e64 v6, 0, 1, vcc_lo
	s_and_b32 s0, vcc_lo, exec_lo
	s_cselect_b32 s0, 0xffffff80, 0
	s_delay_alu instid0(VALU_DEP_1) | instskip(NEXT) | instid1(VALU_DEP_1)
	v_lshlrev_b32_e32 v6, 8, v6
	v_ldexp_f64 v[4:5], v[4:5], v6
	s_delay_alu instid0(VALU_DEP_1) | instskip(SKIP_4) | instid1(VALU_DEP_1)
	v_rsq_f64_e32 v[6:7], v[4:5]
	v_cmp_class_f64_e64 vcc_lo, v[4:5], 0x260
	s_waitcnt_depctr 0xfff
	v_mul_f64 v[8:9], v[4:5], v[6:7]
	v_mul_f64 v[6:7], v[6:7], 0.5
	v_fma_f64 v[10:11], -v[6:7], v[8:9], 0.5
	s_delay_alu instid0(VALU_DEP_1) | instskip(SKIP_1) | instid1(VALU_DEP_2)
	v_fma_f64 v[8:9], v[8:9], v[10:11], v[8:9]
	v_fma_f64 v[6:7], v[6:7], v[10:11], v[6:7]
	v_fma_f64 v[10:11], -v[8:9], v[8:9], v[4:5]
	s_delay_alu instid0(VALU_DEP_1) | instskip(NEXT) | instid1(VALU_DEP_1)
	v_fma_f64 v[8:9], v[10:11], v[6:7], v[8:9]
	v_fma_f64 v[10:11], -v[8:9], v[8:9], v[4:5]
	s_delay_alu instid0(VALU_DEP_1) | instskip(NEXT) | instid1(VALU_DEP_1)
	v_fma_f64 v[6:7], v[10:11], v[6:7], v[8:9]
	v_ldexp_f64 v[6:7], v[6:7], s0
	s_delay_alu instid0(VALU_DEP_1) | instskip(NEXT) | instid1(VALU_DEP_1)
	v_dual_cndmask_b32 v5, v7, v5 :: v_dual_cndmask_b32 v4, v6, v4
	v_mul_f64 v[4:5], v[2:3], v[4:5]
.LBB65_64:
	s_cbranch_execz .LBB65_67
	s_branch .LBB65_68
.LBB65_65:
	s_cbranch_execnz .LBB65_162
	s_branch .LBB65_167
.LBB65_66:
                                        ; implicit-def: $vgpr4_vgpr5
.LBB65_67:
	v_div_scale_f64 v[4:5], null, v[0:1], v[0:1], v[2:3]
	v_div_scale_f64 v[10:11], vcc_lo, v[2:3], v[0:1], v[2:3]
	s_delay_alu instid0(VALU_DEP_2) | instskip(SKIP_2) | instid1(VALU_DEP_1)
	v_rcp_f64_e32 v[6:7], v[4:5]
	s_waitcnt_depctr 0xfff
	v_fma_f64 v[8:9], -v[4:5], v[6:7], 1.0
	v_fma_f64 v[6:7], v[6:7], v[8:9], v[6:7]
	s_delay_alu instid0(VALU_DEP_1) | instskip(NEXT) | instid1(VALU_DEP_1)
	v_fma_f64 v[8:9], -v[4:5], v[6:7], 1.0
	v_fma_f64 v[6:7], v[6:7], v[8:9], v[6:7]
	s_delay_alu instid0(VALU_DEP_1) | instskip(NEXT) | instid1(VALU_DEP_1)
	v_mul_f64 v[8:9], v[10:11], v[6:7]
	v_fma_f64 v[4:5], -v[4:5], v[8:9], v[10:11]
	s_delay_alu instid0(VALU_DEP_1) | instskip(NEXT) | instid1(VALU_DEP_1)
	v_div_fmas_f64 v[4:5], v[4:5], v[6:7], v[8:9]
	v_div_fixup_f64 v[2:3], v[4:5], v[0:1], v[2:3]
	s_delay_alu instid0(VALU_DEP_1) | instskip(NEXT) | instid1(VALU_DEP_1)
	v_fma_f64 v[2:3], v[2:3], v[2:3], 1.0
	v_cmp_gt_f64_e32 vcc_lo, 0x10000000, v[2:3]
	v_cndmask_b32_e64 v4, 0, 1, vcc_lo
	s_and_b32 s0, vcc_lo, exec_lo
	s_cselect_b32 s0, 0xffffff80, 0
	s_delay_alu instid0(VALU_DEP_1) | instskip(NEXT) | instid1(VALU_DEP_1)
	v_lshlrev_b32_e32 v4, 8, v4
	v_ldexp_f64 v[2:3], v[2:3], v4
	s_delay_alu instid0(VALU_DEP_1) | instskip(SKIP_4) | instid1(VALU_DEP_1)
	v_rsq_f64_e32 v[4:5], v[2:3]
	v_cmp_class_f64_e64 vcc_lo, v[2:3], 0x260
	s_waitcnt_depctr 0xfff
	v_mul_f64 v[6:7], v[2:3], v[4:5]
	v_mul_f64 v[4:5], v[4:5], 0.5
	v_fma_f64 v[8:9], -v[4:5], v[6:7], 0.5
	s_delay_alu instid0(VALU_DEP_1) | instskip(SKIP_1) | instid1(VALU_DEP_2)
	v_fma_f64 v[6:7], v[6:7], v[8:9], v[6:7]
	v_fma_f64 v[4:5], v[4:5], v[8:9], v[4:5]
	v_fma_f64 v[8:9], -v[6:7], v[6:7], v[2:3]
	s_delay_alu instid0(VALU_DEP_1) | instskip(NEXT) | instid1(VALU_DEP_1)
	v_fma_f64 v[6:7], v[8:9], v[4:5], v[6:7]
	v_fma_f64 v[8:9], -v[6:7], v[6:7], v[2:3]
	s_delay_alu instid0(VALU_DEP_1) | instskip(NEXT) | instid1(VALU_DEP_1)
	v_fma_f64 v[4:5], v[8:9], v[4:5], v[6:7]
	v_ldexp_f64 v[4:5], v[4:5], s0
	s_delay_alu instid0(VALU_DEP_1) | instskip(NEXT) | instid1(VALU_DEP_1)
	v_dual_cndmask_b32 v3, v5, v3 :: v_dual_cndmask_b32 v2, v4, v2
	v_mul_f64 v[4:5], v[0:1], v[2:3]
.LBB65_68:
	s_delay_alu instid0(VALU_DEP_1) | instskip(SKIP_3) | instid1(VALU_DEP_1)
	v_cmp_gt_f64_e32 vcc_lo, 0x10000000, v[4:5]
	v_cndmask_b32_e64 v0, 0, 1, vcc_lo
	s_and_b32 s0, vcc_lo, exec_lo
	s_cselect_b32 s0, 0xffffff80, 0
	v_lshlrev_b32_e32 v0, 8, v0
	s_delay_alu instid0(VALU_DEP_1) | instskip(NEXT) | instid1(VALU_DEP_1)
	v_ldexp_f64 v[0:1], v[4:5], v0
	v_rsq_f64_e32 v[2:3], v[0:1]
	v_cmp_class_f64_e64 vcc_lo, v[0:1], 0x260
	s_waitcnt_depctr 0xfff
	v_mul_f64 v[4:5], v[0:1], v[2:3]
	v_mul_f64 v[2:3], v[2:3], 0.5
	s_delay_alu instid0(VALU_DEP_1) | instskip(NEXT) | instid1(VALU_DEP_1)
	v_fma_f64 v[6:7], -v[2:3], v[4:5], 0.5
	v_fma_f64 v[4:5], v[4:5], v[6:7], v[4:5]
	v_fma_f64 v[2:3], v[2:3], v[6:7], v[2:3]
	s_delay_alu instid0(VALU_DEP_2) | instskip(NEXT) | instid1(VALU_DEP_1)
	v_fma_f64 v[6:7], -v[4:5], v[4:5], v[0:1]
	v_fma_f64 v[4:5], v[6:7], v[2:3], v[4:5]
	s_delay_alu instid0(VALU_DEP_1) | instskip(NEXT) | instid1(VALU_DEP_1)
	v_fma_f64 v[6:7], -v[4:5], v[4:5], v[0:1]
	v_fma_f64 v[2:3], v[6:7], v[2:3], v[4:5]
	s_delay_alu instid0(VALU_DEP_1) | instskip(NEXT) | instid1(VALU_DEP_1)
	v_ldexp_f64 v[3:4], v[2:3], s0
	v_dual_mov_b32 v2, 0 :: v_dual_cndmask_b32 v1, v4, v1
	s_delay_alu instid0(VALU_DEP_1)
	v_dual_cndmask_b32 v0, v3, v0 :: v_dual_mov_b32 v3, v2
	ds_store_b128 v2, v[0:3] offset:1792
.LBB65_69:
	s_or_b32 exec_lo, exec_lo, s2
	v_mov_b32_e32 v0, 0
	s_waitcnt lgkmcnt(0)
	buffer_gl0_inv
	v_or_b32_e32 v7, v14, v15
	v_add_nc_u32_e32 v6, 0x700, v19
	ds_load_b128 v[0:3], v0 offset:1792
	v_cmp_ne_u32_e64 s0, 0, v7
	s_waitcnt lgkmcnt(0)
	v_cmp_neq_f64_e32 vcc_lo, 0, v[0:1]
	v_cmp_neq_f64_e64 s2, 0, v[2:3]
	s_delay_alu instid0(VALU_DEP_1)
	s_or_b32 vcc_lo, vcc_lo, s2
	s_add_i32 s2, s16, s17
	v_cndmask_b32_e32 v1, 0x3ff00000, v1, vcc_lo
	v_dual_cndmask_b32 v0, 0, v0 :: v_dual_cndmask_b32 v3, 0, v3
	v_cndmask_b32_e32 v2, 0, v2, vcc_lo
	s_or_b32 s4, vcc_lo, s0
	s_delay_alu instid0(SALU_CYCLE_1) | instskip(NEXT) | instid1(SALU_CYCLE_1)
	s_xor_b32 s5, s4, -1
	s_and_saveexec_b32 s4, s5
	s_cbranch_execz .LBB65_73
; %bb.70:
	v_mbcnt_lo_u32_b32 v0, exec_lo, 0
	s_mov_b32 s5, exec_lo
	s_delay_alu instid0(VALU_DEP_1)
	v_cmpx_eq_u32_e32 0, v0
	s_cbranch_execz .LBB65_72
; %bb.71:
	v_dual_mov_b32 v0, 0 :: v_dual_mov_b32 v1, s2
	global_atomic_min_i32 v0, v1, s[10:11]
.LBB65_72:
	s_or_b32 exec_lo, exec_lo, s5
	v_mov_b32_e32 v0, 0
	v_dual_mov_b32 v1, 0x3ff00000 :: v_dual_mov_b32 v2, 0
	v_mov_b32_e32 v3, 0
.LBB65_73:
	s_or_b32 exec_lo, exec_lo, s4
	s_and_saveexec_b32 s4, s1
	s_cbranch_execz .LBB65_75
; %bb.74:
	s_delay_alu instid0(VALU_DEP_1) | instskip(SKIP_1) | instid1(VALU_DEP_2)
	v_mul_f64 v[4:5], v[2:3], v[2:3]
	v_lshlrev_b32_e32 v29, 7, v15
	v_fma_f64 v[4:5], v[0:1], v[0:1], v[4:5]
	s_delay_alu instid0(VALU_DEP_1) | instskip(SKIP_1) | instid1(VALU_DEP_2)
	v_div_scale_f64 v[12:13], null, v[4:5], v[4:5], 1.0
	v_div_scale_f64 v[23:24], vcc_lo, 1.0, v[4:5], 1.0
	v_rcp_f64_e32 v[8:9], v[12:13]
	s_waitcnt_depctr 0xfff
	v_fma_f64 v[10:11], -v[12:13], v[8:9], 1.0
	s_delay_alu instid0(VALU_DEP_1) | instskip(NEXT) | instid1(VALU_DEP_1)
	v_fma_f64 v[8:9], v[8:9], v[10:11], v[8:9]
	v_fma_f64 v[10:11], -v[12:13], v[8:9], 1.0
	s_delay_alu instid0(VALU_DEP_1)
	v_fma_f64 v[25:26], v[8:9], v[10:11], v[8:9]
	ds_load_b128 v[8:11], v29 offset:1792
	ds_load_b128 v[19:22], v29 offset:2688
	s_waitcnt lgkmcnt(0)
	v_add_f64 v[10:11], v[10:11], -v[21:22]
	v_add_f64 v[8:9], v[8:9], -v[19:20]
	v_mul_f64 v[27:28], v[23:24], v[25:26]
	s_delay_alu instid0(VALU_DEP_3) | instskip(NEXT) | instid1(VALU_DEP_3)
	v_mul_f64 v[19:20], v[2:3], v[10:11]
	v_mul_f64 v[2:3], v[2:3], -v[8:9]
	s_delay_alu instid0(VALU_DEP_3) | instskip(NEXT) | instid1(VALU_DEP_3)
	v_fma_f64 v[12:13], -v[12:13], v[27:28], v[23:24]
	v_fma_f64 v[8:9], v[8:9], v[0:1], v[19:20]
	s_delay_alu instid0(VALU_DEP_3) | instskip(NEXT) | instid1(VALU_DEP_3)
	v_fma_f64 v[2:3], v[10:11], v[0:1], v[2:3]
	v_div_fmas_f64 v[12:13], v[12:13], v[25:26], v[27:28]
	s_delay_alu instid0(VALU_DEP_1) | instskip(NEXT) | instid1(VALU_DEP_1)
	v_div_fixup_f64 v[4:5], v[12:13], v[4:5], 1.0
	v_mul_f64 v[0:1], v[4:5], v[8:9]
	s_delay_alu instid0(VALU_DEP_4)
	v_mul_f64 v[2:3], v[4:5], v[2:3]
	v_lshlrev_b32_e32 v4, 7, v14
	ds_store_b128 v29, v[0:3] offset:1792
	s_waitcnt lgkmcnt(0)
	s_waitcnt_vscnt null, 0x0
	buffer_gl0_inv
	ds_load_b128 v[8:11], v4 offset:1792
	ds_load_b128 v[19:22], v18
	s_waitcnt lgkmcnt(0)
	v_fma_f64 v[4:5], v[0:1], v[8:9], v[19:20]
	v_fma_f64 v[8:9], v[2:3], v[8:9], v[21:22]
	s_delay_alu instid0(VALU_DEP_2) | instskip(NEXT) | instid1(VALU_DEP_2)
	v_fma_f64 v[2:3], v[2:3], v[10:11], v[4:5]
	v_fma_f64 v[4:5], v[0:1], -v[10:11], v[8:9]
	ds_store_b128 v18, v[2:5]
.LBB65_75:
	s_or_b32 exec_lo, exec_lo, s4
	s_delay_alu instid0(SALU_CYCLE_1)
	s_mov_b32 s4, exec_lo
	s_waitcnt lgkmcnt(0)
	s_waitcnt_vscnt null, 0x0
	buffer_gl0_inv
	v_cmpx_eq_u32_e32 1, v15
	s_cbranch_execz .LBB65_83
; %bb.76:
	v_mov_b32_e32 v4, 0
	ds_load_b128 v[0:3], v4 offset:2832
	ds_load_b128 v[8:11], v4 offset:1936
	s_waitcnt lgkmcnt(0)
	v_add_f64 v[0:1], v[8:9], -v[0:1]
	v_add_f64 v[4:5], v[10:11], -v[2:3]
	s_delay_alu instid0(VALU_DEP_2) | instskip(NEXT) | instid1(VALU_DEP_2)
	v_cmp_gt_f64_e32 vcc_lo, 0, v[0:1]
	v_cmp_gt_f64_e64 s1, 0, v[4:5]
	v_xor_b32_e32 v2, 0x80000000, v1
	v_xor_b32_e32 v3, 0x80000000, v5
	s_delay_alu instid0(VALU_DEP_2) | instskip(NEXT) | instid1(VALU_DEP_2)
	v_cndmask_b32_e32 v1, v1, v2, vcc_lo
	v_cndmask_b32_e64 v3, v5, v3, s1
	v_cndmask_b32_e32 v0, v0, v0, vcc_lo
	v_cndmask_b32_e64 v2, v4, v4, s1
	s_delay_alu instid0(VALU_DEP_1)
	v_cmp_gt_f64_e32 vcc_lo, v[0:1], v[2:3]
	s_cbranch_vccnz .LBB65_80
; %bb.77:
	v_cmp_eq_f64_e32 vcc_lo, 0, v[4:5]
	v_mov_b32_e32 v4, 0
	v_mov_b32_e32 v5, 0
	s_cbranch_vccnz .LBB65_79
; %bb.78:
	v_div_scale_f64 v[4:5], null, v[2:3], v[2:3], v[0:1]
	v_div_scale_f64 v[12:13], vcc_lo, v[0:1], v[2:3], v[0:1]
	s_delay_alu instid0(VALU_DEP_2) | instskip(SKIP_2) | instid1(VALU_DEP_1)
	v_rcp_f64_e32 v[8:9], v[4:5]
	s_waitcnt_depctr 0xfff
	v_fma_f64 v[10:11], -v[4:5], v[8:9], 1.0
	v_fma_f64 v[8:9], v[8:9], v[10:11], v[8:9]
	s_delay_alu instid0(VALU_DEP_1) | instskip(NEXT) | instid1(VALU_DEP_1)
	v_fma_f64 v[10:11], -v[4:5], v[8:9], 1.0
	v_fma_f64 v[8:9], v[8:9], v[10:11], v[8:9]
	s_delay_alu instid0(VALU_DEP_1) | instskip(NEXT) | instid1(VALU_DEP_1)
	v_mul_f64 v[10:11], v[12:13], v[8:9]
	v_fma_f64 v[4:5], -v[4:5], v[10:11], v[12:13]
	s_delay_alu instid0(VALU_DEP_1) | instskip(NEXT) | instid1(VALU_DEP_1)
	v_div_fmas_f64 v[4:5], v[4:5], v[8:9], v[10:11]
	v_div_fixup_f64 v[4:5], v[4:5], v[2:3], v[0:1]
	s_delay_alu instid0(VALU_DEP_1) | instskip(NEXT) | instid1(VALU_DEP_1)
	v_fma_f64 v[4:5], v[4:5], v[4:5], 1.0
	v_cmp_gt_f64_e32 vcc_lo, 0x10000000, v[4:5]
	v_cndmask_b32_e64 v8, 0, 1, vcc_lo
	s_and_b32 s1, vcc_lo, exec_lo
	s_cselect_b32 s1, 0xffffff80, 0
	s_delay_alu instid0(VALU_DEP_1) | instskip(NEXT) | instid1(VALU_DEP_1)
	v_lshlrev_b32_e32 v8, 8, v8
	v_ldexp_f64 v[4:5], v[4:5], v8
	s_delay_alu instid0(VALU_DEP_1) | instskip(SKIP_4) | instid1(VALU_DEP_1)
	v_rsq_f64_e32 v[8:9], v[4:5]
	v_cmp_class_f64_e64 vcc_lo, v[4:5], 0x260
	s_waitcnt_depctr 0xfff
	v_mul_f64 v[10:11], v[4:5], v[8:9]
	v_mul_f64 v[8:9], v[8:9], 0.5
	v_fma_f64 v[12:13], -v[8:9], v[10:11], 0.5
	s_delay_alu instid0(VALU_DEP_1) | instskip(SKIP_1) | instid1(VALU_DEP_2)
	v_fma_f64 v[10:11], v[10:11], v[12:13], v[10:11]
	v_fma_f64 v[8:9], v[8:9], v[12:13], v[8:9]
	v_fma_f64 v[12:13], -v[10:11], v[10:11], v[4:5]
	s_delay_alu instid0(VALU_DEP_1) | instskip(NEXT) | instid1(VALU_DEP_1)
	v_fma_f64 v[10:11], v[12:13], v[8:9], v[10:11]
	v_fma_f64 v[12:13], -v[10:11], v[10:11], v[4:5]
	s_delay_alu instid0(VALU_DEP_1) | instskip(NEXT) | instid1(VALU_DEP_1)
	v_fma_f64 v[8:9], v[12:13], v[8:9], v[10:11]
	v_ldexp_f64 v[8:9], v[8:9], s1
	s_delay_alu instid0(VALU_DEP_1) | instskip(NEXT) | instid1(VALU_DEP_1)
	v_dual_cndmask_b32 v5, v9, v5 :: v_dual_cndmask_b32 v4, v8, v4
	v_mul_f64 v[4:5], v[2:3], v[4:5]
.LBB65_79:
	s_cbranch_execz .LBB65_81
	s_branch .LBB65_82
.LBB65_80:
                                        ; implicit-def: $vgpr4_vgpr5
.LBB65_81:
	v_div_scale_f64 v[4:5], null, v[0:1], v[0:1], v[2:3]
	v_div_scale_f64 v[12:13], vcc_lo, v[2:3], v[0:1], v[2:3]
	s_delay_alu instid0(VALU_DEP_2) | instskip(SKIP_2) | instid1(VALU_DEP_1)
	v_rcp_f64_e32 v[8:9], v[4:5]
	s_waitcnt_depctr 0xfff
	v_fma_f64 v[10:11], -v[4:5], v[8:9], 1.0
	v_fma_f64 v[8:9], v[8:9], v[10:11], v[8:9]
	s_delay_alu instid0(VALU_DEP_1) | instskip(NEXT) | instid1(VALU_DEP_1)
	v_fma_f64 v[10:11], -v[4:5], v[8:9], 1.0
	v_fma_f64 v[8:9], v[8:9], v[10:11], v[8:9]
	s_delay_alu instid0(VALU_DEP_1) | instskip(NEXT) | instid1(VALU_DEP_1)
	v_mul_f64 v[10:11], v[12:13], v[8:9]
	v_fma_f64 v[4:5], -v[4:5], v[10:11], v[12:13]
	s_delay_alu instid0(VALU_DEP_1) | instskip(NEXT) | instid1(VALU_DEP_1)
	v_div_fmas_f64 v[4:5], v[4:5], v[8:9], v[10:11]
	v_div_fixup_f64 v[2:3], v[4:5], v[0:1], v[2:3]
	s_delay_alu instid0(VALU_DEP_1) | instskip(NEXT) | instid1(VALU_DEP_1)
	v_fma_f64 v[2:3], v[2:3], v[2:3], 1.0
	v_cmp_gt_f64_e32 vcc_lo, 0x10000000, v[2:3]
	v_cndmask_b32_e64 v4, 0, 1, vcc_lo
	s_and_b32 s1, vcc_lo, exec_lo
	s_cselect_b32 s1, 0xffffff80, 0
	s_delay_alu instid0(VALU_DEP_1) | instskip(NEXT) | instid1(VALU_DEP_1)
	v_lshlrev_b32_e32 v4, 8, v4
	v_ldexp_f64 v[2:3], v[2:3], v4
	s_delay_alu instid0(VALU_DEP_1) | instskip(SKIP_4) | instid1(VALU_DEP_1)
	v_rsq_f64_e32 v[4:5], v[2:3]
	v_cmp_class_f64_e64 vcc_lo, v[2:3], 0x260
	s_waitcnt_depctr 0xfff
	v_mul_f64 v[8:9], v[2:3], v[4:5]
	v_mul_f64 v[4:5], v[4:5], 0.5
	v_fma_f64 v[10:11], -v[4:5], v[8:9], 0.5
	s_delay_alu instid0(VALU_DEP_1) | instskip(SKIP_1) | instid1(VALU_DEP_2)
	v_fma_f64 v[8:9], v[8:9], v[10:11], v[8:9]
	v_fma_f64 v[4:5], v[4:5], v[10:11], v[4:5]
	v_fma_f64 v[10:11], -v[8:9], v[8:9], v[2:3]
	s_delay_alu instid0(VALU_DEP_1) | instskip(NEXT) | instid1(VALU_DEP_1)
	v_fma_f64 v[8:9], v[10:11], v[4:5], v[8:9]
	v_fma_f64 v[10:11], -v[8:9], v[8:9], v[2:3]
	s_delay_alu instid0(VALU_DEP_1) | instskip(NEXT) | instid1(VALU_DEP_1)
	v_fma_f64 v[4:5], v[10:11], v[4:5], v[8:9]
	v_ldexp_f64 v[4:5], v[4:5], s1
	s_delay_alu instid0(VALU_DEP_1) | instskip(NEXT) | instid1(VALU_DEP_1)
	v_dual_cndmask_b32 v3, v5, v3 :: v_dual_cndmask_b32 v2, v4, v2
	v_mul_f64 v[4:5], v[0:1], v[2:3]
.LBB65_82:
	s_delay_alu instid0(VALU_DEP_1) | instskip(SKIP_3) | instid1(VALU_DEP_1)
	v_cmp_gt_f64_e32 vcc_lo, 0x10000000, v[4:5]
	v_cndmask_b32_e64 v0, 0, 1, vcc_lo
	s_and_b32 s1, vcc_lo, exec_lo
	s_cselect_b32 s1, 0xffffff80, 0
	v_lshlrev_b32_e32 v0, 8, v0
	s_delay_alu instid0(VALU_DEP_1) | instskip(NEXT) | instid1(VALU_DEP_1)
	v_ldexp_f64 v[0:1], v[4:5], v0
	v_rsq_f64_e32 v[2:3], v[0:1]
	v_cmp_class_f64_e64 vcc_lo, v[0:1], 0x260
	s_waitcnt_depctr 0xfff
	v_mul_f64 v[4:5], v[0:1], v[2:3]
	v_mul_f64 v[2:3], v[2:3], 0.5
	s_delay_alu instid0(VALU_DEP_1) | instskip(NEXT) | instid1(VALU_DEP_1)
	v_fma_f64 v[8:9], -v[2:3], v[4:5], 0.5
	v_fma_f64 v[4:5], v[4:5], v[8:9], v[4:5]
	v_fma_f64 v[2:3], v[2:3], v[8:9], v[2:3]
	s_delay_alu instid0(VALU_DEP_2) | instskip(NEXT) | instid1(VALU_DEP_1)
	v_fma_f64 v[8:9], -v[4:5], v[4:5], v[0:1]
	v_fma_f64 v[4:5], v[8:9], v[2:3], v[4:5]
	s_delay_alu instid0(VALU_DEP_1) | instskip(NEXT) | instid1(VALU_DEP_1)
	v_fma_f64 v[8:9], -v[4:5], v[4:5], v[0:1]
	v_fma_f64 v[2:3], v[8:9], v[2:3], v[4:5]
	s_delay_alu instid0(VALU_DEP_1) | instskip(NEXT) | instid1(VALU_DEP_1)
	v_ldexp_f64 v[3:4], v[2:3], s1
	v_dual_mov_b32 v2, 0 :: v_dual_cndmask_b32 v1, v4, v1
	s_delay_alu instid0(VALU_DEP_1)
	v_dual_cndmask_b32 v0, v3, v0 :: v_dual_mov_b32 v3, v2
	ds_store_b128 v2, v[0:3] offset:1936
.LBB65_83:
	s_or_b32 exec_lo, exec_lo, s4
	v_mov_b32_e32 v0, 0
	s_waitcnt lgkmcnt(0)
	buffer_gl0_inv
	ds_load_b128 v[0:3], v0 offset:1936
	s_waitcnt lgkmcnt(0)
	v_cmp_neq_f64_e32 vcc_lo, 0, v[0:1]
	v_cmp_neq_f64_e64 s1, 0, v[2:3]
	s_delay_alu instid0(VALU_DEP_1) | instskip(SKIP_4) | instid1(SALU_CYCLE_1)
	s_or_b32 vcc_lo, vcc_lo, s1
	v_cndmask_b32_e32 v1, 0x3ff00000, v1, vcc_lo
	v_dual_cndmask_b32 v0, 0, v0 :: v_dual_cndmask_b32 v3, 0, v3
	v_cndmask_b32_e32 v2, 0, v2, vcc_lo
	s_or_b32 s1, vcc_lo, s0
	s_xor_b32 s4, s1, -1
	s_delay_alu instid0(SALU_CYCLE_1)
	s_and_saveexec_b32 s1, s4
	s_cbranch_execz .LBB65_87
; %bb.84:
	v_mbcnt_lo_u32_b32 v0, exec_lo, 0
	s_mov_b32 s4, exec_lo
	s_delay_alu instid0(VALU_DEP_1)
	v_cmpx_eq_u32_e32 0, v0
	s_cbranch_execz .LBB65_86
; %bb.85:
	v_dual_mov_b32 v0, 0 :: v_dual_mov_b32 v1, s2
	global_atomic_min_i32 v0, v1, s[10:11]
.LBB65_86:
	s_or_b32 exec_lo, exec_lo, s4
	v_mov_b32_e32 v0, 0
	v_dual_mov_b32 v1, 0x3ff00000 :: v_dual_mov_b32 v2, 0
	v_mov_b32_e32 v3, 0
.LBB65_87:
	s_or_b32 exec_lo, exec_lo, s1
	s_delay_alu instid0(SALU_CYCLE_1)
	s_mov_b32 s1, exec_lo
	v_cmpx_lt_u32_e32 1, v15
	s_cbranch_execz .LBB65_89
; %bb.88:
	v_mul_f64 v[4:5], v[2:3], v[2:3]
	v_lshlrev_b32_e32 v29, 7, v15
	s_delay_alu instid0(VALU_DEP_2) | instskip(NEXT) | instid1(VALU_DEP_1)
	v_fma_f64 v[4:5], v[0:1], v[0:1], v[4:5]
	v_div_scale_f64 v[12:13], null, v[4:5], v[4:5], 1.0
	v_div_scale_f64 v[23:24], vcc_lo, 1.0, v[4:5], 1.0
	s_delay_alu instid0(VALU_DEP_2) | instskip(SKIP_2) | instid1(VALU_DEP_1)
	v_rcp_f64_e32 v[8:9], v[12:13]
	s_waitcnt_depctr 0xfff
	v_fma_f64 v[10:11], -v[12:13], v[8:9], 1.0
	v_fma_f64 v[8:9], v[8:9], v[10:11], v[8:9]
	s_delay_alu instid0(VALU_DEP_1) | instskip(NEXT) | instid1(VALU_DEP_1)
	v_fma_f64 v[10:11], -v[12:13], v[8:9], 1.0
	v_fma_f64 v[25:26], v[8:9], v[10:11], v[8:9]
	ds_load_b128 v[8:11], v29 offset:1808
	ds_load_b128 v[19:22], v29 offset:2704
	s_waitcnt lgkmcnt(0)
	v_add_f64 v[10:11], v[10:11], -v[21:22]
	v_add_f64 v[8:9], v[8:9], -v[19:20]
	v_mul_f64 v[27:28], v[23:24], v[25:26]
	s_delay_alu instid0(VALU_DEP_3) | instskip(NEXT) | instid1(VALU_DEP_3)
	v_mul_f64 v[19:20], v[2:3], v[10:11]
	v_mul_f64 v[2:3], v[2:3], -v[8:9]
	s_delay_alu instid0(VALU_DEP_3) | instskip(NEXT) | instid1(VALU_DEP_3)
	v_fma_f64 v[12:13], -v[12:13], v[27:28], v[23:24]
	v_fma_f64 v[8:9], v[8:9], v[0:1], v[19:20]
	s_delay_alu instid0(VALU_DEP_3) | instskip(NEXT) | instid1(VALU_DEP_3)
	v_fma_f64 v[2:3], v[10:11], v[0:1], v[2:3]
	v_div_fmas_f64 v[12:13], v[12:13], v[25:26], v[27:28]
	s_delay_alu instid0(VALU_DEP_1) | instskip(NEXT) | instid1(VALU_DEP_1)
	v_div_fixup_f64 v[4:5], v[12:13], v[4:5], 1.0
	v_mul_f64 v[0:1], v[4:5], v[8:9]
	s_delay_alu instid0(VALU_DEP_4)
	v_mul_f64 v[2:3], v[4:5], v[2:3]
	v_lshlrev_b32_e32 v4, 7, v14
	ds_store_b128 v29, v[0:3] offset:1808
	s_waitcnt lgkmcnt(0)
	s_waitcnt_vscnt null, 0x0
	buffer_gl0_inv
	ds_load_b128 v[8:11], v4 offset:1808
	ds_load_b128 v[19:22], v18
	s_waitcnt lgkmcnt(0)
	v_fma_f64 v[4:5], v[0:1], v[8:9], v[19:20]
	v_fma_f64 v[8:9], v[2:3], v[8:9], v[21:22]
	s_delay_alu instid0(VALU_DEP_2) | instskip(NEXT) | instid1(VALU_DEP_2)
	v_fma_f64 v[2:3], v[2:3], v[10:11], v[4:5]
	v_fma_f64 v[4:5], v[0:1], -v[10:11], v[8:9]
	ds_store_b128 v18, v[2:5]
.LBB65_89:
	s_or_b32 exec_lo, exec_lo, s1
	s_delay_alu instid0(SALU_CYCLE_1)
	s_mov_b32 s4, exec_lo
	s_waitcnt lgkmcnt(0)
	s_waitcnt_vscnt null, 0x0
	buffer_gl0_inv
	v_cmpx_eq_u32_e32 2, v15
	s_cbranch_execz .LBB65_97
; %bb.90:
	v_mov_b32_e32 v4, 0
	ds_load_b128 v[0:3], v4 offset:2976
	ds_load_b128 v[8:11], v4 offset:2080
	s_waitcnt lgkmcnt(0)
	v_add_f64 v[0:1], v[8:9], -v[0:1]
	v_add_f64 v[4:5], v[10:11], -v[2:3]
	s_delay_alu instid0(VALU_DEP_2) | instskip(NEXT) | instid1(VALU_DEP_2)
	v_cmp_gt_f64_e32 vcc_lo, 0, v[0:1]
	v_cmp_gt_f64_e64 s1, 0, v[4:5]
	v_xor_b32_e32 v2, 0x80000000, v1
	v_xor_b32_e32 v3, 0x80000000, v5
	s_delay_alu instid0(VALU_DEP_2) | instskip(NEXT) | instid1(VALU_DEP_2)
	v_cndmask_b32_e32 v1, v1, v2, vcc_lo
	v_cndmask_b32_e64 v3, v5, v3, s1
	v_cndmask_b32_e32 v0, v0, v0, vcc_lo
	v_cndmask_b32_e64 v2, v4, v4, s1
	s_delay_alu instid0(VALU_DEP_1)
	v_cmp_gt_f64_e32 vcc_lo, v[0:1], v[2:3]
	s_cbranch_vccnz .LBB65_94
; %bb.91:
	v_cmp_eq_f64_e32 vcc_lo, 0, v[4:5]
	v_mov_b32_e32 v4, 0
	v_mov_b32_e32 v5, 0
	s_cbranch_vccnz .LBB65_93
; %bb.92:
	v_div_scale_f64 v[4:5], null, v[2:3], v[2:3], v[0:1]
	v_div_scale_f64 v[12:13], vcc_lo, v[0:1], v[2:3], v[0:1]
	s_delay_alu instid0(VALU_DEP_2) | instskip(SKIP_2) | instid1(VALU_DEP_1)
	v_rcp_f64_e32 v[8:9], v[4:5]
	s_waitcnt_depctr 0xfff
	v_fma_f64 v[10:11], -v[4:5], v[8:9], 1.0
	v_fma_f64 v[8:9], v[8:9], v[10:11], v[8:9]
	s_delay_alu instid0(VALU_DEP_1) | instskip(NEXT) | instid1(VALU_DEP_1)
	v_fma_f64 v[10:11], -v[4:5], v[8:9], 1.0
	v_fma_f64 v[8:9], v[8:9], v[10:11], v[8:9]
	s_delay_alu instid0(VALU_DEP_1) | instskip(NEXT) | instid1(VALU_DEP_1)
	v_mul_f64 v[10:11], v[12:13], v[8:9]
	v_fma_f64 v[4:5], -v[4:5], v[10:11], v[12:13]
	s_delay_alu instid0(VALU_DEP_1) | instskip(NEXT) | instid1(VALU_DEP_1)
	v_div_fmas_f64 v[4:5], v[4:5], v[8:9], v[10:11]
	v_div_fixup_f64 v[4:5], v[4:5], v[2:3], v[0:1]
	s_delay_alu instid0(VALU_DEP_1) | instskip(NEXT) | instid1(VALU_DEP_1)
	v_fma_f64 v[4:5], v[4:5], v[4:5], 1.0
	v_cmp_gt_f64_e32 vcc_lo, 0x10000000, v[4:5]
	v_cndmask_b32_e64 v8, 0, 1, vcc_lo
	s_and_b32 s1, vcc_lo, exec_lo
	s_cselect_b32 s1, 0xffffff80, 0
	s_delay_alu instid0(VALU_DEP_1) | instskip(NEXT) | instid1(VALU_DEP_1)
	v_lshlrev_b32_e32 v8, 8, v8
	v_ldexp_f64 v[4:5], v[4:5], v8
	s_delay_alu instid0(VALU_DEP_1) | instskip(SKIP_4) | instid1(VALU_DEP_1)
	v_rsq_f64_e32 v[8:9], v[4:5]
	v_cmp_class_f64_e64 vcc_lo, v[4:5], 0x260
	s_waitcnt_depctr 0xfff
	v_mul_f64 v[10:11], v[4:5], v[8:9]
	v_mul_f64 v[8:9], v[8:9], 0.5
	v_fma_f64 v[12:13], -v[8:9], v[10:11], 0.5
	s_delay_alu instid0(VALU_DEP_1) | instskip(SKIP_1) | instid1(VALU_DEP_2)
	v_fma_f64 v[10:11], v[10:11], v[12:13], v[10:11]
	v_fma_f64 v[8:9], v[8:9], v[12:13], v[8:9]
	v_fma_f64 v[12:13], -v[10:11], v[10:11], v[4:5]
	s_delay_alu instid0(VALU_DEP_1) | instskip(NEXT) | instid1(VALU_DEP_1)
	v_fma_f64 v[10:11], v[12:13], v[8:9], v[10:11]
	v_fma_f64 v[12:13], -v[10:11], v[10:11], v[4:5]
	s_delay_alu instid0(VALU_DEP_1) | instskip(NEXT) | instid1(VALU_DEP_1)
	v_fma_f64 v[8:9], v[12:13], v[8:9], v[10:11]
	v_ldexp_f64 v[8:9], v[8:9], s1
	s_delay_alu instid0(VALU_DEP_1) | instskip(NEXT) | instid1(VALU_DEP_1)
	v_dual_cndmask_b32 v5, v9, v5 :: v_dual_cndmask_b32 v4, v8, v4
	v_mul_f64 v[4:5], v[2:3], v[4:5]
.LBB65_93:
	s_cbranch_execz .LBB65_95
	s_branch .LBB65_96
.LBB65_94:
                                        ; implicit-def: $vgpr4_vgpr5
.LBB65_95:
	v_div_scale_f64 v[4:5], null, v[0:1], v[0:1], v[2:3]
	v_div_scale_f64 v[12:13], vcc_lo, v[2:3], v[0:1], v[2:3]
	s_delay_alu instid0(VALU_DEP_2) | instskip(SKIP_2) | instid1(VALU_DEP_1)
	v_rcp_f64_e32 v[8:9], v[4:5]
	s_waitcnt_depctr 0xfff
	v_fma_f64 v[10:11], -v[4:5], v[8:9], 1.0
	v_fma_f64 v[8:9], v[8:9], v[10:11], v[8:9]
	s_delay_alu instid0(VALU_DEP_1) | instskip(NEXT) | instid1(VALU_DEP_1)
	v_fma_f64 v[10:11], -v[4:5], v[8:9], 1.0
	v_fma_f64 v[8:9], v[8:9], v[10:11], v[8:9]
	s_delay_alu instid0(VALU_DEP_1) | instskip(NEXT) | instid1(VALU_DEP_1)
	v_mul_f64 v[10:11], v[12:13], v[8:9]
	v_fma_f64 v[4:5], -v[4:5], v[10:11], v[12:13]
	s_delay_alu instid0(VALU_DEP_1) | instskip(NEXT) | instid1(VALU_DEP_1)
	v_div_fmas_f64 v[4:5], v[4:5], v[8:9], v[10:11]
	v_div_fixup_f64 v[2:3], v[4:5], v[0:1], v[2:3]
	s_delay_alu instid0(VALU_DEP_1) | instskip(NEXT) | instid1(VALU_DEP_1)
	v_fma_f64 v[2:3], v[2:3], v[2:3], 1.0
	v_cmp_gt_f64_e32 vcc_lo, 0x10000000, v[2:3]
	v_cndmask_b32_e64 v4, 0, 1, vcc_lo
	s_and_b32 s1, vcc_lo, exec_lo
	s_cselect_b32 s1, 0xffffff80, 0
	s_delay_alu instid0(VALU_DEP_1) | instskip(NEXT) | instid1(VALU_DEP_1)
	v_lshlrev_b32_e32 v4, 8, v4
	v_ldexp_f64 v[2:3], v[2:3], v4
	s_delay_alu instid0(VALU_DEP_1) | instskip(SKIP_4) | instid1(VALU_DEP_1)
	v_rsq_f64_e32 v[4:5], v[2:3]
	v_cmp_class_f64_e64 vcc_lo, v[2:3], 0x260
	s_waitcnt_depctr 0xfff
	v_mul_f64 v[8:9], v[2:3], v[4:5]
	v_mul_f64 v[4:5], v[4:5], 0.5
	v_fma_f64 v[10:11], -v[4:5], v[8:9], 0.5
	s_delay_alu instid0(VALU_DEP_1) | instskip(SKIP_1) | instid1(VALU_DEP_2)
	v_fma_f64 v[8:9], v[8:9], v[10:11], v[8:9]
	v_fma_f64 v[4:5], v[4:5], v[10:11], v[4:5]
	v_fma_f64 v[10:11], -v[8:9], v[8:9], v[2:3]
	s_delay_alu instid0(VALU_DEP_1) | instskip(NEXT) | instid1(VALU_DEP_1)
	v_fma_f64 v[8:9], v[10:11], v[4:5], v[8:9]
	v_fma_f64 v[10:11], -v[8:9], v[8:9], v[2:3]
	s_delay_alu instid0(VALU_DEP_1) | instskip(NEXT) | instid1(VALU_DEP_1)
	v_fma_f64 v[4:5], v[10:11], v[4:5], v[8:9]
	v_ldexp_f64 v[4:5], v[4:5], s1
	s_delay_alu instid0(VALU_DEP_1) | instskip(NEXT) | instid1(VALU_DEP_1)
	v_dual_cndmask_b32 v3, v5, v3 :: v_dual_cndmask_b32 v2, v4, v2
	v_mul_f64 v[4:5], v[0:1], v[2:3]
.LBB65_96:
	s_delay_alu instid0(VALU_DEP_1) | instskip(SKIP_3) | instid1(VALU_DEP_1)
	v_cmp_gt_f64_e32 vcc_lo, 0x10000000, v[4:5]
	v_cndmask_b32_e64 v0, 0, 1, vcc_lo
	s_and_b32 s1, vcc_lo, exec_lo
	s_cselect_b32 s1, 0xffffff80, 0
	v_lshlrev_b32_e32 v0, 8, v0
	s_delay_alu instid0(VALU_DEP_1) | instskip(NEXT) | instid1(VALU_DEP_1)
	v_ldexp_f64 v[0:1], v[4:5], v0
	v_rsq_f64_e32 v[2:3], v[0:1]
	v_cmp_class_f64_e64 vcc_lo, v[0:1], 0x260
	s_waitcnt_depctr 0xfff
	v_mul_f64 v[4:5], v[0:1], v[2:3]
	v_mul_f64 v[2:3], v[2:3], 0.5
	s_delay_alu instid0(VALU_DEP_1) | instskip(NEXT) | instid1(VALU_DEP_1)
	v_fma_f64 v[8:9], -v[2:3], v[4:5], 0.5
	v_fma_f64 v[4:5], v[4:5], v[8:9], v[4:5]
	v_fma_f64 v[2:3], v[2:3], v[8:9], v[2:3]
	s_delay_alu instid0(VALU_DEP_2) | instskip(NEXT) | instid1(VALU_DEP_1)
	v_fma_f64 v[8:9], -v[4:5], v[4:5], v[0:1]
	v_fma_f64 v[4:5], v[8:9], v[2:3], v[4:5]
	s_delay_alu instid0(VALU_DEP_1) | instskip(NEXT) | instid1(VALU_DEP_1)
	v_fma_f64 v[8:9], -v[4:5], v[4:5], v[0:1]
	v_fma_f64 v[2:3], v[8:9], v[2:3], v[4:5]
	s_delay_alu instid0(VALU_DEP_1) | instskip(NEXT) | instid1(VALU_DEP_1)
	v_ldexp_f64 v[3:4], v[2:3], s1
	v_dual_mov_b32 v2, 0 :: v_dual_cndmask_b32 v1, v4, v1
	s_delay_alu instid0(VALU_DEP_1)
	v_dual_cndmask_b32 v0, v3, v0 :: v_dual_mov_b32 v3, v2
	ds_store_b128 v2, v[0:3] offset:2080
.LBB65_97:
	s_or_b32 exec_lo, exec_lo, s4
	v_mov_b32_e32 v0, 0
	s_waitcnt lgkmcnt(0)
	buffer_gl0_inv
	ds_load_b128 v[0:3], v0 offset:2080
	s_waitcnt lgkmcnt(0)
	v_cmp_neq_f64_e32 vcc_lo, 0, v[0:1]
	v_cmp_neq_f64_e64 s1, 0, v[2:3]
	s_delay_alu instid0(VALU_DEP_1) | instskip(SKIP_4) | instid1(SALU_CYCLE_1)
	s_or_b32 vcc_lo, vcc_lo, s1
	v_cndmask_b32_e32 v1, 0x3ff00000, v1, vcc_lo
	v_dual_cndmask_b32 v0, 0, v0 :: v_dual_cndmask_b32 v3, 0, v3
	v_cndmask_b32_e32 v2, 0, v2, vcc_lo
	s_or_b32 s1, vcc_lo, s0
	s_xor_b32 s4, s1, -1
	s_delay_alu instid0(SALU_CYCLE_1)
	s_and_saveexec_b32 s1, s4
	s_cbranch_execz .LBB65_101
; %bb.98:
	v_mbcnt_lo_u32_b32 v0, exec_lo, 0
	s_mov_b32 s4, exec_lo
	s_delay_alu instid0(VALU_DEP_1)
	v_cmpx_eq_u32_e32 0, v0
	s_cbranch_execz .LBB65_100
; %bb.99:
	v_dual_mov_b32 v0, 0 :: v_dual_mov_b32 v1, s2
	global_atomic_min_i32 v0, v1, s[10:11]
.LBB65_100:
	s_or_b32 exec_lo, exec_lo, s4
	v_mov_b32_e32 v0, 0
	v_dual_mov_b32 v1, 0x3ff00000 :: v_dual_mov_b32 v2, 0
	v_mov_b32_e32 v3, 0
.LBB65_101:
	s_or_b32 exec_lo, exec_lo, s1
	s_delay_alu instid0(SALU_CYCLE_1)
	s_mov_b32 s1, exec_lo
	v_cmpx_lt_u32_e32 2, v15
	s_cbranch_execz .LBB65_103
; %bb.102:
	v_mul_f64 v[4:5], v[2:3], v[2:3]
	v_lshlrev_b32_e32 v29, 7, v15
	s_delay_alu instid0(VALU_DEP_2) | instskip(NEXT) | instid1(VALU_DEP_1)
	v_fma_f64 v[4:5], v[0:1], v[0:1], v[4:5]
	v_div_scale_f64 v[12:13], null, v[4:5], v[4:5], 1.0
	v_div_scale_f64 v[23:24], vcc_lo, 1.0, v[4:5], 1.0
	s_delay_alu instid0(VALU_DEP_2) | instskip(SKIP_2) | instid1(VALU_DEP_1)
	v_rcp_f64_e32 v[8:9], v[12:13]
	s_waitcnt_depctr 0xfff
	v_fma_f64 v[10:11], -v[12:13], v[8:9], 1.0
	v_fma_f64 v[8:9], v[8:9], v[10:11], v[8:9]
	s_delay_alu instid0(VALU_DEP_1) | instskip(NEXT) | instid1(VALU_DEP_1)
	v_fma_f64 v[10:11], -v[12:13], v[8:9], 1.0
	v_fma_f64 v[25:26], v[8:9], v[10:11], v[8:9]
	ds_load_b128 v[8:11], v29 offset:1824
	ds_load_b128 v[19:22], v29 offset:2720
	s_waitcnt lgkmcnt(0)
	v_add_f64 v[10:11], v[10:11], -v[21:22]
	v_add_f64 v[8:9], v[8:9], -v[19:20]
	v_mul_f64 v[27:28], v[23:24], v[25:26]
	s_delay_alu instid0(VALU_DEP_3) | instskip(NEXT) | instid1(VALU_DEP_3)
	v_mul_f64 v[19:20], v[2:3], v[10:11]
	v_mul_f64 v[2:3], v[2:3], -v[8:9]
	s_delay_alu instid0(VALU_DEP_3) | instskip(NEXT) | instid1(VALU_DEP_3)
	v_fma_f64 v[12:13], -v[12:13], v[27:28], v[23:24]
	v_fma_f64 v[8:9], v[8:9], v[0:1], v[19:20]
	s_delay_alu instid0(VALU_DEP_3) | instskip(NEXT) | instid1(VALU_DEP_3)
	v_fma_f64 v[2:3], v[10:11], v[0:1], v[2:3]
	v_div_fmas_f64 v[12:13], v[12:13], v[25:26], v[27:28]
	s_delay_alu instid0(VALU_DEP_1) | instskip(NEXT) | instid1(VALU_DEP_1)
	v_div_fixup_f64 v[4:5], v[12:13], v[4:5], 1.0
	v_mul_f64 v[0:1], v[4:5], v[8:9]
	s_delay_alu instid0(VALU_DEP_4)
	v_mul_f64 v[2:3], v[4:5], v[2:3]
	v_lshlrev_b32_e32 v4, 7, v14
	ds_store_b128 v29, v[0:3] offset:1824
	s_waitcnt lgkmcnt(0)
	s_waitcnt_vscnt null, 0x0
	buffer_gl0_inv
	ds_load_b128 v[8:11], v4 offset:1824
	ds_load_b128 v[19:22], v18
	s_waitcnt lgkmcnt(0)
	v_fma_f64 v[4:5], v[0:1], v[8:9], v[19:20]
	v_fma_f64 v[8:9], v[2:3], v[8:9], v[21:22]
	s_delay_alu instid0(VALU_DEP_2) | instskip(NEXT) | instid1(VALU_DEP_2)
	v_fma_f64 v[2:3], v[2:3], v[10:11], v[4:5]
	v_fma_f64 v[4:5], v[0:1], -v[10:11], v[8:9]
	ds_store_b128 v18, v[2:5]
.LBB65_103:
	s_or_b32 exec_lo, exec_lo, s1
	s_delay_alu instid0(SALU_CYCLE_1)
	s_mov_b32 s4, exec_lo
	s_waitcnt lgkmcnt(0)
	s_waitcnt_vscnt null, 0x0
	buffer_gl0_inv
	v_cmpx_eq_u32_e32 3, v15
	s_cbranch_execz .LBB65_111
; %bb.104:
	v_mov_b32_e32 v4, 0
	ds_load_b128 v[0:3], v4 offset:3120
	ds_load_b128 v[8:11], v4 offset:2224
	s_waitcnt lgkmcnt(0)
	v_add_f64 v[0:1], v[8:9], -v[0:1]
	v_add_f64 v[4:5], v[10:11], -v[2:3]
	s_delay_alu instid0(VALU_DEP_2) | instskip(NEXT) | instid1(VALU_DEP_2)
	v_cmp_gt_f64_e32 vcc_lo, 0, v[0:1]
	v_cmp_gt_f64_e64 s1, 0, v[4:5]
	v_xor_b32_e32 v2, 0x80000000, v1
	v_xor_b32_e32 v3, 0x80000000, v5
	s_delay_alu instid0(VALU_DEP_2) | instskip(NEXT) | instid1(VALU_DEP_2)
	v_cndmask_b32_e32 v1, v1, v2, vcc_lo
	v_cndmask_b32_e64 v3, v5, v3, s1
	v_cndmask_b32_e32 v0, v0, v0, vcc_lo
	v_cndmask_b32_e64 v2, v4, v4, s1
	s_delay_alu instid0(VALU_DEP_1)
	v_cmp_gt_f64_e32 vcc_lo, v[0:1], v[2:3]
	s_cbranch_vccnz .LBB65_108
; %bb.105:
	v_cmp_eq_f64_e32 vcc_lo, 0, v[4:5]
	v_mov_b32_e32 v4, 0
	v_mov_b32_e32 v5, 0
	s_cbranch_vccnz .LBB65_107
; %bb.106:
	v_div_scale_f64 v[4:5], null, v[2:3], v[2:3], v[0:1]
	v_div_scale_f64 v[12:13], vcc_lo, v[0:1], v[2:3], v[0:1]
	s_delay_alu instid0(VALU_DEP_2) | instskip(SKIP_2) | instid1(VALU_DEP_1)
	v_rcp_f64_e32 v[8:9], v[4:5]
	s_waitcnt_depctr 0xfff
	v_fma_f64 v[10:11], -v[4:5], v[8:9], 1.0
	v_fma_f64 v[8:9], v[8:9], v[10:11], v[8:9]
	s_delay_alu instid0(VALU_DEP_1) | instskip(NEXT) | instid1(VALU_DEP_1)
	v_fma_f64 v[10:11], -v[4:5], v[8:9], 1.0
	v_fma_f64 v[8:9], v[8:9], v[10:11], v[8:9]
	s_delay_alu instid0(VALU_DEP_1) | instskip(NEXT) | instid1(VALU_DEP_1)
	v_mul_f64 v[10:11], v[12:13], v[8:9]
	v_fma_f64 v[4:5], -v[4:5], v[10:11], v[12:13]
	s_delay_alu instid0(VALU_DEP_1) | instskip(NEXT) | instid1(VALU_DEP_1)
	v_div_fmas_f64 v[4:5], v[4:5], v[8:9], v[10:11]
	v_div_fixup_f64 v[4:5], v[4:5], v[2:3], v[0:1]
	s_delay_alu instid0(VALU_DEP_1) | instskip(NEXT) | instid1(VALU_DEP_1)
	v_fma_f64 v[4:5], v[4:5], v[4:5], 1.0
	v_cmp_gt_f64_e32 vcc_lo, 0x10000000, v[4:5]
	v_cndmask_b32_e64 v8, 0, 1, vcc_lo
	s_and_b32 s1, vcc_lo, exec_lo
	s_cselect_b32 s1, 0xffffff80, 0
	s_delay_alu instid0(VALU_DEP_1) | instskip(NEXT) | instid1(VALU_DEP_1)
	v_lshlrev_b32_e32 v8, 8, v8
	v_ldexp_f64 v[4:5], v[4:5], v8
	s_delay_alu instid0(VALU_DEP_1) | instskip(SKIP_4) | instid1(VALU_DEP_1)
	v_rsq_f64_e32 v[8:9], v[4:5]
	v_cmp_class_f64_e64 vcc_lo, v[4:5], 0x260
	s_waitcnt_depctr 0xfff
	v_mul_f64 v[10:11], v[4:5], v[8:9]
	v_mul_f64 v[8:9], v[8:9], 0.5
	v_fma_f64 v[12:13], -v[8:9], v[10:11], 0.5
	s_delay_alu instid0(VALU_DEP_1) | instskip(SKIP_1) | instid1(VALU_DEP_2)
	v_fma_f64 v[10:11], v[10:11], v[12:13], v[10:11]
	v_fma_f64 v[8:9], v[8:9], v[12:13], v[8:9]
	v_fma_f64 v[12:13], -v[10:11], v[10:11], v[4:5]
	s_delay_alu instid0(VALU_DEP_1) | instskip(NEXT) | instid1(VALU_DEP_1)
	v_fma_f64 v[10:11], v[12:13], v[8:9], v[10:11]
	v_fma_f64 v[12:13], -v[10:11], v[10:11], v[4:5]
	s_delay_alu instid0(VALU_DEP_1) | instskip(NEXT) | instid1(VALU_DEP_1)
	v_fma_f64 v[8:9], v[12:13], v[8:9], v[10:11]
	v_ldexp_f64 v[8:9], v[8:9], s1
	s_delay_alu instid0(VALU_DEP_1) | instskip(NEXT) | instid1(VALU_DEP_1)
	v_dual_cndmask_b32 v5, v9, v5 :: v_dual_cndmask_b32 v4, v8, v4
	v_mul_f64 v[4:5], v[2:3], v[4:5]
.LBB65_107:
	s_cbranch_execz .LBB65_109
	s_branch .LBB65_110
.LBB65_108:
                                        ; implicit-def: $vgpr4_vgpr5
.LBB65_109:
	v_div_scale_f64 v[4:5], null, v[0:1], v[0:1], v[2:3]
	v_div_scale_f64 v[12:13], vcc_lo, v[2:3], v[0:1], v[2:3]
	s_delay_alu instid0(VALU_DEP_2) | instskip(SKIP_2) | instid1(VALU_DEP_1)
	v_rcp_f64_e32 v[8:9], v[4:5]
	s_waitcnt_depctr 0xfff
	v_fma_f64 v[10:11], -v[4:5], v[8:9], 1.0
	v_fma_f64 v[8:9], v[8:9], v[10:11], v[8:9]
	s_delay_alu instid0(VALU_DEP_1) | instskip(NEXT) | instid1(VALU_DEP_1)
	v_fma_f64 v[10:11], -v[4:5], v[8:9], 1.0
	v_fma_f64 v[8:9], v[8:9], v[10:11], v[8:9]
	s_delay_alu instid0(VALU_DEP_1) | instskip(NEXT) | instid1(VALU_DEP_1)
	v_mul_f64 v[10:11], v[12:13], v[8:9]
	v_fma_f64 v[4:5], -v[4:5], v[10:11], v[12:13]
	s_delay_alu instid0(VALU_DEP_1) | instskip(NEXT) | instid1(VALU_DEP_1)
	v_div_fmas_f64 v[4:5], v[4:5], v[8:9], v[10:11]
	v_div_fixup_f64 v[2:3], v[4:5], v[0:1], v[2:3]
	s_delay_alu instid0(VALU_DEP_1) | instskip(NEXT) | instid1(VALU_DEP_1)
	v_fma_f64 v[2:3], v[2:3], v[2:3], 1.0
	v_cmp_gt_f64_e32 vcc_lo, 0x10000000, v[2:3]
	v_cndmask_b32_e64 v4, 0, 1, vcc_lo
	s_and_b32 s1, vcc_lo, exec_lo
	s_cselect_b32 s1, 0xffffff80, 0
	s_delay_alu instid0(VALU_DEP_1) | instskip(NEXT) | instid1(VALU_DEP_1)
	v_lshlrev_b32_e32 v4, 8, v4
	v_ldexp_f64 v[2:3], v[2:3], v4
	s_delay_alu instid0(VALU_DEP_1) | instskip(SKIP_4) | instid1(VALU_DEP_1)
	v_rsq_f64_e32 v[4:5], v[2:3]
	v_cmp_class_f64_e64 vcc_lo, v[2:3], 0x260
	s_waitcnt_depctr 0xfff
	v_mul_f64 v[8:9], v[2:3], v[4:5]
	v_mul_f64 v[4:5], v[4:5], 0.5
	v_fma_f64 v[10:11], -v[4:5], v[8:9], 0.5
	s_delay_alu instid0(VALU_DEP_1) | instskip(SKIP_1) | instid1(VALU_DEP_2)
	v_fma_f64 v[8:9], v[8:9], v[10:11], v[8:9]
	v_fma_f64 v[4:5], v[4:5], v[10:11], v[4:5]
	v_fma_f64 v[10:11], -v[8:9], v[8:9], v[2:3]
	s_delay_alu instid0(VALU_DEP_1) | instskip(NEXT) | instid1(VALU_DEP_1)
	v_fma_f64 v[8:9], v[10:11], v[4:5], v[8:9]
	v_fma_f64 v[10:11], -v[8:9], v[8:9], v[2:3]
	s_delay_alu instid0(VALU_DEP_1) | instskip(NEXT) | instid1(VALU_DEP_1)
	v_fma_f64 v[4:5], v[10:11], v[4:5], v[8:9]
	v_ldexp_f64 v[4:5], v[4:5], s1
	s_delay_alu instid0(VALU_DEP_1) | instskip(NEXT) | instid1(VALU_DEP_1)
	v_dual_cndmask_b32 v3, v5, v3 :: v_dual_cndmask_b32 v2, v4, v2
	v_mul_f64 v[4:5], v[0:1], v[2:3]
.LBB65_110:
	s_delay_alu instid0(VALU_DEP_1) | instskip(SKIP_3) | instid1(VALU_DEP_1)
	v_cmp_gt_f64_e32 vcc_lo, 0x10000000, v[4:5]
	v_cndmask_b32_e64 v0, 0, 1, vcc_lo
	s_and_b32 s1, vcc_lo, exec_lo
	s_cselect_b32 s1, 0xffffff80, 0
	v_lshlrev_b32_e32 v0, 8, v0
	s_delay_alu instid0(VALU_DEP_1) | instskip(NEXT) | instid1(VALU_DEP_1)
	v_ldexp_f64 v[0:1], v[4:5], v0
	v_rsq_f64_e32 v[2:3], v[0:1]
	v_cmp_class_f64_e64 vcc_lo, v[0:1], 0x260
	s_waitcnt_depctr 0xfff
	v_mul_f64 v[4:5], v[0:1], v[2:3]
	v_mul_f64 v[2:3], v[2:3], 0.5
	s_delay_alu instid0(VALU_DEP_1) | instskip(NEXT) | instid1(VALU_DEP_1)
	v_fma_f64 v[8:9], -v[2:3], v[4:5], 0.5
	v_fma_f64 v[4:5], v[4:5], v[8:9], v[4:5]
	v_fma_f64 v[2:3], v[2:3], v[8:9], v[2:3]
	s_delay_alu instid0(VALU_DEP_2) | instskip(NEXT) | instid1(VALU_DEP_1)
	v_fma_f64 v[8:9], -v[4:5], v[4:5], v[0:1]
	v_fma_f64 v[4:5], v[8:9], v[2:3], v[4:5]
	s_delay_alu instid0(VALU_DEP_1) | instskip(NEXT) | instid1(VALU_DEP_1)
	v_fma_f64 v[8:9], -v[4:5], v[4:5], v[0:1]
	v_fma_f64 v[2:3], v[8:9], v[2:3], v[4:5]
	s_delay_alu instid0(VALU_DEP_1) | instskip(NEXT) | instid1(VALU_DEP_1)
	v_ldexp_f64 v[3:4], v[2:3], s1
	v_dual_mov_b32 v2, 0 :: v_dual_cndmask_b32 v1, v4, v1
	s_delay_alu instid0(VALU_DEP_1)
	v_dual_cndmask_b32 v0, v3, v0 :: v_dual_mov_b32 v3, v2
	ds_store_b128 v2, v[0:3] offset:2224
.LBB65_111:
	s_or_b32 exec_lo, exec_lo, s4
	v_mov_b32_e32 v0, 0
	s_waitcnt lgkmcnt(0)
	buffer_gl0_inv
	ds_load_b128 v[0:3], v0 offset:2224
	s_waitcnt lgkmcnt(0)
	v_cmp_neq_f64_e32 vcc_lo, 0, v[0:1]
	v_cmp_neq_f64_e64 s1, 0, v[2:3]
	s_delay_alu instid0(VALU_DEP_1) | instskip(SKIP_4) | instid1(SALU_CYCLE_1)
	s_or_b32 vcc_lo, vcc_lo, s1
	v_cndmask_b32_e32 v1, 0x3ff00000, v1, vcc_lo
	v_dual_cndmask_b32 v0, 0, v0 :: v_dual_cndmask_b32 v3, 0, v3
	v_cndmask_b32_e32 v2, 0, v2, vcc_lo
	s_or_b32 s1, vcc_lo, s0
	s_xor_b32 s4, s1, -1
	s_delay_alu instid0(SALU_CYCLE_1)
	s_and_saveexec_b32 s1, s4
	s_cbranch_execz .LBB65_115
; %bb.112:
	v_mbcnt_lo_u32_b32 v0, exec_lo, 0
	s_mov_b32 s4, exec_lo
	s_delay_alu instid0(VALU_DEP_1)
	v_cmpx_eq_u32_e32 0, v0
	s_cbranch_execz .LBB65_114
; %bb.113:
	v_dual_mov_b32 v0, 0 :: v_dual_mov_b32 v1, s2
	global_atomic_min_i32 v0, v1, s[10:11]
.LBB65_114:
	s_or_b32 exec_lo, exec_lo, s4
	v_mov_b32_e32 v0, 0
	v_dual_mov_b32 v1, 0x3ff00000 :: v_dual_mov_b32 v2, 0
	v_mov_b32_e32 v3, 0
.LBB65_115:
	s_or_b32 exec_lo, exec_lo, s1
	s_delay_alu instid0(SALU_CYCLE_1)
	s_mov_b32 s1, exec_lo
	v_cmpx_lt_u32_e32 3, v15
	s_cbranch_execz .LBB65_117
; %bb.116:
	v_mul_f64 v[4:5], v[2:3], v[2:3]
	v_lshlrev_b32_e32 v29, 7, v15
	s_delay_alu instid0(VALU_DEP_2) | instskip(NEXT) | instid1(VALU_DEP_1)
	v_fma_f64 v[4:5], v[0:1], v[0:1], v[4:5]
	v_div_scale_f64 v[12:13], null, v[4:5], v[4:5], 1.0
	v_div_scale_f64 v[23:24], vcc_lo, 1.0, v[4:5], 1.0
	s_delay_alu instid0(VALU_DEP_2) | instskip(SKIP_2) | instid1(VALU_DEP_1)
	v_rcp_f64_e32 v[8:9], v[12:13]
	s_waitcnt_depctr 0xfff
	v_fma_f64 v[10:11], -v[12:13], v[8:9], 1.0
	v_fma_f64 v[8:9], v[8:9], v[10:11], v[8:9]
	s_delay_alu instid0(VALU_DEP_1) | instskip(NEXT) | instid1(VALU_DEP_1)
	v_fma_f64 v[10:11], -v[12:13], v[8:9], 1.0
	v_fma_f64 v[25:26], v[8:9], v[10:11], v[8:9]
	ds_load_b128 v[8:11], v29 offset:1840
	ds_load_b128 v[19:22], v29 offset:2736
	s_waitcnt lgkmcnt(0)
	v_add_f64 v[10:11], v[10:11], -v[21:22]
	v_add_f64 v[8:9], v[8:9], -v[19:20]
	v_mul_f64 v[27:28], v[23:24], v[25:26]
	s_delay_alu instid0(VALU_DEP_3) | instskip(NEXT) | instid1(VALU_DEP_3)
	v_mul_f64 v[19:20], v[2:3], v[10:11]
	v_mul_f64 v[2:3], v[2:3], -v[8:9]
	s_delay_alu instid0(VALU_DEP_3) | instskip(NEXT) | instid1(VALU_DEP_3)
	v_fma_f64 v[12:13], -v[12:13], v[27:28], v[23:24]
	v_fma_f64 v[8:9], v[8:9], v[0:1], v[19:20]
	s_delay_alu instid0(VALU_DEP_3) | instskip(NEXT) | instid1(VALU_DEP_3)
	v_fma_f64 v[2:3], v[10:11], v[0:1], v[2:3]
	v_div_fmas_f64 v[12:13], v[12:13], v[25:26], v[27:28]
	s_delay_alu instid0(VALU_DEP_1) | instskip(NEXT) | instid1(VALU_DEP_1)
	v_div_fixup_f64 v[4:5], v[12:13], v[4:5], 1.0
	v_mul_f64 v[0:1], v[4:5], v[8:9]
	s_delay_alu instid0(VALU_DEP_4)
	v_mul_f64 v[2:3], v[4:5], v[2:3]
	v_lshlrev_b32_e32 v4, 7, v14
	ds_store_b128 v29, v[0:3] offset:1840
	s_waitcnt lgkmcnt(0)
	s_waitcnt_vscnt null, 0x0
	buffer_gl0_inv
	ds_load_b128 v[8:11], v4 offset:1840
	ds_load_b128 v[19:22], v18
	s_waitcnt lgkmcnt(0)
	v_fma_f64 v[4:5], v[0:1], v[8:9], v[19:20]
	v_fma_f64 v[8:9], v[2:3], v[8:9], v[21:22]
	s_delay_alu instid0(VALU_DEP_2) | instskip(NEXT) | instid1(VALU_DEP_2)
	v_fma_f64 v[2:3], v[2:3], v[10:11], v[4:5]
	v_fma_f64 v[4:5], v[0:1], -v[10:11], v[8:9]
	ds_store_b128 v18, v[2:5]
.LBB65_117:
	s_or_b32 exec_lo, exec_lo, s1
	s_delay_alu instid0(SALU_CYCLE_1)
	s_mov_b32 s4, exec_lo
	s_waitcnt lgkmcnt(0)
	s_waitcnt_vscnt null, 0x0
	buffer_gl0_inv
	v_cmpx_eq_u32_e32 4, v15
	s_cbranch_execz .LBB65_125
; %bb.118:
	v_mov_b32_e32 v4, 0
	ds_load_b128 v[0:3], v4 offset:3264
	ds_load_b128 v[8:11], v4 offset:2368
	s_waitcnt lgkmcnt(0)
	v_add_f64 v[0:1], v[8:9], -v[0:1]
	v_add_f64 v[4:5], v[10:11], -v[2:3]
	s_delay_alu instid0(VALU_DEP_2) | instskip(NEXT) | instid1(VALU_DEP_2)
	v_cmp_gt_f64_e32 vcc_lo, 0, v[0:1]
	v_cmp_gt_f64_e64 s1, 0, v[4:5]
	v_xor_b32_e32 v2, 0x80000000, v1
	v_xor_b32_e32 v3, 0x80000000, v5
	s_delay_alu instid0(VALU_DEP_2) | instskip(NEXT) | instid1(VALU_DEP_2)
	v_cndmask_b32_e32 v1, v1, v2, vcc_lo
	v_cndmask_b32_e64 v3, v5, v3, s1
	v_cndmask_b32_e32 v0, v0, v0, vcc_lo
	v_cndmask_b32_e64 v2, v4, v4, s1
	s_delay_alu instid0(VALU_DEP_1)
	v_cmp_gt_f64_e32 vcc_lo, v[0:1], v[2:3]
	s_cbranch_vccnz .LBB65_122
; %bb.119:
	v_cmp_eq_f64_e32 vcc_lo, 0, v[4:5]
	v_mov_b32_e32 v4, 0
	v_mov_b32_e32 v5, 0
	s_cbranch_vccnz .LBB65_121
; %bb.120:
	v_div_scale_f64 v[4:5], null, v[2:3], v[2:3], v[0:1]
	v_div_scale_f64 v[12:13], vcc_lo, v[0:1], v[2:3], v[0:1]
	s_delay_alu instid0(VALU_DEP_2) | instskip(SKIP_2) | instid1(VALU_DEP_1)
	v_rcp_f64_e32 v[8:9], v[4:5]
	s_waitcnt_depctr 0xfff
	v_fma_f64 v[10:11], -v[4:5], v[8:9], 1.0
	v_fma_f64 v[8:9], v[8:9], v[10:11], v[8:9]
	s_delay_alu instid0(VALU_DEP_1) | instskip(NEXT) | instid1(VALU_DEP_1)
	v_fma_f64 v[10:11], -v[4:5], v[8:9], 1.0
	v_fma_f64 v[8:9], v[8:9], v[10:11], v[8:9]
	s_delay_alu instid0(VALU_DEP_1) | instskip(NEXT) | instid1(VALU_DEP_1)
	v_mul_f64 v[10:11], v[12:13], v[8:9]
	v_fma_f64 v[4:5], -v[4:5], v[10:11], v[12:13]
	s_delay_alu instid0(VALU_DEP_1) | instskip(NEXT) | instid1(VALU_DEP_1)
	v_div_fmas_f64 v[4:5], v[4:5], v[8:9], v[10:11]
	v_div_fixup_f64 v[4:5], v[4:5], v[2:3], v[0:1]
	s_delay_alu instid0(VALU_DEP_1) | instskip(NEXT) | instid1(VALU_DEP_1)
	v_fma_f64 v[4:5], v[4:5], v[4:5], 1.0
	v_cmp_gt_f64_e32 vcc_lo, 0x10000000, v[4:5]
	v_cndmask_b32_e64 v8, 0, 1, vcc_lo
	s_and_b32 s1, vcc_lo, exec_lo
	s_cselect_b32 s1, 0xffffff80, 0
	s_delay_alu instid0(VALU_DEP_1) | instskip(NEXT) | instid1(VALU_DEP_1)
	v_lshlrev_b32_e32 v8, 8, v8
	v_ldexp_f64 v[4:5], v[4:5], v8
	s_delay_alu instid0(VALU_DEP_1) | instskip(SKIP_4) | instid1(VALU_DEP_1)
	v_rsq_f64_e32 v[8:9], v[4:5]
	v_cmp_class_f64_e64 vcc_lo, v[4:5], 0x260
	s_waitcnt_depctr 0xfff
	v_mul_f64 v[10:11], v[4:5], v[8:9]
	v_mul_f64 v[8:9], v[8:9], 0.5
	v_fma_f64 v[12:13], -v[8:9], v[10:11], 0.5
	s_delay_alu instid0(VALU_DEP_1) | instskip(SKIP_1) | instid1(VALU_DEP_2)
	v_fma_f64 v[10:11], v[10:11], v[12:13], v[10:11]
	v_fma_f64 v[8:9], v[8:9], v[12:13], v[8:9]
	v_fma_f64 v[12:13], -v[10:11], v[10:11], v[4:5]
	s_delay_alu instid0(VALU_DEP_1) | instskip(NEXT) | instid1(VALU_DEP_1)
	v_fma_f64 v[10:11], v[12:13], v[8:9], v[10:11]
	v_fma_f64 v[12:13], -v[10:11], v[10:11], v[4:5]
	s_delay_alu instid0(VALU_DEP_1) | instskip(NEXT) | instid1(VALU_DEP_1)
	v_fma_f64 v[8:9], v[12:13], v[8:9], v[10:11]
	v_ldexp_f64 v[8:9], v[8:9], s1
	s_delay_alu instid0(VALU_DEP_1) | instskip(NEXT) | instid1(VALU_DEP_1)
	v_dual_cndmask_b32 v5, v9, v5 :: v_dual_cndmask_b32 v4, v8, v4
	v_mul_f64 v[4:5], v[2:3], v[4:5]
.LBB65_121:
	s_cbranch_execz .LBB65_123
	s_branch .LBB65_124
.LBB65_122:
                                        ; implicit-def: $vgpr4_vgpr5
.LBB65_123:
	v_div_scale_f64 v[4:5], null, v[0:1], v[0:1], v[2:3]
	v_div_scale_f64 v[12:13], vcc_lo, v[2:3], v[0:1], v[2:3]
	s_delay_alu instid0(VALU_DEP_2) | instskip(SKIP_2) | instid1(VALU_DEP_1)
	v_rcp_f64_e32 v[8:9], v[4:5]
	s_waitcnt_depctr 0xfff
	v_fma_f64 v[10:11], -v[4:5], v[8:9], 1.0
	v_fma_f64 v[8:9], v[8:9], v[10:11], v[8:9]
	s_delay_alu instid0(VALU_DEP_1) | instskip(NEXT) | instid1(VALU_DEP_1)
	v_fma_f64 v[10:11], -v[4:5], v[8:9], 1.0
	v_fma_f64 v[8:9], v[8:9], v[10:11], v[8:9]
	s_delay_alu instid0(VALU_DEP_1) | instskip(NEXT) | instid1(VALU_DEP_1)
	v_mul_f64 v[10:11], v[12:13], v[8:9]
	v_fma_f64 v[4:5], -v[4:5], v[10:11], v[12:13]
	s_delay_alu instid0(VALU_DEP_1) | instskip(NEXT) | instid1(VALU_DEP_1)
	v_div_fmas_f64 v[4:5], v[4:5], v[8:9], v[10:11]
	v_div_fixup_f64 v[2:3], v[4:5], v[0:1], v[2:3]
	s_delay_alu instid0(VALU_DEP_1) | instskip(NEXT) | instid1(VALU_DEP_1)
	v_fma_f64 v[2:3], v[2:3], v[2:3], 1.0
	v_cmp_gt_f64_e32 vcc_lo, 0x10000000, v[2:3]
	v_cndmask_b32_e64 v4, 0, 1, vcc_lo
	s_and_b32 s1, vcc_lo, exec_lo
	s_cselect_b32 s1, 0xffffff80, 0
	s_delay_alu instid0(VALU_DEP_1) | instskip(NEXT) | instid1(VALU_DEP_1)
	v_lshlrev_b32_e32 v4, 8, v4
	v_ldexp_f64 v[2:3], v[2:3], v4
	s_delay_alu instid0(VALU_DEP_1) | instskip(SKIP_4) | instid1(VALU_DEP_1)
	v_rsq_f64_e32 v[4:5], v[2:3]
	v_cmp_class_f64_e64 vcc_lo, v[2:3], 0x260
	s_waitcnt_depctr 0xfff
	v_mul_f64 v[8:9], v[2:3], v[4:5]
	v_mul_f64 v[4:5], v[4:5], 0.5
	v_fma_f64 v[10:11], -v[4:5], v[8:9], 0.5
	s_delay_alu instid0(VALU_DEP_1) | instskip(SKIP_1) | instid1(VALU_DEP_2)
	v_fma_f64 v[8:9], v[8:9], v[10:11], v[8:9]
	v_fma_f64 v[4:5], v[4:5], v[10:11], v[4:5]
	v_fma_f64 v[10:11], -v[8:9], v[8:9], v[2:3]
	s_delay_alu instid0(VALU_DEP_1) | instskip(NEXT) | instid1(VALU_DEP_1)
	v_fma_f64 v[8:9], v[10:11], v[4:5], v[8:9]
	v_fma_f64 v[10:11], -v[8:9], v[8:9], v[2:3]
	s_delay_alu instid0(VALU_DEP_1) | instskip(NEXT) | instid1(VALU_DEP_1)
	v_fma_f64 v[4:5], v[10:11], v[4:5], v[8:9]
	v_ldexp_f64 v[4:5], v[4:5], s1
	s_delay_alu instid0(VALU_DEP_1) | instskip(NEXT) | instid1(VALU_DEP_1)
	v_dual_cndmask_b32 v3, v5, v3 :: v_dual_cndmask_b32 v2, v4, v2
	v_mul_f64 v[4:5], v[0:1], v[2:3]
.LBB65_124:
	s_delay_alu instid0(VALU_DEP_1) | instskip(SKIP_3) | instid1(VALU_DEP_1)
	v_cmp_gt_f64_e32 vcc_lo, 0x10000000, v[4:5]
	v_cndmask_b32_e64 v0, 0, 1, vcc_lo
	s_and_b32 s1, vcc_lo, exec_lo
	s_cselect_b32 s1, 0xffffff80, 0
	v_lshlrev_b32_e32 v0, 8, v0
	s_delay_alu instid0(VALU_DEP_1) | instskip(NEXT) | instid1(VALU_DEP_1)
	v_ldexp_f64 v[0:1], v[4:5], v0
	v_rsq_f64_e32 v[2:3], v[0:1]
	v_cmp_class_f64_e64 vcc_lo, v[0:1], 0x260
	s_waitcnt_depctr 0xfff
	v_mul_f64 v[4:5], v[0:1], v[2:3]
	v_mul_f64 v[2:3], v[2:3], 0.5
	s_delay_alu instid0(VALU_DEP_1) | instskip(NEXT) | instid1(VALU_DEP_1)
	v_fma_f64 v[8:9], -v[2:3], v[4:5], 0.5
	v_fma_f64 v[4:5], v[4:5], v[8:9], v[4:5]
	v_fma_f64 v[2:3], v[2:3], v[8:9], v[2:3]
	s_delay_alu instid0(VALU_DEP_2) | instskip(NEXT) | instid1(VALU_DEP_1)
	v_fma_f64 v[8:9], -v[4:5], v[4:5], v[0:1]
	v_fma_f64 v[4:5], v[8:9], v[2:3], v[4:5]
	s_delay_alu instid0(VALU_DEP_1) | instskip(NEXT) | instid1(VALU_DEP_1)
	v_fma_f64 v[8:9], -v[4:5], v[4:5], v[0:1]
	v_fma_f64 v[2:3], v[8:9], v[2:3], v[4:5]
	s_delay_alu instid0(VALU_DEP_1) | instskip(NEXT) | instid1(VALU_DEP_1)
	v_ldexp_f64 v[3:4], v[2:3], s1
	v_dual_mov_b32 v2, 0 :: v_dual_cndmask_b32 v1, v4, v1
	s_delay_alu instid0(VALU_DEP_1)
	v_dual_cndmask_b32 v0, v3, v0 :: v_dual_mov_b32 v3, v2
	ds_store_b128 v2, v[0:3] offset:2368
.LBB65_125:
	s_or_b32 exec_lo, exec_lo, s4
	v_mov_b32_e32 v0, 0
	s_waitcnt lgkmcnt(0)
	buffer_gl0_inv
	ds_load_b128 v[0:3], v0 offset:2368
	s_waitcnt lgkmcnt(0)
	v_cmp_neq_f64_e32 vcc_lo, 0, v[0:1]
	v_cmp_neq_f64_e64 s1, 0, v[2:3]
	s_delay_alu instid0(VALU_DEP_1) | instskip(SKIP_4) | instid1(SALU_CYCLE_1)
	s_or_b32 vcc_lo, vcc_lo, s1
	v_cndmask_b32_e32 v1, 0x3ff00000, v1, vcc_lo
	v_dual_cndmask_b32 v0, 0, v0 :: v_dual_cndmask_b32 v3, 0, v3
	v_cndmask_b32_e32 v2, 0, v2, vcc_lo
	s_or_b32 s1, vcc_lo, s0
	s_xor_b32 s4, s1, -1
	s_delay_alu instid0(SALU_CYCLE_1)
	s_and_saveexec_b32 s1, s4
	s_cbranch_execz .LBB65_129
; %bb.126:
	v_mbcnt_lo_u32_b32 v0, exec_lo, 0
	s_mov_b32 s4, exec_lo
	s_delay_alu instid0(VALU_DEP_1)
	v_cmpx_eq_u32_e32 0, v0
	s_cbranch_execz .LBB65_128
; %bb.127:
	v_dual_mov_b32 v0, 0 :: v_dual_mov_b32 v1, s2
	global_atomic_min_i32 v0, v1, s[10:11]
.LBB65_128:
	s_or_b32 exec_lo, exec_lo, s4
	v_mov_b32_e32 v0, 0
	v_dual_mov_b32 v1, 0x3ff00000 :: v_dual_mov_b32 v2, 0
	v_mov_b32_e32 v3, 0
.LBB65_129:
	s_or_b32 exec_lo, exec_lo, s1
	s_delay_alu instid0(SALU_CYCLE_1)
	s_mov_b32 s1, exec_lo
	v_cmpx_lt_u32_e32 4, v15
	s_cbranch_execz .LBB65_131
; %bb.130:
	v_mul_f64 v[4:5], v[2:3], v[2:3]
	v_lshlrev_b32_e32 v29, 7, v15
	s_delay_alu instid0(VALU_DEP_2) | instskip(NEXT) | instid1(VALU_DEP_1)
	v_fma_f64 v[4:5], v[0:1], v[0:1], v[4:5]
	v_div_scale_f64 v[12:13], null, v[4:5], v[4:5], 1.0
	v_div_scale_f64 v[23:24], vcc_lo, 1.0, v[4:5], 1.0
	s_delay_alu instid0(VALU_DEP_2) | instskip(SKIP_2) | instid1(VALU_DEP_1)
	v_rcp_f64_e32 v[8:9], v[12:13]
	s_waitcnt_depctr 0xfff
	v_fma_f64 v[10:11], -v[12:13], v[8:9], 1.0
	v_fma_f64 v[8:9], v[8:9], v[10:11], v[8:9]
	s_delay_alu instid0(VALU_DEP_1) | instskip(NEXT) | instid1(VALU_DEP_1)
	v_fma_f64 v[10:11], -v[12:13], v[8:9], 1.0
	v_fma_f64 v[25:26], v[8:9], v[10:11], v[8:9]
	ds_load_b128 v[8:11], v29 offset:1856
	ds_load_b128 v[19:22], v29 offset:2752
	s_waitcnt lgkmcnt(0)
	v_add_f64 v[10:11], v[10:11], -v[21:22]
	v_add_f64 v[8:9], v[8:9], -v[19:20]
	v_mul_f64 v[27:28], v[23:24], v[25:26]
	s_delay_alu instid0(VALU_DEP_3) | instskip(NEXT) | instid1(VALU_DEP_3)
	v_mul_f64 v[19:20], v[2:3], v[10:11]
	v_mul_f64 v[2:3], v[2:3], -v[8:9]
	s_delay_alu instid0(VALU_DEP_3) | instskip(NEXT) | instid1(VALU_DEP_3)
	v_fma_f64 v[12:13], -v[12:13], v[27:28], v[23:24]
	v_fma_f64 v[8:9], v[8:9], v[0:1], v[19:20]
	s_delay_alu instid0(VALU_DEP_3) | instskip(NEXT) | instid1(VALU_DEP_3)
	v_fma_f64 v[2:3], v[10:11], v[0:1], v[2:3]
	v_div_fmas_f64 v[12:13], v[12:13], v[25:26], v[27:28]
	s_delay_alu instid0(VALU_DEP_1) | instskip(NEXT) | instid1(VALU_DEP_1)
	v_div_fixup_f64 v[4:5], v[12:13], v[4:5], 1.0
	v_mul_f64 v[0:1], v[4:5], v[8:9]
	s_delay_alu instid0(VALU_DEP_4)
	v_mul_f64 v[2:3], v[4:5], v[2:3]
	v_lshlrev_b32_e32 v4, 7, v14
	ds_store_b128 v29, v[0:3] offset:1856
	s_waitcnt lgkmcnt(0)
	s_waitcnt_vscnt null, 0x0
	buffer_gl0_inv
	ds_load_b128 v[8:11], v4 offset:1856
	ds_load_b128 v[19:22], v18
	s_waitcnt lgkmcnt(0)
	v_fma_f64 v[4:5], v[0:1], v[8:9], v[19:20]
	v_fma_f64 v[8:9], v[2:3], v[8:9], v[21:22]
	s_delay_alu instid0(VALU_DEP_2) | instskip(NEXT) | instid1(VALU_DEP_2)
	v_fma_f64 v[2:3], v[2:3], v[10:11], v[4:5]
	v_fma_f64 v[4:5], v[0:1], -v[10:11], v[8:9]
	ds_store_b128 v18, v[2:5]
.LBB65_131:
	s_or_b32 exec_lo, exec_lo, s1
	s_delay_alu instid0(SALU_CYCLE_1)
	s_mov_b32 s4, exec_lo
	s_waitcnt lgkmcnt(0)
	s_waitcnt_vscnt null, 0x0
	buffer_gl0_inv
	v_cmpx_eq_u32_e32 5, v15
	s_cbranch_execz .LBB65_139
; %bb.132:
	v_mov_b32_e32 v4, 0
	ds_load_b128 v[0:3], v4 offset:3408
	ds_load_b128 v[8:11], v4 offset:2512
	s_waitcnt lgkmcnt(0)
	v_add_f64 v[0:1], v[8:9], -v[0:1]
	v_add_f64 v[4:5], v[10:11], -v[2:3]
	s_delay_alu instid0(VALU_DEP_2) | instskip(NEXT) | instid1(VALU_DEP_2)
	v_cmp_gt_f64_e32 vcc_lo, 0, v[0:1]
	v_cmp_gt_f64_e64 s1, 0, v[4:5]
	v_xor_b32_e32 v2, 0x80000000, v1
	v_xor_b32_e32 v3, 0x80000000, v5
	s_delay_alu instid0(VALU_DEP_2) | instskip(NEXT) | instid1(VALU_DEP_2)
	v_cndmask_b32_e32 v1, v1, v2, vcc_lo
	v_cndmask_b32_e64 v3, v5, v3, s1
	v_cndmask_b32_e32 v0, v0, v0, vcc_lo
	v_cndmask_b32_e64 v2, v4, v4, s1
	s_delay_alu instid0(VALU_DEP_1)
	v_cmp_gt_f64_e32 vcc_lo, v[0:1], v[2:3]
	s_cbranch_vccnz .LBB65_136
; %bb.133:
	v_cmp_eq_f64_e32 vcc_lo, 0, v[4:5]
	v_mov_b32_e32 v4, 0
	v_mov_b32_e32 v5, 0
	s_cbranch_vccnz .LBB65_135
; %bb.134:
	v_div_scale_f64 v[4:5], null, v[2:3], v[2:3], v[0:1]
	v_div_scale_f64 v[12:13], vcc_lo, v[0:1], v[2:3], v[0:1]
	s_delay_alu instid0(VALU_DEP_2) | instskip(SKIP_2) | instid1(VALU_DEP_1)
	v_rcp_f64_e32 v[8:9], v[4:5]
	s_waitcnt_depctr 0xfff
	v_fma_f64 v[10:11], -v[4:5], v[8:9], 1.0
	v_fma_f64 v[8:9], v[8:9], v[10:11], v[8:9]
	s_delay_alu instid0(VALU_DEP_1) | instskip(NEXT) | instid1(VALU_DEP_1)
	v_fma_f64 v[10:11], -v[4:5], v[8:9], 1.0
	v_fma_f64 v[8:9], v[8:9], v[10:11], v[8:9]
	s_delay_alu instid0(VALU_DEP_1) | instskip(NEXT) | instid1(VALU_DEP_1)
	v_mul_f64 v[10:11], v[12:13], v[8:9]
	v_fma_f64 v[4:5], -v[4:5], v[10:11], v[12:13]
	s_delay_alu instid0(VALU_DEP_1) | instskip(NEXT) | instid1(VALU_DEP_1)
	v_div_fmas_f64 v[4:5], v[4:5], v[8:9], v[10:11]
	v_div_fixup_f64 v[4:5], v[4:5], v[2:3], v[0:1]
	s_delay_alu instid0(VALU_DEP_1) | instskip(NEXT) | instid1(VALU_DEP_1)
	v_fma_f64 v[4:5], v[4:5], v[4:5], 1.0
	v_cmp_gt_f64_e32 vcc_lo, 0x10000000, v[4:5]
	v_cndmask_b32_e64 v8, 0, 1, vcc_lo
	s_and_b32 s1, vcc_lo, exec_lo
	s_cselect_b32 s1, 0xffffff80, 0
	s_delay_alu instid0(VALU_DEP_1) | instskip(NEXT) | instid1(VALU_DEP_1)
	v_lshlrev_b32_e32 v8, 8, v8
	v_ldexp_f64 v[4:5], v[4:5], v8
	s_delay_alu instid0(VALU_DEP_1) | instskip(SKIP_4) | instid1(VALU_DEP_1)
	v_rsq_f64_e32 v[8:9], v[4:5]
	v_cmp_class_f64_e64 vcc_lo, v[4:5], 0x260
	s_waitcnt_depctr 0xfff
	v_mul_f64 v[10:11], v[4:5], v[8:9]
	v_mul_f64 v[8:9], v[8:9], 0.5
	v_fma_f64 v[12:13], -v[8:9], v[10:11], 0.5
	s_delay_alu instid0(VALU_DEP_1) | instskip(SKIP_1) | instid1(VALU_DEP_2)
	v_fma_f64 v[10:11], v[10:11], v[12:13], v[10:11]
	v_fma_f64 v[8:9], v[8:9], v[12:13], v[8:9]
	v_fma_f64 v[12:13], -v[10:11], v[10:11], v[4:5]
	s_delay_alu instid0(VALU_DEP_1) | instskip(NEXT) | instid1(VALU_DEP_1)
	v_fma_f64 v[10:11], v[12:13], v[8:9], v[10:11]
	v_fma_f64 v[12:13], -v[10:11], v[10:11], v[4:5]
	s_delay_alu instid0(VALU_DEP_1) | instskip(NEXT) | instid1(VALU_DEP_1)
	v_fma_f64 v[8:9], v[12:13], v[8:9], v[10:11]
	v_ldexp_f64 v[8:9], v[8:9], s1
	s_delay_alu instid0(VALU_DEP_1) | instskip(NEXT) | instid1(VALU_DEP_1)
	v_dual_cndmask_b32 v5, v9, v5 :: v_dual_cndmask_b32 v4, v8, v4
	v_mul_f64 v[4:5], v[2:3], v[4:5]
.LBB65_135:
	s_cbranch_execz .LBB65_137
	s_branch .LBB65_138
.LBB65_136:
                                        ; implicit-def: $vgpr4_vgpr5
.LBB65_137:
	v_div_scale_f64 v[4:5], null, v[0:1], v[0:1], v[2:3]
	v_div_scale_f64 v[12:13], vcc_lo, v[2:3], v[0:1], v[2:3]
	s_delay_alu instid0(VALU_DEP_2) | instskip(SKIP_2) | instid1(VALU_DEP_1)
	v_rcp_f64_e32 v[8:9], v[4:5]
	s_waitcnt_depctr 0xfff
	v_fma_f64 v[10:11], -v[4:5], v[8:9], 1.0
	v_fma_f64 v[8:9], v[8:9], v[10:11], v[8:9]
	s_delay_alu instid0(VALU_DEP_1) | instskip(NEXT) | instid1(VALU_DEP_1)
	v_fma_f64 v[10:11], -v[4:5], v[8:9], 1.0
	v_fma_f64 v[8:9], v[8:9], v[10:11], v[8:9]
	s_delay_alu instid0(VALU_DEP_1) | instskip(NEXT) | instid1(VALU_DEP_1)
	v_mul_f64 v[10:11], v[12:13], v[8:9]
	v_fma_f64 v[4:5], -v[4:5], v[10:11], v[12:13]
	s_delay_alu instid0(VALU_DEP_1) | instskip(NEXT) | instid1(VALU_DEP_1)
	v_div_fmas_f64 v[4:5], v[4:5], v[8:9], v[10:11]
	v_div_fixup_f64 v[2:3], v[4:5], v[0:1], v[2:3]
	s_delay_alu instid0(VALU_DEP_1) | instskip(NEXT) | instid1(VALU_DEP_1)
	v_fma_f64 v[2:3], v[2:3], v[2:3], 1.0
	v_cmp_gt_f64_e32 vcc_lo, 0x10000000, v[2:3]
	v_cndmask_b32_e64 v4, 0, 1, vcc_lo
	s_and_b32 s1, vcc_lo, exec_lo
	s_cselect_b32 s1, 0xffffff80, 0
	s_delay_alu instid0(VALU_DEP_1) | instskip(NEXT) | instid1(VALU_DEP_1)
	v_lshlrev_b32_e32 v4, 8, v4
	v_ldexp_f64 v[2:3], v[2:3], v4
	s_delay_alu instid0(VALU_DEP_1) | instskip(SKIP_4) | instid1(VALU_DEP_1)
	v_rsq_f64_e32 v[4:5], v[2:3]
	v_cmp_class_f64_e64 vcc_lo, v[2:3], 0x260
	s_waitcnt_depctr 0xfff
	v_mul_f64 v[8:9], v[2:3], v[4:5]
	v_mul_f64 v[4:5], v[4:5], 0.5
	v_fma_f64 v[10:11], -v[4:5], v[8:9], 0.5
	s_delay_alu instid0(VALU_DEP_1) | instskip(SKIP_1) | instid1(VALU_DEP_2)
	v_fma_f64 v[8:9], v[8:9], v[10:11], v[8:9]
	v_fma_f64 v[4:5], v[4:5], v[10:11], v[4:5]
	v_fma_f64 v[10:11], -v[8:9], v[8:9], v[2:3]
	s_delay_alu instid0(VALU_DEP_1) | instskip(NEXT) | instid1(VALU_DEP_1)
	v_fma_f64 v[8:9], v[10:11], v[4:5], v[8:9]
	v_fma_f64 v[10:11], -v[8:9], v[8:9], v[2:3]
	s_delay_alu instid0(VALU_DEP_1) | instskip(NEXT) | instid1(VALU_DEP_1)
	v_fma_f64 v[4:5], v[10:11], v[4:5], v[8:9]
	v_ldexp_f64 v[4:5], v[4:5], s1
	s_delay_alu instid0(VALU_DEP_1) | instskip(NEXT) | instid1(VALU_DEP_1)
	v_dual_cndmask_b32 v3, v5, v3 :: v_dual_cndmask_b32 v2, v4, v2
	v_mul_f64 v[4:5], v[0:1], v[2:3]
.LBB65_138:
	s_delay_alu instid0(VALU_DEP_1) | instskip(SKIP_3) | instid1(VALU_DEP_1)
	v_cmp_gt_f64_e32 vcc_lo, 0x10000000, v[4:5]
	v_cndmask_b32_e64 v0, 0, 1, vcc_lo
	s_and_b32 s1, vcc_lo, exec_lo
	s_cselect_b32 s1, 0xffffff80, 0
	v_lshlrev_b32_e32 v0, 8, v0
	s_delay_alu instid0(VALU_DEP_1) | instskip(NEXT) | instid1(VALU_DEP_1)
	v_ldexp_f64 v[0:1], v[4:5], v0
	v_rsq_f64_e32 v[2:3], v[0:1]
	v_cmp_class_f64_e64 vcc_lo, v[0:1], 0x260
	s_waitcnt_depctr 0xfff
	v_mul_f64 v[4:5], v[0:1], v[2:3]
	v_mul_f64 v[2:3], v[2:3], 0.5
	s_delay_alu instid0(VALU_DEP_1) | instskip(NEXT) | instid1(VALU_DEP_1)
	v_fma_f64 v[8:9], -v[2:3], v[4:5], 0.5
	v_fma_f64 v[4:5], v[4:5], v[8:9], v[4:5]
	v_fma_f64 v[2:3], v[2:3], v[8:9], v[2:3]
	s_delay_alu instid0(VALU_DEP_2) | instskip(NEXT) | instid1(VALU_DEP_1)
	v_fma_f64 v[8:9], -v[4:5], v[4:5], v[0:1]
	v_fma_f64 v[4:5], v[8:9], v[2:3], v[4:5]
	s_delay_alu instid0(VALU_DEP_1) | instskip(NEXT) | instid1(VALU_DEP_1)
	v_fma_f64 v[8:9], -v[4:5], v[4:5], v[0:1]
	v_fma_f64 v[2:3], v[8:9], v[2:3], v[4:5]
	s_delay_alu instid0(VALU_DEP_1) | instskip(NEXT) | instid1(VALU_DEP_1)
	v_ldexp_f64 v[3:4], v[2:3], s1
	v_dual_mov_b32 v2, 0 :: v_dual_cndmask_b32 v1, v4, v1
	s_delay_alu instid0(VALU_DEP_1)
	v_dual_cndmask_b32 v0, v3, v0 :: v_dual_mov_b32 v3, v2
	ds_store_b128 v2, v[0:3] offset:2512
.LBB65_139:
	s_or_b32 exec_lo, exec_lo, s4
	v_mov_b32_e32 v0, 0
	s_waitcnt lgkmcnt(0)
	buffer_gl0_inv
	ds_load_b128 v[0:3], v0 offset:2512
	s_waitcnt lgkmcnt(0)
	v_cmp_neq_f64_e32 vcc_lo, 0, v[0:1]
	v_cmp_neq_f64_e64 s1, 0, v[2:3]
	s_delay_alu instid0(VALU_DEP_1) | instskip(SKIP_4) | instid1(SALU_CYCLE_1)
	s_or_b32 vcc_lo, vcc_lo, s1
	v_cndmask_b32_e32 v1, 0x3ff00000, v1, vcc_lo
	v_dual_cndmask_b32 v0, 0, v0 :: v_dual_cndmask_b32 v3, 0, v3
	v_cndmask_b32_e32 v2, 0, v2, vcc_lo
	s_or_b32 s1, vcc_lo, s0
	s_xor_b32 s4, s1, -1
	s_delay_alu instid0(SALU_CYCLE_1)
	s_and_saveexec_b32 s1, s4
	s_cbranch_execz .LBB65_143
; %bb.140:
	v_mbcnt_lo_u32_b32 v0, exec_lo, 0
	s_mov_b32 s4, exec_lo
	s_delay_alu instid0(VALU_DEP_1)
	v_cmpx_eq_u32_e32 0, v0
	s_cbranch_execz .LBB65_142
; %bb.141:
	v_dual_mov_b32 v0, 0 :: v_dual_mov_b32 v1, s2
	global_atomic_min_i32 v0, v1, s[10:11]
.LBB65_142:
	s_or_b32 exec_lo, exec_lo, s4
	v_mov_b32_e32 v0, 0
	v_dual_mov_b32 v1, 0x3ff00000 :: v_dual_mov_b32 v2, 0
	v_mov_b32_e32 v3, 0
.LBB65_143:
	s_or_b32 exec_lo, exec_lo, s1
	s_delay_alu instid0(SALU_CYCLE_1)
	s_mov_b32 s1, exec_lo
	v_cmpx_lt_u32_e32 5, v15
	s_cbranch_execz .LBB65_145
; %bb.144:
	v_mul_f64 v[4:5], v[2:3], v[2:3]
	v_lshlrev_b32_e32 v29, 7, v15
	s_delay_alu instid0(VALU_DEP_2) | instskip(NEXT) | instid1(VALU_DEP_1)
	v_fma_f64 v[4:5], v[0:1], v[0:1], v[4:5]
	v_div_scale_f64 v[12:13], null, v[4:5], v[4:5], 1.0
	v_div_scale_f64 v[23:24], vcc_lo, 1.0, v[4:5], 1.0
	s_delay_alu instid0(VALU_DEP_2) | instskip(SKIP_2) | instid1(VALU_DEP_1)
	v_rcp_f64_e32 v[8:9], v[12:13]
	s_waitcnt_depctr 0xfff
	v_fma_f64 v[10:11], -v[12:13], v[8:9], 1.0
	v_fma_f64 v[8:9], v[8:9], v[10:11], v[8:9]
	s_delay_alu instid0(VALU_DEP_1) | instskip(NEXT) | instid1(VALU_DEP_1)
	v_fma_f64 v[10:11], -v[12:13], v[8:9], 1.0
	v_fma_f64 v[25:26], v[8:9], v[10:11], v[8:9]
	ds_load_b128 v[8:11], v29 offset:1872
	ds_load_b128 v[19:22], v29 offset:2768
	s_waitcnt lgkmcnt(0)
	v_add_f64 v[10:11], v[10:11], -v[21:22]
	v_add_f64 v[8:9], v[8:9], -v[19:20]
	v_mul_f64 v[27:28], v[23:24], v[25:26]
	s_delay_alu instid0(VALU_DEP_3) | instskip(NEXT) | instid1(VALU_DEP_3)
	v_mul_f64 v[19:20], v[2:3], v[10:11]
	v_mul_f64 v[2:3], v[2:3], -v[8:9]
	s_delay_alu instid0(VALU_DEP_3) | instskip(NEXT) | instid1(VALU_DEP_3)
	v_fma_f64 v[12:13], -v[12:13], v[27:28], v[23:24]
	v_fma_f64 v[8:9], v[8:9], v[0:1], v[19:20]
	s_delay_alu instid0(VALU_DEP_3) | instskip(NEXT) | instid1(VALU_DEP_3)
	v_fma_f64 v[2:3], v[10:11], v[0:1], v[2:3]
	v_div_fmas_f64 v[12:13], v[12:13], v[25:26], v[27:28]
	s_delay_alu instid0(VALU_DEP_1) | instskip(NEXT) | instid1(VALU_DEP_1)
	v_div_fixup_f64 v[4:5], v[12:13], v[4:5], 1.0
	v_mul_f64 v[0:1], v[4:5], v[8:9]
	s_delay_alu instid0(VALU_DEP_4)
	v_mul_f64 v[2:3], v[4:5], v[2:3]
	v_lshlrev_b32_e32 v4, 7, v14
	ds_store_b128 v29, v[0:3] offset:1872
	s_waitcnt lgkmcnt(0)
	s_waitcnt_vscnt null, 0x0
	buffer_gl0_inv
	ds_load_b128 v[8:11], v4 offset:1872
	ds_load_b128 v[19:22], v18
	s_waitcnt lgkmcnt(0)
	v_fma_f64 v[4:5], v[0:1], v[8:9], v[19:20]
	v_fma_f64 v[8:9], v[2:3], v[8:9], v[21:22]
	s_delay_alu instid0(VALU_DEP_2) | instskip(NEXT) | instid1(VALU_DEP_2)
	v_fma_f64 v[2:3], v[2:3], v[10:11], v[4:5]
	v_fma_f64 v[4:5], v[0:1], -v[10:11], v[8:9]
	ds_store_b128 v18, v[2:5]
.LBB65_145:
	s_or_b32 exec_lo, exec_lo, s1
	s_delay_alu instid0(SALU_CYCLE_1)
	s_mov_b32 s4, exec_lo
	s_waitcnt lgkmcnt(0)
	s_waitcnt_vscnt null, 0x0
	buffer_gl0_inv
	v_cmpx_eq_u32_e32 6, v15
	s_cbranch_execz .LBB65_153
; %bb.146:
	v_mov_b32_e32 v4, 0
	ds_load_b128 v[0:3], v4 offset:3552
	ds_load_b128 v[8:11], v4 offset:2656
	s_waitcnt lgkmcnt(0)
	v_add_f64 v[0:1], v[8:9], -v[0:1]
	v_add_f64 v[4:5], v[10:11], -v[2:3]
	s_delay_alu instid0(VALU_DEP_2) | instskip(NEXT) | instid1(VALU_DEP_2)
	v_cmp_gt_f64_e32 vcc_lo, 0, v[0:1]
	v_cmp_gt_f64_e64 s1, 0, v[4:5]
	v_xor_b32_e32 v2, 0x80000000, v1
	v_xor_b32_e32 v3, 0x80000000, v5
	s_delay_alu instid0(VALU_DEP_2) | instskip(NEXT) | instid1(VALU_DEP_2)
	v_cndmask_b32_e32 v1, v1, v2, vcc_lo
	v_cndmask_b32_e64 v3, v5, v3, s1
	v_cndmask_b32_e32 v0, v0, v0, vcc_lo
	v_cndmask_b32_e64 v2, v4, v4, s1
	s_delay_alu instid0(VALU_DEP_1)
	v_cmp_gt_f64_e32 vcc_lo, v[0:1], v[2:3]
	s_cbranch_vccnz .LBB65_150
; %bb.147:
	v_cmp_eq_f64_e32 vcc_lo, 0, v[4:5]
	v_mov_b32_e32 v4, 0
	v_mov_b32_e32 v5, 0
	s_cbranch_vccnz .LBB65_149
; %bb.148:
	v_div_scale_f64 v[4:5], null, v[2:3], v[2:3], v[0:1]
	v_div_scale_f64 v[12:13], vcc_lo, v[0:1], v[2:3], v[0:1]
	s_delay_alu instid0(VALU_DEP_2) | instskip(SKIP_2) | instid1(VALU_DEP_1)
	v_rcp_f64_e32 v[8:9], v[4:5]
	s_waitcnt_depctr 0xfff
	v_fma_f64 v[10:11], -v[4:5], v[8:9], 1.0
	v_fma_f64 v[8:9], v[8:9], v[10:11], v[8:9]
	s_delay_alu instid0(VALU_DEP_1) | instskip(NEXT) | instid1(VALU_DEP_1)
	v_fma_f64 v[10:11], -v[4:5], v[8:9], 1.0
	v_fma_f64 v[8:9], v[8:9], v[10:11], v[8:9]
	s_delay_alu instid0(VALU_DEP_1) | instskip(NEXT) | instid1(VALU_DEP_1)
	v_mul_f64 v[10:11], v[12:13], v[8:9]
	v_fma_f64 v[4:5], -v[4:5], v[10:11], v[12:13]
	s_delay_alu instid0(VALU_DEP_1) | instskip(NEXT) | instid1(VALU_DEP_1)
	v_div_fmas_f64 v[4:5], v[4:5], v[8:9], v[10:11]
	v_div_fixup_f64 v[4:5], v[4:5], v[2:3], v[0:1]
	s_delay_alu instid0(VALU_DEP_1) | instskip(NEXT) | instid1(VALU_DEP_1)
	v_fma_f64 v[4:5], v[4:5], v[4:5], 1.0
	v_cmp_gt_f64_e32 vcc_lo, 0x10000000, v[4:5]
	v_cndmask_b32_e64 v8, 0, 1, vcc_lo
	s_and_b32 s1, vcc_lo, exec_lo
	s_cselect_b32 s1, 0xffffff80, 0
	s_delay_alu instid0(VALU_DEP_1) | instskip(NEXT) | instid1(VALU_DEP_1)
	v_lshlrev_b32_e32 v8, 8, v8
	v_ldexp_f64 v[4:5], v[4:5], v8
	s_delay_alu instid0(VALU_DEP_1) | instskip(SKIP_4) | instid1(VALU_DEP_1)
	v_rsq_f64_e32 v[8:9], v[4:5]
	v_cmp_class_f64_e64 vcc_lo, v[4:5], 0x260
	s_waitcnt_depctr 0xfff
	v_mul_f64 v[10:11], v[4:5], v[8:9]
	v_mul_f64 v[8:9], v[8:9], 0.5
	v_fma_f64 v[12:13], -v[8:9], v[10:11], 0.5
	s_delay_alu instid0(VALU_DEP_1) | instskip(SKIP_1) | instid1(VALU_DEP_2)
	v_fma_f64 v[10:11], v[10:11], v[12:13], v[10:11]
	v_fma_f64 v[8:9], v[8:9], v[12:13], v[8:9]
	v_fma_f64 v[12:13], -v[10:11], v[10:11], v[4:5]
	s_delay_alu instid0(VALU_DEP_1) | instskip(NEXT) | instid1(VALU_DEP_1)
	v_fma_f64 v[10:11], v[12:13], v[8:9], v[10:11]
	v_fma_f64 v[12:13], -v[10:11], v[10:11], v[4:5]
	s_delay_alu instid0(VALU_DEP_1) | instskip(NEXT) | instid1(VALU_DEP_1)
	v_fma_f64 v[8:9], v[12:13], v[8:9], v[10:11]
	v_ldexp_f64 v[8:9], v[8:9], s1
	s_delay_alu instid0(VALU_DEP_1) | instskip(NEXT) | instid1(VALU_DEP_1)
	v_dual_cndmask_b32 v5, v9, v5 :: v_dual_cndmask_b32 v4, v8, v4
	v_mul_f64 v[4:5], v[2:3], v[4:5]
.LBB65_149:
	s_cbranch_execz .LBB65_151
	s_branch .LBB65_152
.LBB65_150:
                                        ; implicit-def: $vgpr4_vgpr5
.LBB65_151:
	v_div_scale_f64 v[4:5], null, v[0:1], v[0:1], v[2:3]
	v_div_scale_f64 v[12:13], vcc_lo, v[2:3], v[0:1], v[2:3]
	s_delay_alu instid0(VALU_DEP_2) | instskip(SKIP_2) | instid1(VALU_DEP_1)
	v_rcp_f64_e32 v[8:9], v[4:5]
	s_waitcnt_depctr 0xfff
	v_fma_f64 v[10:11], -v[4:5], v[8:9], 1.0
	v_fma_f64 v[8:9], v[8:9], v[10:11], v[8:9]
	s_delay_alu instid0(VALU_DEP_1) | instskip(NEXT) | instid1(VALU_DEP_1)
	v_fma_f64 v[10:11], -v[4:5], v[8:9], 1.0
	v_fma_f64 v[8:9], v[8:9], v[10:11], v[8:9]
	s_delay_alu instid0(VALU_DEP_1) | instskip(NEXT) | instid1(VALU_DEP_1)
	v_mul_f64 v[10:11], v[12:13], v[8:9]
	v_fma_f64 v[4:5], -v[4:5], v[10:11], v[12:13]
	s_delay_alu instid0(VALU_DEP_1) | instskip(NEXT) | instid1(VALU_DEP_1)
	v_div_fmas_f64 v[4:5], v[4:5], v[8:9], v[10:11]
	v_div_fixup_f64 v[2:3], v[4:5], v[0:1], v[2:3]
	s_delay_alu instid0(VALU_DEP_1) | instskip(NEXT) | instid1(VALU_DEP_1)
	v_fma_f64 v[2:3], v[2:3], v[2:3], 1.0
	v_cmp_gt_f64_e32 vcc_lo, 0x10000000, v[2:3]
	v_cndmask_b32_e64 v4, 0, 1, vcc_lo
	s_and_b32 s1, vcc_lo, exec_lo
	s_cselect_b32 s1, 0xffffff80, 0
	s_delay_alu instid0(VALU_DEP_1) | instskip(NEXT) | instid1(VALU_DEP_1)
	v_lshlrev_b32_e32 v4, 8, v4
	v_ldexp_f64 v[2:3], v[2:3], v4
	s_delay_alu instid0(VALU_DEP_1) | instskip(SKIP_4) | instid1(VALU_DEP_1)
	v_rsq_f64_e32 v[4:5], v[2:3]
	v_cmp_class_f64_e64 vcc_lo, v[2:3], 0x260
	s_waitcnt_depctr 0xfff
	v_mul_f64 v[8:9], v[2:3], v[4:5]
	v_mul_f64 v[4:5], v[4:5], 0.5
	v_fma_f64 v[10:11], -v[4:5], v[8:9], 0.5
	s_delay_alu instid0(VALU_DEP_1) | instskip(SKIP_1) | instid1(VALU_DEP_2)
	v_fma_f64 v[8:9], v[8:9], v[10:11], v[8:9]
	v_fma_f64 v[4:5], v[4:5], v[10:11], v[4:5]
	v_fma_f64 v[10:11], -v[8:9], v[8:9], v[2:3]
	s_delay_alu instid0(VALU_DEP_1) | instskip(NEXT) | instid1(VALU_DEP_1)
	v_fma_f64 v[8:9], v[10:11], v[4:5], v[8:9]
	v_fma_f64 v[10:11], -v[8:9], v[8:9], v[2:3]
	s_delay_alu instid0(VALU_DEP_1) | instskip(NEXT) | instid1(VALU_DEP_1)
	v_fma_f64 v[4:5], v[10:11], v[4:5], v[8:9]
	v_ldexp_f64 v[4:5], v[4:5], s1
	s_delay_alu instid0(VALU_DEP_1) | instskip(NEXT) | instid1(VALU_DEP_1)
	v_dual_cndmask_b32 v3, v5, v3 :: v_dual_cndmask_b32 v2, v4, v2
	v_mul_f64 v[4:5], v[0:1], v[2:3]
.LBB65_152:
	s_delay_alu instid0(VALU_DEP_1) | instskip(SKIP_3) | instid1(VALU_DEP_1)
	v_cmp_gt_f64_e32 vcc_lo, 0x10000000, v[4:5]
	v_cndmask_b32_e64 v0, 0, 1, vcc_lo
	s_and_b32 s1, vcc_lo, exec_lo
	s_cselect_b32 s1, 0xffffff80, 0
	v_lshlrev_b32_e32 v0, 8, v0
	s_delay_alu instid0(VALU_DEP_1) | instskip(NEXT) | instid1(VALU_DEP_1)
	v_ldexp_f64 v[0:1], v[4:5], v0
	v_rsq_f64_e32 v[2:3], v[0:1]
	v_cmp_class_f64_e64 vcc_lo, v[0:1], 0x260
	s_waitcnt_depctr 0xfff
	v_mul_f64 v[4:5], v[0:1], v[2:3]
	v_mul_f64 v[2:3], v[2:3], 0.5
	s_delay_alu instid0(VALU_DEP_1) | instskip(NEXT) | instid1(VALU_DEP_1)
	v_fma_f64 v[8:9], -v[2:3], v[4:5], 0.5
	v_fma_f64 v[4:5], v[4:5], v[8:9], v[4:5]
	v_fma_f64 v[2:3], v[2:3], v[8:9], v[2:3]
	s_delay_alu instid0(VALU_DEP_2) | instskip(NEXT) | instid1(VALU_DEP_1)
	v_fma_f64 v[8:9], -v[4:5], v[4:5], v[0:1]
	v_fma_f64 v[4:5], v[8:9], v[2:3], v[4:5]
	s_delay_alu instid0(VALU_DEP_1) | instskip(NEXT) | instid1(VALU_DEP_1)
	v_fma_f64 v[8:9], -v[4:5], v[4:5], v[0:1]
	v_fma_f64 v[2:3], v[8:9], v[2:3], v[4:5]
	s_delay_alu instid0(VALU_DEP_1) | instskip(NEXT) | instid1(VALU_DEP_1)
	v_ldexp_f64 v[3:4], v[2:3], s1
	v_dual_mov_b32 v2, 0 :: v_dual_cndmask_b32 v1, v4, v1
	s_delay_alu instid0(VALU_DEP_1)
	v_dual_cndmask_b32 v0, v3, v0 :: v_dual_mov_b32 v3, v2
	ds_store_b128 v2, v[0:3] offset:2656
.LBB65_153:
	s_or_b32 exec_lo, exec_lo, s4
	v_mov_b32_e32 v0, 0
	s_waitcnt lgkmcnt(0)
	buffer_gl0_inv
	ds_load_b128 v[0:3], v0 offset:2656
	s_waitcnt lgkmcnt(0)
	v_cmp_neq_f64_e32 vcc_lo, 0, v[0:1]
	v_cmp_neq_f64_e64 s1, 0, v[2:3]
	s_delay_alu instid0(VALU_DEP_1) | instskip(SKIP_4) | instid1(SALU_CYCLE_1)
	s_or_b32 vcc_lo, vcc_lo, s1
	v_cndmask_b32_e32 v1, 0x3ff00000, v1, vcc_lo
	v_dual_cndmask_b32 v0, 0, v0 :: v_dual_cndmask_b32 v3, 0, v3
	v_cndmask_b32_e32 v2, 0, v2, vcc_lo
	s_or_b32 s0, vcc_lo, s0
	s_xor_b32 s1, s0, -1
	s_delay_alu instid0(SALU_CYCLE_1)
	s_and_saveexec_b32 s0, s1
	s_cbranch_execz .LBB65_157
; %bb.154:
	v_mbcnt_lo_u32_b32 v0, exec_lo, 0
	s_mov_b32 s1, exec_lo
	s_delay_alu instid0(VALU_DEP_1)
	v_cmpx_eq_u32_e32 0, v0
	s_cbranch_execz .LBB65_156
; %bb.155:
	v_dual_mov_b32 v0, 0 :: v_dual_mov_b32 v1, s2
	global_atomic_min_i32 v0, v1, s[10:11]
.LBB65_156:
	s_or_b32 exec_lo, exec_lo, s1
	v_mov_b32_e32 v0, 0
	v_dual_mov_b32 v1, 0x3ff00000 :: v_dual_mov_b32 v2, 0
	v_mov_b32_e32 v3, 0
.LBB65_157:
	s_or_b32 exec_lo, exec_lo, s0
	s_delay_alu instid0(SALU_CYCLE_1)
	s_mov_b32 s0, exec_lo
	v_cmpx_lt_u32_e32 6, v15
	s_cbranch_execz .LBB65_159
; %bb.158:
	v_mul_f64 v[4:5], v[2:3], v[2:3]
	v_lshlrev_b32_e32 v29, 7, v15
	s_delay_alu instid0(VALU_DEP_2) | instskip(NEXT) | instid1(VALU_DEP_1)
	v_fma_f64 v[4:5], v[0:1], v[0:1], v[4:5]
	v_div_scale_f64 v[12:13], null, v[4:5], v[4:5], 1.0
	v_div_scale_f64 v[23:24], vcc_lo, 1.0, v[4:5], 1.0
	s_delay_alu instid0(VALU_DEP_2) | instskip(SKIP_2) | instid1(VALU_DEP_1)
	v_rcp_f64_e32 v[8:9], v[12:13]
	s_waitcnt_depctr 0xfff
	v_fma_f64 v[10:11], -v[12:13], v[8:9], 1.0
	v_fma_f64 v[8:9], v[8:9], v[10:11], v[8:9]
	s_delay_alu instid0(VALU_DEP_1) | instskip(NEXT) | instid1(VALU_DEP_1)
	v_fma_f64 v[10:11], -v[12:13], v[8:9], 1.0
	v_fma_f64 v[25:26], v[8:9], v[10:11], v[8:9]
	ds_load_b128 v[8:11], v29 offset:1888
	ds_load_b128 v[19:22], v29 offset:2784
	s_waitcnt lgkmcnt(0)
	v_add_f64 v[10:11], v[10:11], -v[21:22]
	v_add_f64 v[8:9], v[8:9], -v[19:20]
	v_mul_f64 v[27:28], v[23:24], v[25:26]
	s_delay_alu instid0(VALU_DEP_3) | instskip(NEXT) | instid1(VALU_DEP_3)
	v_mul_f64 v[19:20], v[2:3], v[10:11]
	v_mul_f64 v[2:3], v[2:3], -v[8:9]
	s_delay_alu instid0(VALU_DEP_3) | instskip(NEXT) | instid1(VALU_DEP_3)
	v_fma_f64 v[12:13], -v[12:13], v[27:28], v[23:24]
	v_fma_f64 v[8:9], v[8:9], v[0:1], v[19:20]
	s_delay_alu instid0(VALU_DEP_3) | instskip(NEXT) | instid1(VALU_DEP_3)
	v_fma_f64 v[2:3], v[10:11], v[0:1], v[2:3]
	v_div_fmas_f64 v[12:13], v[12:13], v[25:26], v[27:28]
	s_delay_alu instid0(VALU_DEP_1) | instskip(NEXT) | instid1(VALU_DEP_1)
	v_div_fixup_f64 v[4:5], v[12:13], v[4:5], 1.0
	v_mul_f64 v[0:1], v[4:5], v[8:9]
	s_delay_alu instid0(VALU_DEP_4)
	v_mul_f64 v[2:3], v[4:5], v[2:3]
	v_lshlrev_b32_e32 v4, 7, v14
	ds_store_b128 v29, v[0:3] offset:1888
	s_waitcnt lgkmcnt(0)
	s_waitcnt_vscnt null, 0x0
	buffer_gl0_inv
	ds_load_b128 v[8:11], v4 offset:1888
	ds_load_b128 v[19:22], v18
	s_waitcnt lgkmcnt(0)
	v_fma_f64 v[4:5], v[0:1], v[8:9], v[19:20]
	v_fma_f64 v[8:9], v[2:3], v[8:9], v[21:22]
	s_delay_alu instid0(VALU_DEP_2) | instskip(NEXT) | instid1(VALU_DEP_2)
	v_fma_f64 v[2:3], v[2:3], v[10:11], v[4:5]
	v_fma_f64 v[4:5], v[0:1], -v[10:11], v[8:9]
	ds_store_b128 v18, v[2:5]
.LBB65_159:
	s_or_b32 exec_lo, exec_lo, s0
	s_delay_alu instid0(SALU_CYCLE_1)
	s_and_not1_b32 vcc_lo, exec_lo, s3
	s_waitcnt lgkmcnt(0)
	s_waitcnt_vscnt null, 0x0
	buffer_gl0_inv
	s_cbranch_vccnz .LBB65_161
; %bb.160:
	v_mov_b32_e32 v16, v17
.LBB65_161:
	s_delay_alu instid0(VALU_DEP_1) | instskip(SKIP_3) | instid1(VALU_DEP_1)
	v_add_nc_u32_e32 v4, s26, v16
	ds_load_2addr_b64 v[0:3], v6 offset1:1
	v_cmp_eq_u32_e64 s3, 0, v7
	v_ashrrev_i32_e32 v5, 31, v4
	v_lshlrev_b64 v[4:5], 4, v[4:5]
	s_delay_alu instid0(VALU_DEP_1) | instskip(NEXT) | instid1(VALU_DEP_2)
	v_add_co_u32 v4, vcc_lo, s18, v4
	v_add_co_ci_u32_e32 v5, vcc_lo, s19, v5, vcc_lo
	s_waitcnt lgkmcnt(0)
	global_store_b128 v[4:5], v[0:3], off
	s_branch .LBB65_167
.LBB65_162:
	v_or_b32_e32 v0, v14, v15
	s_mov_b32 s0, exec_lo
	s_delay_alu instid0(VALU_DEP_1)
	v_cmpx_eq_u32_e32 0, v0
	s_cbranch_execz .LBB65_166
; %bb.163:
	v_mbcnt_lo_u32_b32 v0, exec_lo, 0
	s_mov_b32 s1, exec_lo
	s_delay_alu instid0(VALU_DEP_1)
	v_cmpx_eq_u32_e32 0, v0
	s_cbranch_execz .LBB65_165
; %bb.164:
	s_add_i32 s2, s16, s17
	s_delay_alu instid0(SALU_CYCLE_1)
	v_dual_mov_b32 v0, 0 :: v_dual_mov_b32 v1, s2
	global_atomic_min_i32 v0, v1, s[10:11]
.LBB65_165:
	s_or_b32 exec_lo, exec_lo, s1
	s_delay_alu instid0(SALU_CYCLE_1)
	s_or_b32 s3, s3, exec_lo
.LBB65_166:
	s_or_b32 exec_lo, exec_lo, s0
.LBB65_167:
	s_and_saveexec_b32 s0, s3
	s_cbranch_execnz .LBB65_169
; %bb.168:
	s_nop 0
	s_sendmsg sendmsg(MSG_DEALLOC_VGPRS)
	s_endpgm
.LBB65_169:
	v_dual_mov_b32 v0, 0 :: v_dual_mov_b32 v1, 1
	s_add_u32 s0, s6, s8
	s_addc_u32 s1, s7, s9
	s_waitcnt_vscnt null, 0x0
	global_store_b32 v0, v1, s[0:1]
	s_nop 0
	s_sendmsg sendmsg(MSG_DEALLOC_VGPRS)
	s_endpgm
	.section	.rodata,"a",@progbits
	.p2align	6, 0x0
	.amdhsa_kernel _ZN9rocsparseL26bsric0_2_8_unrolled_kernelILi49ELi32ELi7E21rocsparse_complex_numIdEEEv20rocsparse_direction_iiPKiS5_PT2_S5_PiS5_S8_21rocsparse_index_base_
		.amdhsa_group_segment_fixed_size 3968
		.amdhsa_private_segment_fixed_size 0
		.amdhsa_kernarg_size 76
		.amdhsa_user_sgpr_count 15
		.amdhsa_user_sgpr_dispatch_ptr 0
		.amdhsa_user_sgpr_queue_ptr 0
		.amdhsa_user_sgpr_kernarg_segment_ptr 1
		.amdhsa_user_sgpr_dispatch_id 0
		.amdhsa_user_sgpr_private_segment_size 0
		.amdhsa_wavefront_size32 1
		.amdhsa_uses_dynamic_stack 0
		.amdhsa_enable_private_segment 0
		.amdhsa_system_sgpr_workgroup_id_x 1
		.amdhsa_system_sgpr_workgroup_id_y 0
		.amdhsa_system_sgpr_workgroup_id_z 0
		.amdhsa_system_sgpr_workgroup_info 0
		.amdhsa_system_vgpr_workitem_id 1
		.amdhsa_next_free_vgpr 75
		.amdhsa_next_free_sgpr 37
		.amdhsa_reserve_vcc 1
		.amdhsa_float_round_mode_32 0
		.amdhsa_float_round_mode_16_64 0
		.amdhsa_float_denorm_mode_32 3
		.amdhsa_float_denorm_mode_16_64 3
		.amdhsa_dx10_clamp 1
		.amdhsa_ieee_mode 1
		.amdhsa_fp16_overflow 0
		.amdhsa_workgroup_processor_mode 1
		.amdhsa_memory_ordered 1
		.amdhsa_forward_progress 0
		.amdhsa_shared_vgpr_count 0
		.amdhsa_exception_fp_ieee_invalid_op 0
		.amdhsa_exception_fp_denorm_src 0
		.amdhsa_exception_fp_ieee_div_zero 0
		.amdhsa_exception_fp_ieee_overflow 0
		.amdhsa_exception_fp_ieee_underflow 0
		.amdhsa_exception_fp_ieee_inexact 0
		.amdhsa_exception_int_div_zero 0
	.end_amdhsa_kernel
	.section	.text._ZN9rocsparseL26bsric0_2_8_unrolled_kernelILi49ELi32ELi7E21rocsparse_complex_numIdEEEv20rocsparse_direction_iiPKiS5_PT2_S5_PiS5_S8_21rocsparse_index_base_,"axG",@progbits,_ZN9rocsparseL26bsric0_2_8_unrolled_kernelILi49ELi32ELi7E21rocsparse_complex_numIdEEEv20rocsparse_direction_iiPKiS5_PT2_S5_PiS5_S8_21rocsparse_index_base_,comdat
.Lfunc_end65:
	.size	_ZN9rocsparseL26bsric0_2_8_unrolled_kernelILi49ELi32ELi7E21rocsparse_complex_numIdEEEv20rocsparse_direction_iiPKiS5_PT2_S5_PiS5_S8_21rocsparse_index_base_, .Lfunc_end65-_ZN9rocsparseL26bsric0_2_8_unrolled_kernelILi49ELi32ELi7E21rocsparse_complex_numIdEEEv20rocsparse_direction_iiPKiS5_PT2_S5_PiS5_S8_21rocsparse_index_base_
                                        ; -- End function
	.section	.AMDGPU.csdata,"",@progbits
; Kernel info:
; codeLenInByte = 17544
; NumSgprs: 39
; NumVgprs: 75
; ScratchSize: 0
; MemoryBound: 1
; FloatMode: 240
; IeeeMode: 1
; LDSByteSize: 3968 bytes/workgroup (compile time only)
; SGPRBlocks: 4
; VGPRBlocks: 9
; NumSGPRsForWavesPerEU: 39
; NumVGPRsForWavesPerEU: 75
; Occupancy: 16
; WaveLimiterHint : 1
; COMPUTE_PGM_RSRC2:SCRATCH_EN: 0
; COMPUTE_PGM_RSRC2:USER_SGPR: 15
; COMPUTE_PGM_RSRC2:TRAP_HANDLER: 0
; COMPUTE_PGM_RSRC2:TGID_X_EN: 1
; COMPUTE_PGM_RSRC2:TGID_Y_EN: 0
; COMPUTE_PGM_RSRC2:TGID_Z_EN: 0
; COMPUTE_PGM_RSRC2:TIDIG_COMP_CNT: 1
	.section	.text._ZN9rocsparseL26bsric0_2_8_unrolled_kernelILi64ELi32ELi8E21rocsparse_complex_numIdEEEv20rocsparse_direction_iiPKiS5_PT2_S5_PiS5_S8_21rocsparse_index_base_,"axG",@progbits,_ZN9rocsparseL26bsric0_2_8_unrolled_kernelILi64ELi32ELi8E21rocsparse_complex_numIdEEEv20rocsparse_direction_iiPKiS5_PT2_S5_PiS5_S8_21rocsparse_index_base_,comdat
	.globl	_ZN9rocsparseL26bsric0_2_8_unrolled_kernelILi64ELi32ELi8E21rocsparse_complex_numIdEEEv20rocsparse_direction_iiPKiS5_PT2_S5_PiS5_S8_21rocsparse_index_base_ ; -- Begin function _ZN9rocsparseL26bsric0_2_8_unrolled_kernelILi64ELi32ELi8E21rocsparse_complex_numIdEEEv20rocsparse_direction_iiPKiS5_PT2_S5_PiS5_S8_21rocsparse_index_base_
	.p2align	8
	.type	_ZN9rocsparseL26bsric0_2_8_unrolled_kernelILi64ELi32ELi8E21rocsparse_complex_numIdEEEv20rocsparse_direction_iiPKiS5_PT2_S5_PiS5_S8_21rocsparse_index_base_,@function
_ZN9rocsparseL26bsric0_2_8_unrolled_kernelILi64ELi32ELi8E21rocsparse_complex_numIdEEEv20rocsparse_direction_iiPKiS5_PT2_S5_PiS5_S8_21rocsparse_index_base_: ; @_ZN9rocsparseL26bsric0_2_8_unrolled_kernelILi64ELi32ELi8E21rocsparse_complex_numIdEEEv20rocsparse_direction_iiPKiS5_PT2_S5_PiS5_S8_21rocsparse_index_base_
; %bb.0:
	s_load_b256 s[4:11], s[0:1], 0x28
	s_mov_b32 s2, s15
	s_mov_b32 s3, 0
	v_and_b32_e32 v12, 0x3ff, v0
	s_lshl_b64 s[12:13], s[2:3], 2
	v_bfe_u32 v13, v0, 10, 10
	s_waitcnt lgkmcnt(0)
	s_add_u32 s8, s8, s12
	s_addc_u32 s9, s9, s13
	s_load_b32 s16, s[8:9], 0x0
	s_waitcnt lgkmcnt(0)
	s_ashr_i32 s17, s16, 31
	s_delay_alu instid0(SALU_CYCLE_1) | instskip(NEXT) | instid1(SALU_CYCLE_1)
	s_lshl_b64 s[8:9], s[16:17], 2
	s_add_u32 s12, s4, s8
	s_addc_u32 s13, s5, s9
	s_load_b32 s26, s[12:13], 0x0
	s_load_b32 s17, s[0:1], 0x48
	s_waitcnt lgkmcnt(0)
	s_cmp_lg_u32 s26, -1
	s_cbranch_scc0 .LBB66_6
; %bb.1:
	s_clause 0x1
	s_load_b128 s[12:15], s[0:1], 0x10
	s_load_b64 s[18:19], s[0:1], 0x20
	v_lshlrev_b32_e32 v17, 3, v13
	s_delay_alu instid0(VALU_DEP_1)
	v_add_nc_u32_e32 v16, v17, v12
	s_waitcnt lgkmcnt(0)
	s_add_u32 s2, s12, s8
	s_addc_u32 s3, s13, s9
	s_load_b32 s2, s[2:3], 0x0
	s_mov_b32 s3, exec_lo
	s_waitcnt lgkmcnt(0)
	s_sub_i32 s27, s2, s17
	s_delay_alu instid0(SALU_CYCLE_1) | instskip(NEXT) | instid1(VALU_DEP_1)
	v_add_nc_u32_e32 v0, s27, v16
	v_cmpx_ge_i32_e64 s26, v0
	s_cbranch_execz .LBB66_4
; %bb.2:
	v_ashrrev_i32_e32 v1, 31, v0
	v_lshlrev_b32_e32 v3, 5, v13
	v_lshlrev_b32_e32 v4, 2, v12
	s_mov_b32 s20, 0
	s_delay_alu instid0(VALU_DEP_3) | instskip(NEXT) | instid1(VALU_DEP_2)
	v_lshlrev_b64 v[1:2], 2, v[0:1]
	v_add3_u32 v3, v3, v4, 0x1300
	s_delay_alu instid0(VALU_DEP_2) | instskip(NEXT) | instid1(VALU_DEP_3)
	v_add_co_u32 v1, vcc_lo, s14, v1
	v_add_co_ci_u32_e32 v2, vcc_lo, s15, v2, vcc_lo
	.p2align	6
.LBB66_3:                               ; =>This Inner Loop Header: Depth=1
	global_load_b32 v4, v[1:2], off
	v_add_nc_u32_e32 v0, 64, v0
	v_add_co_u32 v1, vcc_lo, 0x100, v1
	v_add_co_ci_u32_e32 v2, vcc_lo, 0, v2, vcc_lo
	s_delay_alu instid0(VALU_DEP_3) | instskip(NEXT) | instid1(VALU_DEP_1)
	v_cmp_lt_i32_e64 s2, s26, v0
	s_or_b32 s20, s2, s20
	s_waitcnt vmcnt(0)
	v_subrev_nc_u32_e32 v4, s17, v4
	ds_store_b32 v3, v4
	v_add_nc_u32_e32 v3, 0x100, v3
	s_and_not1_b32 exec_lo, exec_lo, s20
	s_cbranch_execnz .LBB66_3
.LBB66_4:
	s_or_b32 exec_lo, exec_lo, s3
	v_mov_b32_e32 v0, 0
	v_lshlrev_b32_e32 v18, 4, v12
	s_mov_b32 s2, 0
	s_cmp_lt_i32 s27, s26
	s_delay_alu instid0(VALU_DEP_2) | instskip(NEXT) | instid1(VALU_DEP_2)
	v_mov_b32_e32 v1, v0
	v_mad_u32_u24 v19, 0x90, v13, v18
	v_mov_b32_e32 v2, v0
	v_mov_b32_e32 v3, v0
	ds_store_b128 v19, v[0:3] offset:3456
	s_waitcnt lgkmcnt(0)
	buffer_gl0_inv
	s_cbranch_scc1 .LBB66_7
; %bb.5:
	v_lshl_add_u32 v20, v12, 3, v13
	v_or_b32_e32 v14, v12, v13
	s_load_b32 s28, s[0:1], 0x0
	v_add_nc_u32_e32 v15, 0xd80, v19
	s_and_not1_b32 vcc_lo, exec_lo, s2
	s_cbranch_vccz .LBB66_8
	s_branch .LBB66_65
.LBB66_6:
	s_cbranch_execnz .LBB66_178
	s_branch .LBB66_183
.LBB66_7:
                                        ; implicit-def: $vgpr20
                                        ; implicit-def: $vgpr14
	s_load_b32 s28, s[0:1], 0x0
	v_add_nc_u32_e32 v15, 0xd80, v19
.LBB66_8:
	v_dual_mov_b32 v28, 0 :: v_dual_lshlrev_b32 v21, 3, v12
	s_movk_i32 s1, 0x90
	s_movk_i32 s0, 0x480
	v_mad_u32_u24 v22, v13, s1, 0x900
	s_delay_alu instid0(VALU_DEP_2)
	v_add_nc_u32_e32 v20, v21, v13
	v_mad_u32_u24 v23, 0x90, v13, s0
	v_or_b32_e32 v14, v12, v13
	s_waitcnt lgkmcnt(0)
	s_cmp_eq_u32 s28, 0
	v_mad_u32_u24 v26, v12, s1, 0x900
	s_cselect_b32 vcc_lo, -1, 0
	v_dual_cndmask_b32 v27, v20, v16 :: v_dual_add_nc_u32 v24, v22, v18
	v_add_nc_u32_e32 v25, v23, v18
	v_cmp_ne_u32_e64 s0, 0, v14
	s_cmp_lg_u32 s28, 0
	s_mov_b32 s2, s27
	s_cselect_b32 s29, -1, 0
	s_branch .LBB66_12
.LBB66_9:                               ;   in Loop: Header=BB66_12 Depth=1
	s_or_b32 exec_lo, exec_lo, s20
	v_mov_b32_e32 v6, 0
	v_dual_mov_b32 v7, 0x3ff00000 :: v_dual_mov_b32 v8, 0
	v_mov_b32_e32 v9, 0
.LBB66_10:                              ;   in Loop: Header=BB66_12 Depth=1
	s_or_b32 exec_lo, exec_lo, s1
	ds_load_b128 v[29:32], v22
	ds_load_b128 v[33:36], v23 offset:112
	ds_load_b128 v[37:40], v28 offset:1008
	;; [unrolled: 1-line block ×4, first 2 shown]
	s_add_i32 s2, s2, 1
	s_delay_alu instid0(SALU_CYCLE_1) | instskip(SKIP_4) | instid1(VALU_DEP_2)
	s_cmp_ge_i32 s2, s26
	s_cselect_b32 s23, -1, 0
	s_waitcnt lgkmcnt(2)
	v_fma_f64 v[10:11], v[39:40], v[29:30], v[35:36]
	v_fma_f64 v[29:30], v[37:38], v[29:30], v[33:34]
	v_fma_f64 v[10:11], v[37:38], -v[31:32], v[10:11]
	s_delay_alu instid0(VALU_DEP_2) | instskip(SKIP_1) | instid1(VALU_DEP_2)
	v_fma_f64 v[29:30], v[39:40], v[31:32], v[29:30]
	s_waitcnt lgkmcnt(0)
	v_fma_f64 v[10:11], v[43:44], v[45:46], v[10:11]
	s_delay_alu instid0(VALU_DEP_2) | instskip(NEXT) | instid1(VALU_DEP_2)
	v_fma_f64 v[29:30], v[41:42], v[45:46], v[29:30]
	v_fma_f64 v[10:11], v[41:42], -v[47:48], v[10:11]
	s_delay_alu instid0(VALU_DEP_2)
	v_fma_f64 v[45:46], v[43:44], v[47:48], v[29:30]
	ds_load_b128 v[29:32], v22 offset:32
	ds_load_b128 v[33:36], v28 offset:1040
	;; [unrolled: 1-line block ×4, first 2 shown]
	s_waitcnt lgkmcnt(2)
	v_fma_f64 v[10:11], v[35:36], v[29:30], v[10:11]
	v_fma_f64 v[29:30], v[33:34], v[29:30], v[45:46]
	v_mul_f64 v[45:46], v[8:9], v[8:9]
	s_delay_alu instid0(VALU_DEP_3) | instskip(NEXT) | instid1(VALU_DEP_3)
	v_fma_f64 v[10:11], v[33:34], -v[31:32], v[10:11]
	v_fma_f64 v[29:30], v[35:36], v[31:32], v[29:30]
	s_delay_alu instid0(VALU_DEP_3) | instskip(SKIP_1) | instid1(VALU_DEP_3)
	v_fma_f64 v[45:46], v[6:7], v[6:7], v[45:46]
	s_waitcnt lgkmcnt(0)
	v_fma_f64 v[10:11], v[39:40], v[41:42], v[10:11]
	s_delay_alu instid0(VALU_DEP_3) | instskip(NEXT) | instid1(VALU_DEP_3)
	v_fma_f64 v[29:30], v[37:38], v[41:42], v[29:30]
	v_div_scale_f64 v[41:42], null, v[45:46], v[45:46], 1.0
	v_div_scale_f64 v[47:48], vcc_lo, 1.0, v[45:46], 1.0
	s_delay_alu instid0(VALU_DEP_4) | instskip(NEXT) | instid1(VALU_DEP_4)
	v_fma_f64 v[10:11], v[37:38], -v[43:44], v[10:11]
	v_fma_f64 v[37:38], v[39:40], v[43:44], v[29:30]
	ds_load_b128 v[29:32], v28 offset:1072
	ds_load_b128 v[33:36], v22 offset:64
	v_rcp_f64_e32 v[39:40], v[41:42]
	s_waitcnt lgkmcnt(0)
	v_fma_f64 v[10:11], v[31:32], v[33:34], v[10:11]
	v_fma_f64 v[33:34], v[29:30], v[33:34], v[37:38]
	s_waitcnt_depctr 0xfff
	v_fma_f64 v[37:38], -v[41:42], v[39:40], 1.0
	v_fma_f64 v[10:11], v[29:30], -v[35:36], v[10:11]
	v_fma_f64 v[43:44], v[31:32], v[35:36], v[33:34]
	ds_load_b128 v[29:32], v28 offset:1088
	ds_load_b128 v[33:36], v22 offset:80
	v_fma_f64 v[37:38], v[39:40], v[37:38], v[39:40]
	s_waitcnt lgkmcnt(0)
	v_fma_f64 v[10:11], v[31:32], v[33:34], v[10:11]
	v_fma_f64 v[33:34], v[29:30], v[33:34], v[43:44]
	s_delay_alu instid0(VALU_DEP_3) | instskip(NEXT) | instid1(VALU_DEP_3)
	v_fma_f64 v[39:40], -v[41:42], v[37:38], 1.0
	v_fma_f64 v[10:11], v[29:30], -v[35:36], v[10:11]
	s_delay_alu instid0(VALU_DEP_3)
	v_fma_f64 v[43:44], v[31:32], v[35:36], v[33:34]
	ds_load_b128 v[29:32], v22 offset:96
	ds_load_b128 v[33:36], v28 offset:1104
	v_fma_f64 v[37:38], v[37:38], v[39:40], v[37:38]
	s_waitcnt lgkmcnt(0)
	v_fma_f64 v[10:11], v[35:36], v[29:30], v[10:11]
	v_fma_f64 v[29:30], v[33:34], v[29:30], v[43:44]
	s_delay_alu instid0(VALU_DEP_3) | instskip(NEXT) | instid1(VALU_DEP_3)
	v_mul_f64 v[39:40], v[47:48], v[37:38]
	v_fma_f64 v[10:11], v[33:34], -v[31:32], v[10:11]
	s_delay_alu instid0(VALU_DEP_3) | instskip(NEXT) | instid1(VALU_DEP_3)
	v_fma_f64 v[29:30], v[35:36], v[31:32], v[29:30]
	v_fma_f64 v[31:32], -v[41:42], v[39:40], v[47:48]
	s_delay_alu instid0(VALU_DEP_3) | instskip(NEXT) | instid1(VALU_DEP_3)
	v_add_f64 v[2:3], v[2:3], -v[10:11]
	v_add_f64 v[0:1], v[0:1], -v[29:30]
	s_delay_alu instid0(VALU_DEP_3) | instskip(NEXT) | instid1(VALU_DEP_3)
	v_div_fmas_f64 v[10:11], v[31:32], v[37:38], v[39:40]
	v_mul_f64 v[29:30], v[8:9], v[2:3]
	s_delay_alu instid0(VALU_DEP_3) | instskip(NEXT) | instid1(VALU_DEP_3)
	v_mul_f64 v[8:9], v[8:9], -v[0:1]
	v_div_fixup_f64 v[10:11], v[10:11], v[45:46], 1.0
	s_delay_alu instid0(VALU_DEP_3) | instskip(NEXT) | instid1(VALU_DEP_3)
	v_fma_f64 v[0:1], v[0:1], v[6:7], v[29:30]
	v_fma_f64 v[2:3], v[2:3], v[6:7], v[8:9]
	s_delay_alu instid0(VALU_DEP_2) | instskip(NEXT) | instid1(VALU_DEP_2)
	v_mul_f64 v[0:1], v[10:11], v[0:1]
	v_mul_f64 v[2:3], v[10:11], v[2:3]
	ds_store_b128 v22, v[0:3] offset:112
	s_waitcnt lgkmcnt(0)
	s_waitcnt_vscnt null, 0x0
	buffer_gl0_inv
	ds_load_b128 v[6:9], v26 offset:112
	ds_load_b128 v[29:32], v15
	s_waitcnt lgkmcnt(0)
	v_fma_f64 v[10:11], v[0:1], v[6:7], v[29:30]
	v_fma_f64 v[29:30], v[2:3], v[6:7], v[31:32]
	s_delay_alu instid0(VALU_DEP_2) | instskip(NEXT) | instid1(VALU_DEP_2)
	v_fma_f64 v[6:7], v[2:3], v[8:9], v[10:11]
	v_fma_f64 v[8:9], v[0:1], -v[8:9], v[29:30]
	ds_store_b128 v15, v[6:9]
	s_waitcnt lgkmcnt(0)
	buffer_gl0_inv
	ds_load_2addr_b64 v[0:3], v24 offset1:1
	s_waitcnt lgkmcnt(0)
	global_store_b128 v[4:5], v[0:3], off
	s_waitcnt_vscnt null, 0x0
	buffer_gl1_inv
	buffer_gl0_inv
.LBB66_11:                              ;   in Loop: Header=BB66_12 Depth=1
	s_and_b32 vcc_lo, exec_lo, s23
	s_cbranch_vccnz .LBB66_65
.LBB66_12:                              ; =>This Loop Header: Depth=1
                                        ;     Child Loop BB66_15 Depth 2
                                        ;     Child Loop BB66_26 Depth 2
	s_ashr_i32 s3, s2, 31
	s_delay_alu instid0(SALU_CYCLE_1) | instskip(NEXT) | instid1(SALU_CYCLE_1)
	s_lshl_b64 s[20:21], s[2:3], 2
	s_add_u32 s20, s14, s20
	s_addc_u32 s21, s15, s21
	s_load_b32 s3, s[20:21], 0x0
	s_waitcnt lgkmcnt(0)
	s_sub_i32 s22, s3, s17
	s_delay_alu instid0(SALU_CYCLE_1) | instskip(NEXT) | instid1(SALU_CYCLE_1)
	s_ashr_i32 s23, s22, 31
	s_lshl_b64 s[20:21], s[22:23], 2
	s_mov_b32 s23, -1
	s_add_u32 s24, s4, s20
	s_addc_u32 s25, s5, s21
	s_load_b32 s1, s[24:25], 0x0
	s_waitcnt lgkmcnt(0)
	s_cmp_eq_u32 s1, -1
	s_cbranch_scc1 .LBB66_11
; %bb.13:                               ;   in Loop: Header=BB66_12 Depth=1
	v_lshl_add_u32 v0, s2, 6, v27
	s_add_u32 s24, s12, s20
	s_addc_u32 s25, s13, s21
	ds_load_b32 v6, v28 offset:4864
	s_load_b32 s23, s[24:25], 0x0
	v_ashrrev_i32_e32 v1, 31, v0
	s_delay_alu instid0(VALU_DEP_1) | instskip(NEXT) | instid1(VALU_DEP_1)
	v_lshlrev_b64 v[0:1], 4, v[0:1]
	v_add_co_u32 v4, vcc_lo, s18, v0
	s_delay_alu instid0(VALU_DEP_2) | instskip(SKIP_4) | instid1(SALU_CYCLE_1)
	v_add_co_ci_u32_e32 v5, vcc_lo, s19, v1, vcc_lo
	s_waitcnt lgkmcnt(0)
	v_cmp_ge_i32_e32 vcc_lo, s22, v6
	global_load_b128 v[0:3], v[4:5], off
	s_sub_i32 s24, s23, s17
	s_cmp_le_i32 s24, s1
	s_cselect_b32 s23, -1, 0
	s_delay_alu instid0(SALU_CYCLE_1) | instskip(NEXT) | instid1(SALU_CYCLE_1)
	s_and_b32 s23, s23, vcc_lo
	s_and_not1_b32 vcc_lo, exec_lo, s23
	s_mov_b32 s23, 0
	s_waitcnt vmcnt(0)
	ds_store_2addr_b64 v24, v[0:1], v[2:3] offset1:1
	s_cbranch_vccnz .LBB66_25
; %bb.14:                               ;   in Loop: Header=BB66_12 Depth=1
	s_mov_b32 s30, 0
	s_mov_b32 s31, 0
.LBB66_15:                              ;   Parent Loop BB66_12 Depth=1
                                        ; =>  This Inner Loop Header: Depth=2
	s_ashr_i32 s25, s24, 31
                                        ; implicit-def: $sgpr33
	s_delay_alu instid0(SALU_CYCLE_1) | instskip(NEXT) | instid1(SALU_CYCLE_1)
	s_lshl_b64 s[34:35], s[24:25], 2
	s_add_u32 s34, s14, s34
	s_addc_u32 s35, s15, s35
	s_lshl_b32 s23, s31, 2
	s_delay_alu instid0(SALU_CYCLE_1)
	v_mov_b32_e32 v0, s23
	s_load_b32 s23, s[34:35], 0x0
	s_mov_b32 s35, -1
                                        ; implicit-def: $sgpr34
	ds_load_b32 v0, v0 offset:4864
	s_waitcnt lgkmcnt(0)
	s_sub_i32 s36, s23, s17
                                        ; implicit-def: $sgpr23
	s_delay_alu instid0(SALU_CYCLE_1)
	v_cmp_ge_i32_e32 vcc_lo, s36, v0
	v_readfirstlane_b32 s25, v0
	s_cbranch_vccz .LBB66_21
; %bb.16:                               ;   in Loop: Header=BB66_15 Depth=2
	s_delay_alu instid0(VALU_DEP_1)
	s_cmp_le_i32 s36, s25
                                        ; implicit-def: $sgpr23
                                        ; implicit-def: $sgpr34
                                        ; implicit-def: $sgpr33
	s_cbranch_scc0 .LBB66_18
; %bb.17:                               ;   in Loop: Header=BB66_15 Depth=2
	s_add_i32 s23, s31, s27
	s_lshl_b32 s33, s30, 2
	s_lshl_b32 s23, s23, 6
	;; [unrolled: 1-line block ×3, first 2 shown]
	s_delay_alu instid0(SALU_CYCLE_1)
	v_dual_mov_b32 v0, s23 :: v_dual_mov_b32 v1, s34
	v_add_nc_u32_e64 v2, 0x1000, s33
	s_add_i32 s33, s31, 1
	s_add_i32 s34, s24, 1
	s_add_i32 s23, s30, 1
	s_mov_b32 s35, 0
	ds_store_2addr_b32 v2, v1, v0 offset0:128 offset1:160
.LBB66_18:                              ;   in Loop: Header=BB66_15 Depth=2
	s_and_not1_b32 vcc_lo, exec_lo, s35
	s_cbranch_vccnz .LBB66_20
; %bb.19:                               ;   in Loop: Header=BB66_15 Depth=2
	s_add_i32 s33, s31, 1
	s_mov_b32 s23, s30
	s_mov_b32 s34, s24
.LBB66_20:                              ;   in Loop: Header=BB66_15 Depth=2
	s_mov_b32 s35, 0
.LBB66_21:                              ;   in Loop: Header=BB66_15 Depth=2
	s_delay_alu instid0(SALU_CYCLE_1)
	s_and_not1_b32 vcc_lo, exec_lo, s35
	s_cbranch_vccnz .LBB66_23
; %bb.22:                               ;   in Loop: Header=BB66_15 Depth=2
	s_add_i32 s34, s24, 1
	s_mov_b32 s33, s31
	s_mov_b32 s23, s30
.LBB66_23:                              ;   in Loop: Header=BB66_15 Depth=2
	s_cmp_le_i32 s34, s1
	s_cselect_b32 s24, -1, 0
	s_cmp_le_i32 s25, s22
	s_cselect_b32 s25, -1, 0
	s_delay_alu instid0(SALU_CYCLE_1) | instskip(NEXT) | instid1(SALU_CYCLE_1)
	s_and_b32 s24, s24, s25
	s_and_b32 vcc_lo, exec_lo, s24
	s_cbranch_vccz .LBB66_25
; %bb.24:                               ;   in Loop: Header=BB66_15 Depth=2
	s_mov_b32 s30, s23
	s_mov_b32 s24, s34
	;; [unrolled: 1-line block ×3, first 2 shown]
	s_branch .LBB66_15
.LBB66_25:                              ;   in Loop: Header=BB66_12 Depth=1
	s_add_u32 s20, s6, s20
	s_addc_u32 s21, s7, s21
	s_waitcnt lgkmcnt(0)
	buffer_gl0_inv
.LBB66_26:                              ;   Parent Loop BB66_12 Depth=1
                                        ; =>  This Inner Loop Header: Depth=2
	global_load_b32 v0, v28, s[20:21] glc
	s_waitcnt vmcnt(0)
	v_cmp_eq_u32_e32 vcc_lo, 0, v0
	s_cbranch_vccnz .LBB66_26
; %bb.27:                               ;   in Loop: Header=BB66_12 Depth=1
	v_lshl_add_u32 v0, s1, 6, v27
	buffer_gl1_inv
	buffer_gl0_inv
	v_mov_b32_e32 v2, 0
	v_mov_b32_e32 v3, 0
	s_cmp_lt_i32 s23, 2
	v_ashrrev_i32_e32 v1, 31, v0
	s_delay_alu instid0(VALU_DEP_1) | instskip(NEXT) | instid1(VALU_DEP_1)
	v_lshlrev_b64 v[0:1], 4, v[0:1]
	v_add_co_u32 v0, vcc_lo, s18, v0
	s_delay_alu instid0(VALU_DEP_2)
	v_add_co_ci_u32_e32 v1, vcc_lo, s19, v1, vcc_lo
	global_load_b128 v[6:9], v[0:1], off
	v_dual_mov_b32 v0, v2 :: v_dual_mov_b32 v1, v3
	s_waitcnt vmcnt(0)
	ds_store_2addr_b64 v19, v[6:7], v[8:9] offset1:1
	s_waitcnt lgkmcnt(0)
	buffer_gl0_inv
	s_cbranch_scc1 .LBB66_34
; %bb.28:                               ;   in Loop: Header=BB66_12 Depth=1
	v_mov_b32_e32 v6, 0
	v_mov_b32_e32 v7, 0
	s_add_i32 s1, s23, -1
	s_movk_i32 s20, 0x1200
	s_delay_alu instid0(VALU_DEP_1)
	v_dual_mov_b32 v9, v7 :: v_dual_mov_b32 v8, v6
	v_mov_b32_e32 v0, s20
	s_and_b32 vcc_lo, exec_lo, s29
	ds_load_2addr_b32 v[10:11], v0 offset1:32
	s_cbranch_vccz .LBB66_30
.LBB66_29:                              ;   in Loop: Header=BB66_12 Depth=1
	s_waitcnt lgkmcnt(0)
	v_add_nc_u32_e32 v65, v10, v12
	v_add_nc_u32_e32 v67, v11, v13
	s_delay_alu instid0(VALU_DEP_2) | instskip(NEXT) | instid1(VALU_DEP_2)
	v_ashrrev_i32_e32 v66, 31, v65
	v_ashrrev_i32_e32 v68, 31, v67
	v_add_nc_u32_e32 v33, 8, v65
	v_add_nc_u32_e32 v35, 8, v67
	;; [unrolled: 1-line block ×3, first 2 shown]
	v_lshlrev_b64 v[0:1], 4, v[65:66]
	v_lshlrev_b64 v[2:3], 4, v[67:68]
	v_ashrrev_i32_e32 v34, 31, v33
	v_ashrrev_i32_e32 v36, 31, v35
	v_add_nc_u32_e32 v43, 16, v67
	v_ashrrev_i32_e32 v42, 31, v41
	v_add_co_u32 v0, vcc_lo, s18, v0
	v_add_co_ci_u32_e32 v1, vcc_lo, s19, v1, vcc_lo
	v_add_co_u32 v29, vcc_lo, s18, v2
	v_add_co_ci_u32_e32 v30, vcc_lo, s19, v3, vcc_lo
	v_lshlrev_b64 v[33:34], 4, v[33:34]
	s_clause 0x1
	global_load_b128 v[0:3], v[0:1], off
	global_load_b128 v[29:32], v[29:30], off
	v_lshlrev_b64 v[35:36], 4, v[35:36]
	v_ashrrev_i32_e32 v44, 31, v43
	v_lshlrev_b64 v[41:42], 4, v[41:42]
	v_add_co_u32 v33, vcc_lo, s18, v33
	v_add_co_ci_u32_e32 v34, vcc_lo, s19, v34, vcc_lo
	v_add_co_u32 v37, vcc_lo, s18, v35
	v_add_co_ci_u32_e32 v38, vcc_lo, s19, v36, vcc_lo
	s_clause 0x1
	global_load_b128 v[33:36], v[33:34], off
	global_load_b128 v[37:40], v[37:38], off
	v_lshlrev_b64 v[43:44], 4, v[43:44]
	v_add_co_u32 v41, vcc_lo, s18, v41
	v_add_co_ci_u32_e32 v42, vcc_lo, s19, v42, vcc_lo
	v_add_nc_u32_e32 v49, 24, v65
	s_delay_alu instid0(VALU_DEP_4)
	v_add_co_u32 v45, vcc_lo, s18, v43
	v_add_co_ci_u32_e32 v46, vcc_lo, s19, v44, vcc_lo
	s_clause 0x1
	global_load_b128 v[41:44], v[41:42], off
	global_load_b128 v[45:48], v[45:46], off
	v_add_nc_u32_e32 v51, 24, v67
	v_ashrrev_i32_e32 v50, 31, v49
	v_add_nc_u32_e32 v57, 32, v65
	v_add_nc_u32_e32 v59, 32, v67
	;; [unrolled: 1-line block ×3, first 2 shown]
	v_ashrrev_i32_e32 v52, 31, v51
	v_lshlrev_b64 v[49:50], 4, v[49:50]
	v_ashrrev_i32_e32 v58, 31, v57
	v_ashrrev_i32_e32 v60, 31, v59
	v_add_nc_u32_e32 v72, 40, v67
	v_lshlrev_b64 v[51:52], 4, v[51:52]
	v_ashrrev_i32_e32 v71, 31, v70
	v_add_co_u32 v49, vcc_lo, s18, v49
	v_add_co_ci_u32_e32 v50, vcc_lo, s19, v50, vcc_lo
	s_delay_alu instid0(VALU_DEP_4)
	v_add_co_u32 v53, vcc_lo, s18, v51
	v_add_co_ci_u32_e32 v54, vcc_lo, s19, v52, vcc_lo
	s_clause 0x1
	global_load_b128 v[49:52], v[49:50], off
	global_load_b128 v[53:56], v[53:54], off
	v_lshlrev_b64 v[57:58], 4, v[57:58]
	v_lshlrev_b64 v[59:60], 4, v[59:60]
	v_ashrrev_i32_e32 v73, 31, v72
	s_delay_alu instid0(VALU_DEP_3) | instskip(NEXT) | instid1(VALU_DEP_4)
	v_add_co_u32 v57, vcc_lo, s18, v57
	v_add_co_ci_u32_e32 v58, vcc_lo, s19, v58, vcc_lo
	s_delay_alu instid0(VALU_DEP_4)
	v_add_co_u32 v61, vcc_lo, s18, v59
	v_add_co_ci_u32_e32 v62, vcc_lo, s19, v60, vcc_lo
	s_clause 0x1
	global_load_b128 v[57:60], v[57:58], off
	global_load_b128 v[61:64], v[61:62], off
	s_waitcnt vmcnt(8)
	v_fma_f64 v[68:69], v[0:1], v[29:30], v[8:9]
	v_fma_f64 v[29:30], v[2:3], v[29:30], v[6:7]
	s_delay_alu instid0(VALU_DEP_2) | instskip(NEXT) | instid1(VALU_DEP_2)
	v_fma_f64 v[68:69], v[2:3], v[31:32], v[68:69]
	v_fma_f64 v[74:75], v[0:1], -v[31:32], v[29:30]
	v_lshlrev_b64 v[0:1], 4, v[70:71]
	v_lshlrev_b64 v[2:3], 4, v[72:73]
	v_add_nc_u32_e32 v70, 48, v65
	v_add_nc_u32_e32 v72, 48, v67
	;; [unrolled: 1-line block ×4, first 2 shown]
	v_add_co_u32 v0, vcc_lo, s18, v0
	v_add_co_ci_u32_e32 v1, vcc_lo, s19, v1, vcc_lo
	v_add_co_u32 v29, vcc_lo, s18, v2
	v_add_co_ci_u32_e32 v30, vcc_lo, s19, v3, vcc_lo
	s_clause 0x1
	global_load_b128 v[0:3], v[0:1], off
	global_load_b128 v[29:32], v[29:30], off
	v_ashrrev_i32_e32 v71, 31, v70
	v_ashrrev_i32_e32 v73, 31, v72
	;; [unrolled: 1-line block ×3, first 2 shown]
	s_waitcnt vmcnt(8)
	v_fma_f64 v[68:69], v[33:34], v[37:38], v[68:69]
	v_fma_f64 v[37:38], v[35:36], v[37:38], v[74:75]
	s_delay_alu instid0(VALU_DEP_2) | instskip(NEXT) | instid1(VALU_DEP_2)
	v_fma_f64 v[68:69], v[35:36], v[39:40], v[68:69]
	v_fma_f64 v[74:75], v[33:34], -v[39:40], v[37:38]
	v_lshlrev_b64 v[33:34], 4, v[70:71]
	v_lshlrev_b64 v[35:36], 4, v[72:73]
	s_delay_alu instid0(VALU_DEP_2) | instskip(NEXT) | instid1(VALU_DEP_3)
	v_add_co_u32 v33, vcc_lo, s18, v33
	v_add_co_ci_u32_e32 v34, vcc_lo, s19, v34, vcc_lo
	s_delay_alu instid0(VALU_DEP_3) | instskip(NEXT) | instid1(VALU_DEP_4)
	v_add_co_u32 v37, vcc_lo, s18, v35
	v_add_co_ci_u32_e32 v38, vcc_lo, s19, v36, vcc_lo
	s_clause 0x1
	global_load_b128 v[33:36], v[33:34], off
	global_load_b128 v[37:40], v[37:38], off
	s_waitcnt vmcnt(8)
	v_fma_f64 v[68:69], v[41:42], v[45:46], v[68:69]
	v_fma_f64 v[45:46], v[43:44], v[45:46], v[74:75]
	s_delay_alu instid0(VALU_DEP_2) | instskip(NEXT) | instid1(VALU_DEP_2)
	v_fma_f64 v[69:70], v[43:44], v[47:48], v[68:69]
	v_fma_f64 v[71:72], v[41:42], -v[47:48], v[45:46]
	v_ashrrev_i32_e32 v68, 31, v67
	v_lshlrev_b64 v[41:42], 4, v[65:66]
	s_delay_alu instid0(VALU_DEP_2) | instskip(NEXT) | instid1(VALU_DEP_2)
	v_lshlrev_b64 v[43:44], 4, v[67:68]
	v_add_co_u32 v41, vcc_lo, s18, v41
	s_delay_alu instid0(VALU_DEP_3) | instskip(NEXT) | instid1(VALU_DEP_3)
	v_add_co_ci_u32_e32 v42, vcc_lo, s19, v42, vcc_lo
	v_add_co_u32 v45, vcc_lo, s18, v43
	s_delay_alu instid0(VALU_DEP_4)
	v_add_co_ci_u32_e32 v46, vcc_lo, s19, v44, vcc_lo
	s_clause 0x1
	global_load_b128 v[41:44], v[41:42], off
	global_load_b128 v[45:48], v[45:46], off
	s_waitcnt vmcnt(8)
	v_fma_f64 v[65:66], v[49:50], v[53:54], v[69:70]
	v_fma_f64 v[53:54], v[51:52], v[53:54], v[71:72]
	s_delay_alu instid0(VALU_DEP_2) | instskip(NEXT) | instid1(VALU_DEP_2)
	v_fma_f64 v[51:52], v[51:52], v[55:56], v[65:66]
	v_fma_f64 v[49:50], v[49:50], -v[55:56], v[53:54]
	s_waitcnt vmcnt(6)
	s_delay_alu instid0(VALU_DEP_2) | instskip(NEXT) | instid1(VALU_DEP_2)
	v_fma_f64 v[51:52], v[57:58], v[61:62], v[51:52]
	v_fma_f64 v[49:50], v[59:60], v[61:62], v[49:50]
	s_delay_alu instid0(VALU_DEP_2) | instskip(NEXT) | instid1(VALU_DEP_2)
	v_fma_f64 v[51:52], v[59:60], v[63:64], v[51:52]
	v_fma_f64 v[49:50], v[57:58], -v[63:64], v[49:50]
	s_waitcnt vmcnt(4)
	s_delay_alu instid0(VALU_DEP_2) | instskip(NEXT) | instid1(VALU_DEP_2)
	;; [unrolled: 7-line block ×4, first 2 shown]
	v_fma_f64 v[2:3], v[41:42], v[45:46], v[2:3]
	v_fma_f64 v[29:30], v[43:44], v[45:46], v[0:1]
	s_delay_alu instid0(VALU_DEP_2) | instskip(NEXT) | instid1(VALU_DEP_2)
	v_fma_f64 v[0:1], v[43:44], v[47:48], v[2:3]
	v_fma_f64 v[2:3], v[41:42], -v[47:48], v[29:30]
	s_cbranch_execz .LBB66_31
	s_branch .LBB66_32
.LBB66_30:                              ;   in Loop: Header=BB66_12 Depth=1
                                        ; implicit-def: $vgpr2_vgpr3
.LBB66_31:                              ;   in Loop: Header=BB66_12 Depth=1
	s_waitcnt lgkmcnt(0)
	v_add_nc_u32_e32 v0, v10, v21
	v_add_nc_u32_e32 v2, v11, v17
	s_delay_alu instid0(VALU_DEP_2) | instskip(NEXT) | instid1(VALU_DEP_2)
	v_ashrrev_i32_e32 v1, 31, v0
	v_ashrrev_i32_e32 v3, 31, v2
	s_delay_alu instid0(VALU_DEP_2) | instskip(NEXT) | instid1(VALU_DEP_2)
	v_lshlrev_b64 v[0:1], 4, v[0:1]
	v_lshlrev_b64 v[2:3], 4, v[2:3]
	s_delay_alu instid0(VALU_DEP_2) | instskip(NEXT) | instid1(VALU_DEP_3)
	v_add_co_u32 v10, vcc_lo, s18, v0
	v_add_co_ci_u32_e32 v11, vcc_lo, s19, v1, vcc_lo
	s_delay_alu instid0(VALU_DEP_3) | instskip(NEXT) | instid1(VALU_DEP_4)
	v_add_co_u32 v65, vcc_lo, s18, v2
	v_add_co_ci_u32_e32 v66, vcc_lo, s19, v3, vcc_lo
	s_clause 0x9
	global_load_b128 v[0:3], v[10:11], off
	global_load_b128 v[29:32], v[65:66], off
	global_load_b128 v[33:36], v[10:11], off offset:16
	global_load_b128 v[37:40], v[65:66], off offset:16
	;; [unrolled: 1-line block ×8, first 2 shown]
	s_waitcnt vmcnt(8)
	v_fma_f64 v[8:9], v[0:1], v[29:30], v[8:9]
	v_fma_f64 v[6:7], v[2:3], v[29:30], v[6:7]
	s_delay_alu instid0(VALU_DEP_2) | instskip(NEXT) | instid1(VALU_DEP_2)
	v_fma_f64 v[29:30], v[2:3], v[31:32], v[8:9]
	v_fma_f64 v[31:32], v[0:1], -v[31:32], v[6:7]
	s_clause 0x1
	global_load_b128 v[0:3], v[10:11], off offset:80
	global_load_b128 v[6:9], v[65:66], off offset:80
	s_waitcnt vmcnt(8)
	v_fma_f64 v[29:30], v[33:34], v[37:38], v[29:30]
	v_fma_f64 v[31:32], v[35:36], v[37:38], v[31:32]
	s_delay_alu instid0(VALU_DEP_2) | instskip(NEXT) | instid1(VALU_DEP_2)
	v_fma_f64 v[37:38], v[35:36], v[39:40], v[29:30]
	v_fma_f64 v[39:40], v[33:34], -v[39:40], v[31:32]
	s_clause 0x1
	global_load_b128 v[29:32], v[10:11], off offset:96
	global_load_b128 v[33:36], v[65:66], off offset:96
	;; [unrolled: 9-line block ×3, first 2 shown]
	s_waitcnt vmcnt(8)
	v_fma_f64 v[10:11], v[49:50], v[53:54], v[45:46]
	v_fma_f64 v[45:46], v[51:52], v[53:54], v[47:48]
	s_delay_alu instid0(VALU_DEP_2) | instskip(NEXT) | instid1(VALU_DEP_2)
	v_fma_f64 v[10:11], v[51:52], v[55:56], v[10:11]
	v_fma_f64 v[45:46], v[49:50], -v[55:56], v[45:46]
	s_waitcnt vmcnt(6)
	s_delay_alu instid0(VALU_DEP_2) | instskip(NEXT) | instid1(VALU_DEP_2)
	v_fma_f64 v[10:11], v[57:58], v[61:62], v[10:11]
	v_fma_f64 v[45:46], v[59:60], v[61:62], v[45:46]
	s_delay_alu instid0(VALU_DEP_2) | instskip(NEXT) | instid1(VALU_DEP_2)
	v_fma_f64 v[10:11], v[59:60], v[63:64], v[10:11]
	v_fma_f64 v[45:46], v[57:58], -v[63:64], v[45:46]
	s_waitcnt vmcnt(4)
	s_delay_alu instid0(VALU_DEP_2) | instskip(NEXT) | instid1(VALU_DEP_2)
	;; [unrolled: 7-line block ×4, first 2 shown]
	v_fma_f64 v[2:3], v[37:38], v[41:42], v[2:3]
	v_fma_f64 v[6:7], v[39:40], v[41:42], v[0:1]
	s_delay_alu instid0(VALU_DEP_2) | instskip(NEXT) | instid1(VALU_DEP_2)
	v_fma_f64 v[0:1], v[39:40], v[43:44], v[2:3]
	v_fma_f64 v[2:3], v[37:38], -v[43:44], v[6:7]
.LBB66_32:                              ;   in Loop: Header=BB66_12 Depth=1
	s_add_i32 s1, s1, -1
	s_add_i32 s20, s20, 4
	s_cmp_eq_u32 s1, 0
	s_cbranch_scc1 .LBB66_34
; %bb.33:                               ;   in Loop: Header=BB66_12 Depth=1
	s_delay_alu instid0(VALU_DEP_1) | instskip(NEXT) | instid1(VALU_DEP_3)
	v_dual_mov_b32 v7, v3 :: v_dual_mov_b32 v6, v2
	v_dual_mov_b32 v9, v1 :: v_dual_mov_b32 v8, v0
	v_mov_b32_e32 v0, s20
	s_and_b32 vcc_lo, exec_lo, s29
	s_waitcnt lgkmcnt(0)
	ds_load_2addr_b32 v[10:11], v0 offset1:32
	s_cbranch_vccz .LBB66_30
	s_branch .LBB66_29
.LBB66_34:                              ;   in Loop: Header=BB66_12 Depth=1
	ds_store_b128 v25, v[0:3]
	s_waitcnt lgkmcnt(0)
	buffer_gl0_inv
	ds_load_b128 v[6:9], v28
	ds_load_b128 v[0:3], v22
	s_waitcnt lgkmcnt(1)
	v_cmp_neq_f64_e32 vcc_lo, 0, v[6:7]
	v_cmp_neq_f64_e64 s1, 0, v[8:9]
	s_delay_alu instid0(VALU_DEP_1) | instskip(SKIP_4) | instid1(SALU_CYCLE_1)
	s_or_b32 vcc_lo, vcc_lo, s1
	v_cndmask_b32_e32 v7, 0x3ff00000, v7, vcc_lo
	v_dual_cndmask_b32 v6, 0, v6 :: v_dual_cndmask_b32 v9, 0, v9
	v_cndmask_b32_e32 v8, 0, v8, vcc_lo
	s_or_b32 s1, vcc_lo, s0
	s_xor_b32 s20, s1, -1
	s_delay_alu instid0(SALU_CYCLE_1)
	s_and_saveexec_b32 s1, s20
	s_cbranch_execz .LBB66_38
; %bb.35:                               ;   in Loop: Header=BB66_12 Depth=1
	v_mbcnt_lo_u32_b32 v6, exec_lo, 0
	s_mov_b32 s20, exec_lo
	s_delay_alu instid0(VALU_DEP_1)
	v_cmpx_eq_u32_e32 0, v6
	s_cbranch_execz .LBB66_37
; %bb.36:                               ;   in Loop: Header=BB66_12 Depth=1
	v_mov_b32_e32 v6, s3
	global_atomic_min_i32 v28, v6, s[10:11]
.LBB66_37:                              ;   in Loop: Header=BB66_12 Depth=1
	s_or_b32 exec_lo, exec_lo, s20
	v_mov_b32_e32 v6, 0
	v_dual_mov_b32 v7, 0x3ff00000 :: v_dual_mov_b32 v8, 0
	v_mov_b32_e32 v9, 0
.LBB66_38:                              ;   in Loop: Header=BB66_12 Depth=1
	s_or_b32 exec_lo, exec_lo, s1
	s_delay_alu instid0(VALU_DEP_1) | instskip(NEXT) | instid1(VALU_DEP_1)
	v_mul_f64 v[10:11], v[8:9], v[8:9]
	v_fma_f64 v[10:11], v[6:7], v[6:7], v[10:11]
	s_delay_alu instid0(VALU_DEP_1) | instskip(SKIP_1) | instid1(VALU_DEP_2)
	v_div_scale_f64 v[33:34], null, v[10:11], v[10:11], 1.0
	v_div_scale_f64 v[35:36], vcc_lo, 1.0, v[10:11], 1.0
	v_rcp_f64_e32 v[29:30], v[33:34]
	s_waitcnt_depctr 0xfff
	v_fma_f64 v[31:32], -v[33:34], v[29:30], 1.0
	s_delay_alu instid0(VALU_DEP_1) | instskip(NEXT) | instid1(VALU_DEP_1)
	v_fma_f64 v[29:30], v[29:30], v[31:32], v[29:30]
	v_fma_f64 v[31:32], -v[33:34], v[29:30], 1.0
	s_delay_alu instid0(VALU_DEP_1)
	v_fma_f64 v[37:38], v[29:30], v[31:32], v[29:30]
	ds_load_b128 v[29:32], v23
	s_waitcnt lgkmcnt(0)
	v_add_f64 v[2:3], v[2:3], -v[31:32]
	v_add_f64 v[0:1], v[0:1], -v[29:30]
	v_mul_f64 v[39:40], v[35:36], v[37:38]
	s_delay_alu instid0(VALU_DEP_3) | instskip(NEXT) | instid1(VALU_DEP_3)
	v_mul_f64 v[29:30], v[8:9], v[2:3]
	v_mul_f64 v[8:9], v[8:9], -v[0:1]
	s_delay_alu instid0(VALU_DEP_3) | instskip(NEXT) | instid1(VALU_DEP_3)
	v_fma_f64 v[31:32], -v[33:34], v[39:40], v[35:36]
	v_fma_f64 v[0:1], v[0:1], v[6:7], v[29:30]
	s_delay_alu instid0(VALU_DEP_3) | instskip(NEXT) | instid1(VALU_DEP_3)
	v_fma_f64 v[2:3], v[2:3], v[6:7], v[8:9]
	v_div_fmas_f64 v[31:32], v[31:32], v[37:38], v[39:40]
	s_delay_alu instid0(VALU_DEP_1) | instskip(NEXT) | instid1(VALU_DEP_1)
	v_div_fixup_f64 v[10:11], v[31:32], v[10:11], 1.0
	v_mul_f64 v[0:1], v[10:11], v[0:1]
	s_delay_alu instid0(VALU_DEP_4)
	v_mul_f64 v[2:3], v[10:11], v[2:3]
	ds_store_b128 v22, v[0:3]
	s_waitcnt lgkmcnt(0)
	s_waitcnt_vscnt null, 0x0
	buffer_gl0_inv
	ds_load_b128 v[6:9], v26
	ds_load_b128 v[29:32], v15
	s_waitcnt lgkmcnt(0)
	v_fma_f64 v[10:11], v[0:1], v[6:7], v[29:30]
	v_fma_f64 v[29:30], v[2:3], v[6:7], v[31:32]
	s_delay_alu instid0(VALU_DEP_2) | instskip(NEXT) | instid1(VALU_DEP_2)
	v_fma_f64 v[6:7], v[2:3], v[8:9], v[10:11]
	v_fma_f64 v[8:9], v[0:1], -v[8:9], v[29:30]
	ds_store_b128 v15, v[6:9]
	s_waitcnt lgkmcnt(0)
	buffer_gl0_inv
	ds_load_b128 v[6:9], v28 offset:160
	ds_load_b128 v[0:3], v22 offset:16
	s_waitcnt lgkmcnt(1)
	v_cmp_neq_f64_e32 vcc_lo, 0, v[6:7]
	v_cmp_neq_f64_e64 s1, 0, v[8:9]
	s_delay_alu instid0(VALU_DEP_1) | instskip(SKIP_4) | instid1(SALU_CYCLE_1)
	s_or_b32 vcc_lo, vcc_lo, s1
	v_cndmask_b32_e32 v7, 0x3ff00000, v7, vcc_lo
	v_dual_cndmask_b32 v6, 0, v6 :: v_dual_cndmask_b32 v9, 0, v9
	v_cndmask_b32_e32 v8, 0, v8, vcc_lo
	s_or_b32 s1, vcc_lo, s0
	s_xor_b32 s20, s1, -1
	s_delay_alu instid0(SALU_CYCLE_1)
	s_and_saveexec_b32 s1, s20
	s_cbranch_execz .LBB66_42
; %bb.39:                               ;   in Loop: Header=BB66_12 Depth=1
	v_mbcnt_lo_u32_b32 v6, exec_lo, 0
	s_mov_b32 s20, exec_lo
	s_delay_alu instid0(VALU_DEP_1)
	v_cmpx_eq_u32_e32 0, v6
	s_cbranch_execz .LBB66_41
; %bb.40:                               ;   in Loop: Header=BB66_12 Depth=1
	v_mov_b32_e32 v6, s3
	global_atomic_min_i32 v28, v6, s[10:11]
.LBB66_41:                              ;   in Loop: Header=BB66_12 Depth=1
	s_or_b32 exec_lo, exec_lo, s20
	v_mov_b32_e32 v6, 0
	v_dual_mov_b32 v7, 0x3ff00000 :: v_dual_mov_b32 v8, 0
	v_mov_b32_e32 v9, 0
.LBB66_42:                              ;   in Loop: Header=BB66_12 Depth=1
	s_or_b32 exec_lo, exec_lo, s1
	s_delay_alu instid0(VALU_DEP_1) | instskip(NEXT) | instid1(VALU_DEP_1)
	v_mul_f64 v[10:11], v[8:9], v[8:9]
	v_fma_f64 v[10:11], v[6:7], v[6:7], v[10:11]
	s_delay_alu instid0(VALU_DEP_1) | instskip(SKIP_1) | instid1(VALU_DEP_2)
	v_div_scale_f64 v[41:42], null, v[10:11], v[10:11], 1.0
	v_div_scale_f64 v[47:48], vcc_lo, 1.0, v[10:11], 1.0
	v_rcp_f64_e32 v[29:30], v[41:42]
	s_waitcnt_depctr 0xfff
	v_fma_f64 v[31:32], -v[41:42], v[29:30], 1.0
	s_delay_alu instid0(VALU_DEP_1)
	v_fma_f64 v[43:44], v[29:30], v[31:32], v[29:30]
	ds_load_b128 v[29:32], v28 offset:144
	ds_load_b128 v[33:36], v22
	ds_load_b128 v[37:40], v23 offset:16
	s_waitcnt lgkmcnt(0)
	v_fma_f64 v[39:40], v[31:32], v[33:34], v[39:40]
	v_fma_f64 v[33:34], v[29:30], v[33:34], v[37:38]
	v_fma_f64 v[45:46], -v[41:42], v[43:44], 1.0
	s_delay_alu instid0(VALU_DEP_3) | instskip(NEXT) | instid1(VALU_DEP_3)
	v_fma_f64 v[29:30], v[29:30], -v[35:36], v[39:40]
	v_fma_f64 v[31:32], v[31:32], v[35:36], v[33:34]
	s_delay_alu instid0(VALU_DEP_3) | instskip(NEXT) | instid1(VALU_DEP_3)
	v_fma_f64 v[43:44], v[43:44], v[45:46], v[43:44]
	v_add_f64 v[2:3], v[2:3], -v[29:30]
	s_delay_alu instid0(VALU_DEP_3) | instskip(NEXT) | instid1(VALU_DEP_3)
	v_add_f64 v[0:1], v[0:1], -v[31:32]
	v_mul_f64 v[37:38], v[47:48], v[43:44]
	s_delay_alu instid0(VALU_DEP_3) | instskip(NEXT) | instid1(VALU_DEP_3)
	v_mul_f64 v[31:32], v[8:9], v[2:3]
	v_mul_f64 v[8:9], v[8:9], -v[0:1]
	s_delay_alu instid0(VALU_DEP_3) | instskip(NEXT) | instid1(VALU_DEP_3)
	v_fma_f64 v[29:30], -v[41:42], v[37:38], v[47:48]
	v_fma_f64 v[0:1], v[0:1], v[6:7], v[31:32]
	s_delay_alu instid0(VALU_DEP_3) | instskip(NEXT) | instid1(VALU_DEP_3)
	v_fma_f64 v[2:3], v[2:3], v[6:7], v[8:9]
	v_div_fmas_f64 v[29:30], v[29:30], v[43:44], v[37:38]
	s_delay_alu instid0(VALU_DEP_1) | instskip(NEXT) | instid1(VALU_DEP_1)
	v_div_fixup_f64 v[10:11], v[29:30], v[10:11], 1.0
	v_mul_f64 v[0:1], v[10:11], v[0:1]
	s_delay_alu instid0(VALU_DEP_4)
	v_mul_f64 v[2:3], v[10:11], v[2:3]
	ds_store_b128 v22, v[0:3] offset:16
	s_waitcnt lgkmcnt(0)
	s_waitcnt_vscnt null, 0x0
	buffer_gl0_inv
	ds_load_b128 v[6:9], v26 offset:16
	ds_load_b128 v[29:32], v15
	s_waitcnt lgkmcnt(0)
	v_fma_f64 v[10:11], v[0:1], v[6:7], v[29:30]
	v_fma_f64 v[29:30], v[2:3], v[6:7], v[31:32]
	s_delay_alu instid0(VALU_DEP_2) | instskip(NEXT) | instid1(VALU_DEP_2)
	v_fma_f64 v[6:7], v[2:3], v[8:9], v[10:11]
	v_fma_f64 v[8:9], v[0:1], -v[8:9], v[29:30]
	ds_store_b128 v15, v[6:9]
	s_waitcnt lgkmcnt(0)
	buffer_gl0_inv
	ds_load_b128 v[6:9], v28 offset:320
	ds_load_b128 v[0:3], v22 offset:32
	s_waitcnt lgkmcnt(1)
	v_cmp_neq_f64_e32 vcc_lo, 0, v[6:7]
	v_cmp_neq_f64_e64 s1, 0, v[8:9]
	s_delay_alu instid0(VALU_DEP_1) | instskip(SKIP_4) | instid1(SALU_CYCLE_1)
	s_or_b32 vcc_lo, vcc_lo, s1
	v_cndmask_b32_e32 v7, 0x3ff00000, v7, vcc_lo
	v_dual_cndmask_b32 v6, 0, v6 :: v_dual_cndmask_b32 v9, 0, v9
	v_cndmask_b32_e32 v8, 0, v8, vcc_lo
	s_or_b32 s1, vcc_lo, s0
	s_xor_b32 s20, s1, -1
	s_delay_alu instid0(SALU_CYCLE_1)
	s_and_saveexec_b32 s1, s20
	s_cbranch_execz .LBB66_46
; %bb.43:                               ;   in Loop: Header=BB66_12 Depth=1
	v_mbcnt_lo_u32_b32 v6, exec_lo, 0
	s_mov_b32 s20, exec_lo
	s_delay_alu instid0(VALU_DEP_1)
	v_cmpx_eq_u32_e32 0, v6
	s_cbranch_execz .LBB66_45
; %bb.44:                               ;   in Loop: Header=BB66_12 Depth=1
	v_mov_b32_e32 v6, s3
	global_atomic_min_i32 v28, v6, s[10:11]
.LBB66_45:                              ;   in Loop: Header=BB66_12 Depth=1
	s_or_b32 exec_lo, exec_lo, s20
	v_mov_b32_e32 v6, 0
	v_dual_mov_b32 v7, 0x3ff00000 :: v_dual_mov_b32 v8, 0
	v_mov_b32_e32 v9, 0
.LBB66_46:                              ;   in Loop: Header=BB66_12 Depth=1
	s_or_b32 exec_lo, exec_lo, s1
	s_delay_alu instid0(VALU_DEP_1)
	v_mul_f64 v[10:11], v[8:9], v[8:9]
	ds_load_b128 v[29:32], v28 offset:288
	ds_load_b128 v[33:36], v23 offset:32
	ds_load_b128 v[37:40], v22
	ds_load_b128 v[41:44], v22 offset:16
	s_waitcnt lgkmcnt(1)
	v_fma_f64 v[35:36], v[31:32], v[37:38], v[35:36]
	v_fma_f64 v[33:34], v[29:30], v[37:38], v[33:34]
	;; [unrolled: 1-line block ×3, first 2 shown]
	s_delay_alu instid0(VALU_DEP_3) | instskip(NEXT) | instid1(VALU_DEP_3)
	v_fma_f64 v[35:36], v[29:30], -v[39:40], v[35:36]
	v_fma_f64 v[33:34], v[31:32], v[39:40], v[33:34]
	ds_load_b128 v[29:32], v28 offset:304
	v_div_scale_f64 v[45:46], null, v[10:11], v[10:11], 1.0
	v_div_scale_f64 v[39:40], vcc_lo, 1.0, v[10:11], 1.0
	s_waitcnt lgkmcnt(0)
	v_fma_f64 v[35:36], v[31:32], v[41:42], v[35:36]
	v_fma_f64 v[33:34], v[29:30], v[41:42], v[33:34]
	s_delay_alu instid0(VALU_DEP_4) | instskip(NEXT) | instid1(VALU_DEP_2)
	v_rcp_f64_e32 v[47:48], v[45:46]
	v_fma_f64 v[29:30], v[29:30], -v[43:44], v[35:36]
	s_delay_alu instid0(VALU_DEP_2) | instskip(SKIP_4) | instid1(VALU_DEP_3)
	v_fma_f64 v[31:32], v[31:32], v[43:44], v[33:34]
	s_waitcnt_depctr 0xfff
	v_fma_f64 v[49:50], -v[45:46], v[47:48], 1.0
	v_add_f64 v[2:3], v[2:3], -v[29:30]
	v_add_f64 v[0:1], v[0:1], -v[31:32]
	v_fma_f64 v[47:48], v[47:48], v[49:50], v[47:48]
	s_delay_alu instid0(VALU_DEP_3) | instskip(NEXT) | instid1(VALU_DEP_3)
	v_mul_f64 v[31:32], v[8:9], v[2:3]
	v_mul_f64 v[8:9], v[8:9], -v[0:1]
	s_delay_alu instid0(VALU_DEP_3) | instskip(NEXT) | instid1(VALU_DEP_3)
	v_fma_f64 v[37:38], -v[45:46], v[47:48], 1.0
	v_fma_f64 v[0:1], v[0:1], v[6:7], v[31:32]
	s_delay_alu instid0(VALU_DEP_3) | instskip(NEXT) | instid1(VALU_DEP_3)
	v_fma_f64 v[2:3], v[2:3], v[6:7], v[8:9]
	v_fma_f64 v[37:38], v[47:48], v[37:38], v[47:48]
	s_delay_alu instid0(VALU_DEP_1) | instskip(NEXT) | instid1(VALU_DEP_1)
	v_mul_f64 v[35:36], v[39:40], v[37:38]
	v_fma_f64 v[29:30], -v[45:46], v[35:36], v[39:40]
	s_delay_alu instid0(VALU_DEP_1) | instskip(NEXT) | instid1(VALU_DEP_1)
	v_div_fmas_f64 v[29:30], v[29:30], v[37:38], v[35:36]
	v_div_fixup_f64 v[10:11], v[29:30], v[10:11], 1.0
	s_delay_alu instid0(VALU_DEP_1)
	v_mul_f64 v[0:1], v[10:11], v[0:1]
	v_mul_f64 v[2:3], v[10:11], v[2:3]
	ds_store_b128 v22, v[0:3] offset:32
	s_waitcnt lgkmcnt(0)
	s_waitcnt_vscnt null, 0x0
	buffer_gl0_inv
	ds_load_b128 v[6:9], v26 offset:32
	ds_load_b128 v[29:32], v15
	s_waitcnt lgkmcnt(0)
	v_fma_f64 v[10:11], v[0:1], v[6:7], v[29:30]
	v_fma_f64 v[29:30], v[2:3], v[6:7], v[31:32]
	s_delay_alu instid0(VALU_DEP_2) | instskip(NEXT) | instid1(VALU_DEP_2)
	v_fma_f64 v[6:7], v[2:3], v[8:9], v[10:11]
	v_fma_f64 v[8:9], v[0:1], -v[8:9], v[29:30]
	ds_store_b128 v15, v[6:9]
	s_waitcnt lgkmcnt(0)
	buffer_gl0_inv
	ds_load_b128 v[6:9], v28 offset:480
	ds_load_b128 v[0:3], v22 offset:48
	s_waitcnt lgkmcnt(1)
	v_cmp_neq_f64_e32 vcc_lo, 0, v[6:7]
	v_cmp_neq_f64_e64 s1, 0, v[8:9]
	s_delay_alu instid0(VALU_DEP_1) | instskip(SKIP_4) | instid1(SALU_CYCLE_1)
	s_or_b32 vcc_lo, vcc_lo, s1
	v_cndmask_b32_e32 v7, 0x3ff00000, v7, vcc_lo
	v_dual_cndmask_b32 v6, 0, v6 :: v_dual_cndmask_b32 v9, 0, v9
	v_cndmask_b32_e32 v8, 0, v8, vcc_lo
	s_or_b32 s1, vcc_lo, s0
	s_xor_b32 s20, s1, -1
	s_delay_alu instid0(SALU_CYCLE_1)
	s_and_saveexec_b32 s1, s20
	s_cbranch_execz .LBB66_50
; %bb.47:                               ;   in Loop: Header=BB66_12 Depth=1
	v_mbcnt_lo_u32_b32 v6, exec_lo, 0
	s_mov_b32 s20, exec_lo
	s_delay_alu instid0(VALU_DEP_1)
	v_cmpx_eq_u32_e32 0, v6
	s_cbranch_execz .LBB66_49
; %bb.48:                               ;   in Loop: Header=BB66_12 Depth=1
	v_mov_b32_e32 v6, s3
	global_atomic_min_i32 v28, v6, s[10:11]
.LBB66_49:                              ;   in Loop: Header=BB66_12 Depth=1
	s_or_b32 exec_lo, exec_lo, s20
	v_mov_b32_e32 v6, 0
	v_dual_mov_b32 v7, 0x3ff00000 :: v_dual_mov_b32 v8, 0
	v_mov_b32_e32 v9, 0
.LBB66_50:                              ;   in Loop: Header=BB66_12 Depth=1
	s_or_b32 exec_lo, exec_lo, s1
	s_delay_alu instid0(VALU_DEP_1)
	v_mul_f64 v[10:11], v[8:9], v[8:9]
	ds_load_b128 v[29:32], v22
	ds_load_b128 v[33:36], v23 offset:48
	ds_load_b128 v[37:40], v28 offset:432
	;; [unrolled: 1-line block ×4, first 2 shown]
	s_waitcnt lgkmcnt(2)
	v_fma_f64 v[35:36], v[39:40], v[29:30], v[35:36]
	v_fma_f64 v[29:30], v[37:38], v[29:30], v[33:34]
	;; [unrolled: 1-line block ×3, first 2 shown]
	s_delay_alu instid0(VALU_DEP_3) | instskip(NEXT) | instid1(VALU_DEP_3)
	v_fma_f64 v[33:34], v[37:38], -v[31:32], v[35:36]
	v_fma_f64 v[29:30], v[39:40], v[31:32], v[29:30]
	s_delay_alu instid0(VALU_DEP_3) | instskip(SKIP_1) | instid1(VALU_DEP_3)
	v_div_scale_f64 v[49:50], null, v[10:11], v[10:11], 1.0
	s_waitcnt lgkmcnt(0)
	v_fma_f64 v[31:32], v[43:44], v[45:46], v[33:34]
	s_delay_alu instid0(VALU_DEP_3) | instskip(SKIP_1) | instid1(VALU_DEP_4)
	v_fma_f64 v[29:30], v[41:42], v[45:46], v[29:30]
	v_div_scale_f64 v[45:46], vcc_lo, 1.0, v[10:11], 1.0
	v_rcp_f64_e32 v[51:52], v[49:50]
	s_delay_alu instid0(VALU_DEP_3) | instskip(NEXT) | instid1(VALU_DEP_3)
	v_fma_f64 v[39:40], v[41:42], -v[47:48], v[31:32]
	v_fma_f64 v[43:44], v[43:44], v[47:48], v[29:30]
	s_waitcnt_depctr 0xfff
	v_fma_f64 v[35:36], -v[49:50], v[51:52], 1.0
	s_delay_alu instid0(VALU_DEP_1)
	v_fma_f64 v[37:38], v[51:52], v[35:36], v[51:52]
	ds_load_b128 v[29:32], v22 offset:32
	ds_load_b128 v[33:36], v28 offset:464
	s_waitcnt lgkmcnt(0)
	v_fma_f64 v[39:40], v[35:36], v[29:30], v[39:40]
	v_fma_f64 v[29:30], v[33:34], v[29:30], v[43:44]
	v_fma_f64 v[41:42], -v[49:50], v[37:38], 1.0
	s_delay_alu instid0(VALU_DEP_3) | instskip(NEXT) | instid1(VALU_DEP_3)
	v_fma_f64 v[33:34], v[33:34], -v[31:32], v[39:40]
	v_fma_f64 v[29:30], v[35:36], v[31:32], v[29:30]
	s_delay_alu instid0(VALU_DEP_3) | instskip(NEXT) | instid1(VALU_DEP_3)
	v_fma_f64 v[37:38], v[37:38], v[41:42], v[37:38]
	v_add_f64 v[2:3], v[2:3], -v[33:34]
	s_delay_alu instid0(VALU_DEP_3) | instskip(NEXT) | instid1(VALU_DEP_3)
	v_add_f64 v[0:1], v[0:1], -v[29:30]
	v_mul_f64 v[39:40], v[45:46], v[37:38]
	s_delay_alu instid0(VALU_DEP_3) | instskip(NEXT) | instid1(VALU_DEP_3)
	v_mul_f64 v[29:30], v[8:9], v[2:3]
	v_mul_f64 v[8:9], v[8:9], -v[0:1]
	s_delay_alu instid0(VALU_DEP_3) | instskip(NEXT) | instid1(VALU_DEP_3)
	v_fma_f64 v[31:32], -v[49:50], v[39:40], v[45:46]
	v_fma_f64 v[0:1], v[0:1], v[6:7], v[29:30]
	s_delay_alu instid0(VALU_DEP_3) | instskip(NEXT) | instid1(VALU_DEP_3)
	v_fma_f64 v[2:3], v[2:3], v[6:7], v[8:9]
	v_div_fmas_f64 v[31:32], v[31:32], v[37:38], v[39:40]
	s_delay_alu instid0(VALU_DEP_1) | instskip(NEXT) | instid1(VALU_DEP_1)
	v_div_fixup_f64 v[10:11], v[31:32], v[10:11], 1.0
	v_mul_f64 v[0:1], v[10:11], v[0:1]
	s_delay_alu instid0(VALU_DEP_4)
	v_mul_f64 v[2:3], v[10:11], v[2:3]
	ds_store_b128 v22, v[0:3] offset:48
	s_waitcnt lgkmcnt(0)
	s_waitcnt_vscnt null, 0x0
	buffer_gl0_inv
	ds_load_b128 v[6:9], v26 offset:48
	ds_load_b128 v[29:32], v15
	s_waitcnt lgkmcnt(0)
	v_fma_f64 v[10:11], v[0:1], v[6:7], v[29:30]
	v_fma_f64 v[29:30], v[2:3], v[6:7], v[31:32]
	s_delay_alu instid0(VALU_DEP_2) | instskip(NEXT) | instid1(VALU_DEP_2)
	v_fma_f64 v[6:7], v[2:3], v[8:9], v[10:11]
	v_fma_f64 v[8:9], v[0:1], -v[8:9], v[29:30]
	ds_store_b128 v15, v[6:9]
	s_waitcnt lgkmcnt(0)
	buffer_gl0_inv
	ds_load_b128 v[6:9], v28 offset:640
	ds_load_b128 v[0:3], v22 offset:64
	s_waitcnt lgkmcnt(1)
	v_cmp_neq_f64_e32 vcc_lo, 0, v[6:7]
	v_cmp_neq_f64_e64 s1, 0, v[8:9]
	s_delay_alu instid0(VALU_DEP_1) | instskip(SKIP_4) | instid1(SALU_CYCLE_1)
	s_or_b32 vcc_lo, vcc_lo, s1
	v_cndmask_b32_e32 v7, 0x3ff00000, v7, vcc_lo
	v_dual_cndmask_b32 v6, 0, v6 :: v_dual_cndmask_b32 v9, 0, v9
	v_cndmask_b32_e32 v8, 0, v8, vcc_lo
	s_or_b32 s1, vcc_lo, s0
	s_xor_b32 s20, s1, -1
	s_delay_alu instid0(SALU_CYCLE_1)
	s_and_saveexec_b32 s1, s20
	s_cbranch_execz .LBB66_54
; %bb.51:                               ;   in Loop: Header=BB66_12 Depth=1
	v_mbcnt_lo_u32_b32 v6, exec_lo, 0
	s_mov_b32 s20, exec_lo
	s_delay_alu instid0(VALU_DEP_1)
	v_cmpx_eq_u32_e32 0, v6
	s_cbranch_execz .LBB66_53
; %bb.52:                               ;   in Loop: Header=BB66_12 Depth=1
	v_mov_b32_e32 v6, s3
	global_atomic_min_i32 v28, v6, s[10:11]
.LBB66_53:                              ;   in Loop: Header=BB66_12 Depth=1
	s_or_b32 exec_lo, exec_lo, s20
	v_mov_b32_e32 v6, 0
	v_dual_mov_b32 v7, 0x3ff00000 :: v_dual_mov_b32 v8, 0
	v_mov_b32_e32 v9, 0
.LBB66_54:                              ;   in Loop: Header=BB66_12 Depth=1
	s_or_b32 exec_lo, exec_lo, s1
	s_delay_alu instid0(VALU_DEP_1)
	v_mul_f64 v[10:11], v[8:9], v[8:9]
	ds_load_b128 v[29:32], v28 offset:576
	ds_load_b128 v[33:36], v23 offset:64
	ds_load_b128 v[37:40], v22
	ds_load_b128 v[41:44], v22 offset:16
	s_waitcnt lgkmcnt(1)
	v_fma_f64 v[35:36], v[31:32], v[37:38], v[35:36]
	v_fma_f64 v[33:34], v[29:30], v[37:38], v[33:34]
	;; [unrolled: 1-line block ×3, first 2 shown]
	s_delay_alu instid0(VALU_DEP_3) | instskip(NEXT) | instid1(VALU_DEP_3)
	v_fma_f64 v[37:38], v[29:30], -v[39:40], v[35:36]
	v_fma_f64 v[39:40], v[31:32], v[39:40], v[33:34]
	ds_load_b128 v[29:32], v28 offset:592
	ds_load_b128 v[33:36], v28 offset:608
	v_div_scale_f64 v[45:46], null, v[10:11], v[10:11], 1.0
	s_waitcnt lgkmcnt(1)
	v_fma_f64 v[37:38], v[31:32], v[41:42], v[37:38]
	v_fma_f64 v[39:40], v[29:30], v[41:42], v[39:40]
	s_delay_alu instid0(VALU_DEP_3) | instskip(NEXT) | instid1(VALU_DEP_2)
	v_rcp_f64_e32 v[47:48], v[45:46]
	v_fma_f64 v[41:42], v[29:30], -v[43:44], v[37:38]
	s_delay_alu instid0(VALU_DEP_2)
	v_fma_f64 v[43:44], v[31:32], v[43:44], v[39:40]
	ds_load_b128 v[29:32], v22 offset:32
	ds_load_b128 v[37:40], v22 offset:48
	v_fma_f64 v[49:50], -v[45:46], v[47:48], 1.0
	s_waitcnt lgkmcnt(1)
	v_fma_f64 v[41:42], v[35:36], v[29:30], v[41:42]
	v_fma_f64 v[29:30], v[33:34], v[29:30], v[43:44]
	v_div_scale_f64 v[43:44], vcc_lo, 1.0, v[10:11], 1.0
	s_delay_alu instid0(VALU_DEP_4) | instskip(NEXT) | instid1(VALU_DEP_4)
	v_fma_f64 v[47:48], v[47:48], v[49:50], v[47:48]
	v_fma_f64 v[33:34], v[33:34], -v[31:32], v[41:42]
	s_delay_alu instid0(VALU_DEP_4)
	v_fma_f64 v[35:36], v[35:36], v[31:32], v[29:30]
	ds_load_b128 v[29:32], v28 offset:624
	v_fma_f64 v[41:42], -v[45:46], v[47:48], 1.0
	s_waitcnt lgkmcnt(0)
	v_fma_f64 v[33:34], v[31:32], v[37:38], v[33:34]
	v_fma_f64 v[35:36], v[29:30], v[37:38], v[35:36]
	s_delay_alu instid0(VALU_DEP_3) | instskip(NEXT) | instid1(VALU_DEP_3)
	v_fma_f64 v[41:42], v[47:48], v[41:42], v[47:48]
	v_fma_f64 v[29:30], v[29:30], -v[39:40], v[33:34]
	s_delay_alu instid0(VALU_DEP_3) | instskip(NEXT) | instid1(VALU_DEP_3)
	v_fma_f64 v[31:32], v[31:32], v[39:40], v[35:36]
	v_mul_f64 v[33:34], v[43:44], v[41:42]
	s_delay_alu instid0(VALU_DEP_3) | instskip(NEXT) | instid1(VALU_DEP_3)
	v_add_f64 v[2:3], v[2:3], -v[29:30]
	v_add_f64 v[0:1], v[0:1], -v[31:32]
	s_delay_alu instid0(VALU_DEP_3) | instskip(NEXT) | instid1(VALU_DEP_3)
	v_fma_f64 v[29:30], -v[45:46], v[33:34], v[43:44]
	v_mul_f64 v[31:32], v[8:9], v[2:3]
	s_delay_alu instid0(VALU_DEP_3) | instskip(NEXT) | instid1(VALU_DEP_3)
	v_mul_f64 v[8:9], v[8:9], -v[0:1]
	v_div_fmas_f64 v[29:30], v[29:30], v[41:42], v[33:34]
	s_delay_alu instid0(VALU_DEP_3) | instskip(NEXT) | instid1(VALU_DEP_3)
	v_fma_f64 v[0:1], v[0:1], v[6:7], v[31:32]
	v_fma_f64 v[2:3], v[2:3], v[6:7], v[8:9]
	s_delay_alu instid0(VALU_DEP_3) | instskip(NEXT) | instid1(VALU_DEP_1)
	v_div_fixup_f64 v[10:11], v[29:30], v[10:11], 1.0
	v_mul_f64 v[0:1], v[10:11], v[0:1]
	s_delay_alu instid0(VALU_DEP_3)
	v_mul_f64 v[2:3], v[10:11], v[2:3]
	ds_store_b128 v22, v[0:3] offset:64
	s_waitcnt lgkmcnt(0)
	s_waitcnt_vscnt null, 0x0
	buffer_gl0_inv
	ds_load_b128 v[6:9], v26 offset:64
	ds_load_b128 v[29:32], v15
	s_waitcnt lgkmcnt(0)
	v_fma_f64 v[10:11], v[0:1], v[6:7], v[29:30]
	v_fma_f64 v[29:30], v[2:3], v[6:7], v[31:32]
	s_delay_alu instid0(VALU_DEP_2) | instskip(NEXT) | instid1(VALU_DEP_2)
	v_fma_f64 v[6:7], v[2:3], v[8:9], v[10:11]
	v_fma_f64 v[8:9], v[0:1], -v[8:9], v[29:30]
	ds_store_b128 v15, v[6:9]
	s_waitcnt lgkmcnt(0)
	buffer_gl0_inv
	ds_load_b128 v[6:9], v28 offset:800
	ds_load_b128 v[0:3], v22 offset:80
	s_waitcnt lgkmcnt(1)
	v_cmp_neq_f64_e32 vcc_lo, 0, v[6:7]
	v_cmp_neq_f64_e64 s1, 0, v[8:9]
	s_delay_alu instid0(VALU_DEP_1) | instskip(SKIP_4) | instid1(SALU_CYCLE_1)
	s_or_b32 vcc_lo, vcc_lo, s1
	v_cndmask_b32_e32 v7, 0x3ff00000, v7, vcc_lo
	v_dual_cndmask_b32 v6, 0, v6 :: v_dual_cndmask_b32 v9, 0, v9
	v_cndmask_b32_e32 v8, 0, v8, vcc_lo
	s_or_b32 s1, vcc_lo, s0
	s_xor_b32 s20, s1, -1
	s_delay_alu instid0(SALU_CYCLE_1)
	s_and_saveexec_b32 s1, s20
	s_cbranch_execz .LBB66_58
; %bb.55:                               ;   in Loop: Header=BB66_12 Depth=1
	v_mbcnt_lo_u32_b32 v6, exec_lo, 0
	s_mov_b32 s20, exec_lo
	s_delay_alu instid0(VALU_DEP_1)
	v_cmpx_eq_u32_e32 0, v6
	s_cbranch_execz .LBB66_57
; %bb.56:                               ;   in Loop: Header=BB66_12 Depth=1
	v_mov_b32_e32 v6, s3
	global_atomic_min_i32 v28, v6, s[10:11]
.LBB66_57:                              ;   in Loop: Header=BB66_12 Depth=1
	s_or_b32 exec_lo, exec_lo, s20
	v_mov_b32_e32 v6, 0
	v_dual_mov_b32 v7, 0x3ff00000 :: v_dual_mov_b32 v8, 0
	v_mov_b32_e32 v9, 0
.LBB66_58:                              ;   in Loop: Header=BB66_12 Depth=1
	s_or_b32 exec_lo, exec_lo, s1
	ds_load_b128 v[29:32], v22
	ds_load_b128 v[33:36], v23 offset:80
	ds_load_b128 v[37:40], v28 offset:720
	;; [unrolled: 1-line block ×4, first 2 shown]
	s_waitcnt lgkmcnt(2)
	v_fma_f64 v[10:11], v[39:40], v[29:30], v[35:36]
	v_fma_f64 v[29:30], v[37:38], v[29:30], v[33:34]
	v_mul_f64 v[33:34], v[8:9], v[8:9]
	s_delay_alu instid0(VALU_DEP_3) | instskip(NEXT) | instid1(VALU_DEP_3)
	v_fma_f64 v[10:11], v[37:38], -v[31:32], v[10:11]
	v_fma_f64 v[29:30], v[39:40], v[31:32], v[29:30]
	s_delay_alu instid0(VALU_DEP_3) | instskip(SKIP_1) | instid1(VALU_DEP_3)
	v_fma_f64 v[49:50], v[6:7], v[6:7], v[33:34]
	s_waitcnt lgkmcnt(0)
	v_fma_f64 v[10:11], v[43:44], v[45:46], v[10:11]
	s_delay_alu instid0(VALU_DEP_3) | instskip(NEXT) | instid1(VALU_DEP_3)
	v_fma_f64 v[29:30], v[41:42], v[45:46], v[29:30]
	v_div_scale_f64 v[45:46], null, v[49:50], v[49:50], 1.0
	s_delay_alu instid0(VALU_DEP_3) | instskip(NEXT) | instid1(VALU_DEP_3)
	v_fma_f64 v[10:11], v[41:42], -v[47:48], v[10:11]
	v_fma_f64 v[47:48], v[43:44], v[47:48], v[29:30]
	ds_load_b128 v[29:32], v22 offset:32
	ds_load_b128 v[33:36], v28 offset:752
	v_rcp_f64_e32 v[51:52], v[45:46]
	ds_load_b128 v[37:40], v28 offset:768
	ds_load_b128 v[41:44], v22 offset:48
	s_waitcnt lgkmcnt(2)
	v_fma_f64 v[10:11], v[35:36], v[29:30], v[10:11]
	v_fma_f64 v[29:30], v[33:34], v[29:30], v[47:48]
	v_fma_f64 v[47:48], -v[45:46], v[51:52], 1.0
	s_delay_alu instid0(VALU_DEP_3) | instskip(NEXT) | instid1(VALU_DEP_3)
	v_fma_f64 v[10:11], v[33:34], -v[31:32], v[10:11]
	v_fma_f64 v[29:30], v[35:36], v[31:32], v[29:30]
	s_delay_alu instid0(VALU_DEP_3) | instskip(SKIP_1) | instid1(VALU_DEP_3)
	v_fma_f64 v[47:48], v[51:52], v[47:48], v[51:52]
	s_waitcnt lgkmcnt(0)
	v_fma_f64 v[10:11], v[39:40], v[41:42], v[10:11]
	s_delay_alu instid0(VALU_DEP_3) | instskip(NEXT) | instid1(VALU_DEP_3)
	v_fma_f64 v[29:30], v[37:38], v[41:42], v[29:30]
	v_fma_f64 v[41:42], -v[45:46], v[47:48], 1.0
	s_delay_alu instid0(VALU_DEP_3) | instskip(NEXT) | instid1(VALU_DEP_3)
	v_fma_f64 v[10:11], v[37:38], -v[43:44], v[10:11]
	v_fma_f64 v[37:38], v[39:40], v[43:44], v[29:30]
	ds_load_b128 v[29:32], v22 offset:64
	ds_load_b128 v[33:36], v28 offset:784
	v_div_scale_f64 v[39:40], vcc_lo, 1.0, v[49:50], 1.0
	v_fma_f64 v[41:42], v[47:48], v[41:42], v[47:48]
	s_waitcnt lgkmcnt(0)
	v_fma_f64 v[10:11], v[35:36], v[29:30], v[10:11]
	v_fma_f64 v[29:30], v[33:34], v[29:30], v[37:38]
	s_delay_alu instid0(VALU_DEP_3) | instskip(NEXT) | instid1(VALU_DEP_3)
	v_mul_f64 v[37:38], v[39:40], v[41:42]
	v_fma_f64 v[10:11], v[33:34], -v[31:32], v[10:11]
	s_delay_alu instid0(VALU_DEP_3) | instskip(NEXT) | instid1(VALU_DEP_3)
	v_fma_f64 v[29:30], v[35:36], v[31:32], v[29:30]
	v_fma_f64 v[31:32], -v[45:46], v[37:38], v[39:40]
	s_delay_alu instid0(VALU_DEP_3) | instskip(NEXT) | instid1(VALU_DEP_3)
	v_add_f64 v[2:3], v[2:3], -v[10:11]
	v_add_f64 v[0:1], v[0:1], -v[29:30]
	s_delay_alu instid0(VALU_DEP_3) | instskip(NEXT) | instid1(VALU_DEP_3)
	v_div_fmas_f64 v[10:11], v[31:32], v[41:42], v[37:38]
	v_mul_f64 v[29:30], v[8:9], v[2:3]
	s_delay_alu instid0(VALU_DEP_3) | instskip(NEXT) | instid1(VALU_DEP_3)
	v_mul_f64 v[8:9], v[8:9], -v[0:1]
	v_div_fixup_f64 v[10:11], v[10:11], v[49:50], 1.0
	s_delay_alu instid0(VALU_DEP_3) | instskip(NEXT) | instid1(VALU_DEP_3)
	v_fma_f64 v[0:1], v[0:1], v[6:7], v[29:30]
	v_fma_f64 v[2:3], v[2:3], v[6:7], v[8:9]
	s_delay_alu instid0(VALU_DEP_2) | instskip(NEXT) | instid1(VALU_DEP_2)
	v_mul_f64 v[0:1], v[10:11], v[0:1]
	v_mul_f64 v[2:3], v[10:11], v[2:3]
	ds_store_b128 v22, v[0:3] offset:80
	s_waitcnt lgkmcnt(0)
	s_waitcnt_vscnt null, 0x0
	buffer_gl0_inv
	ds_load_b128 v[6:9], v26 offset:80
	ds_load_b128 v[29:32], v15
	s_waitcnt lgkmcnt(0)
	v_fma_f64 v[10:11], v[0:1], v[6:7], v[29:30]
	v_fma_f64 v[29:30], v[2:3], v[6:7], v[31:32]
	s_delay_alu instid0(VALU_DEP_2) | instskip(NEXT) | instid1(VALU_DEP_2)
	v_fma_f64 v[6:7], v[2:3], v[8:9], v[10:11]
	v_fma_f64 v[8:9], v[0:1], -v[8:9], v[29:30]
	ds_store_b128 v15, v[6:9]
	s_waitcnt lgkmcnt(0)
	buffer_gl0_inv
	ds_load_b128 v[6:9], v28 offset:960
	ds_load_b128 v[0:3], v22 offset:96
	s_waitcnt lgkmcnt(1)
	v_cmp_neq_f64_e32 vcc_lo, 0, v[6:7]
	v_cmp_neq_f64_e64 s1, 0, v[8:9]
	s_delay_alu instid0(VALU_DEP_1) | instskip(SKIP_4) | instid1(SALU_CYCLE_1)
	s_or_b32 vcc_lo, vcc_lo, s1
	v_cndmask_b32_e32 v7, 0x3ff00000, v7, vcc_lo
	v_dual_cndmask_b32 v6, 0, v6 :: v_dual_cndmask_b32 v9, 0, v9
	v_cndmask_b32_e32 v8, 0, v8, vcc_lo
	s_or_b32 s1, vcc_lo, s0
	s_xor_b32 s20, s1, -1
	s_delay_alu instid0(SALU_CYCLE_1)
	s_and_saveexec_b32 s1, s20
	s_cbranch_execz .LBB66_62
; %bb.59:                               ;   in Loop: Header=BB66_12 Depth=1
	v_mbcnt_lo_u32_b32 v6, exec_lo, 0
	s_mov_b32 s20, exec_lo
	s_delay_alu instid0(VALU_DEP_1)
	v_cmpx_eq_u32_e32 0, v6
	s_cbranch_execz .LBB66_61
; %bb.60:                               ;   in Loop: Header=BB66_12 Depth=1
	v_mov_b32_e32 v6, s3
	global_atomic_min_i32 v28, v6, s[10:11]
.LBB66_61:                              ;   in Loop: Header=BB66_12 Depth=1
	s_or_b32 exec_lo, exec_lo, s20
	v_mov_b32_e32 v6, 0
	v_dual_mov_b32 v7, 0x3ff00000 :: v_dual_mov_b32 v8, 0
	v_mov_b32_e32 v9, 0
.LBB66_62:                              ;   in Loop: Header=BB66_12 Depth=1
	s_or_b32 exec_lo, exec_lo, s1
	ds_load_b128 v[29:32], v28 offset:864
	ds_load_b128 v[33:36], v23 offset:96
	ds_load_b128 v[37:40], v22
	ds_load_b128 v[41:44], v22 offset:16
	s_waitcnt lgkmcnt(1)
	v_fma_f64 v[10:11], v[31:32], v[37:38], v[35:36]
	v_fma_f64 v[33:34], v[29:30], v[37:38], v[33:34]
	s_delay_alu instid0(VALU_DEP_2) | instskip(NEXT) | instid1(VALU_DEP_2)
	v_fma_f64 v[10:11], v[29:30], -v[39:40], v[10:11]
	v_fma_f64 v[37:38], v[31:32], v[39:40], v[33:34]
	ds_load_b128 v[29:32], v28 offset:880
	ds_load_b128 v[33:36], v28 offset:896
	v_mul_f64 v[39:40], v[8:9], v[8:9]
	s_waitcnt lgkmcnt(1)
	v_fma_f64 v[10:11], v[31:32], v[41:42], v[10:11]
	v_fma_f64 v[37:38], v[29:30], v[41:42], v[37:38]
	s_delay_alu instid0(VALU_DEP_2) | instskip(NEXT) | instid1(VALU_DEP_2)
	v_fma_f64 v[10:11], v[29:30], -v[43:44], v[10:11]
	v_fma_f64 v[41:42], v[31:32], v[43:44], v[37:38]
	ds_load_b128 v[29:32], v22 offset:32
	v_fma_f64 v[43:44], v[6:7], v[6:7], v[39:40]
	ds_load_b128 v[37:40], v22 offset:48
	s_waitcnt lgkmcnt(1)
	v_fma_f64 v[10:11], v[35:36], v[29:30], v[10:11]
	v_fma_f64 v[29:30], v[33:34], v[29:30], v[41:42]
	v_div_scale_f64 v[41:42], null, v[43:44], v[43:44], 1.0
	v_div_scale_f64 v[47:48], vcc_lo, 1.0, v[43:44], 1.0
	s_delay_alu instid0(VALU_DEP_4) | instskip(NEXT) | instid1(VALU_DEP_4)
	v_fma_f64 v[10:11], v[33:34], -v[31:32], v[10:11]
	v_fma_f64 v[33:34], v[35:36], v[31:32], v[29:30]
	ds_load_b128 v[29:32], v28 offset:912
	v_rcp_f64_e32 v[45:46], v[41:42]
	s_waitcnt lgkmcnt(0)
	v_fma_f64 v[10:11], v[31:32], v[37:38], v[10:11]
	v_fma_f64 v[33:34], v[29:30], v[37:38], v[33:34]
	s_waitcnt_depctr 0xfff
	v_fma_f64 v[37:38], -v[41:42], v[45:46], 1.0
	v_fma_f64 v[10:11], v[29:30], -v[39:40], v[10:11]
	v_fma_f64 v[39:40], v[31:32], v[39:40], v[33:34]
	ds_load_b128 v[29:32], v28 offset:928
	ds_load_b128 v[33:36], v22 offset:64
	v_fma_f64 v[37:38], v[45:46], v[37:38], v[45:46]
	s_waitcnt lgkmcnt(0)
	v_fma_f64 v[10:11], v[31:32], v[33:34], v[10:11]
	v_fma_f64 v[33:34], v[29:30], v[33:34], v[39:40]
	s_delay_alu instid0(VALU_DEP_3) | instskip(NEXT) | instid1(VALU_DEP_3)
	v_fma_f64 v[39:40], -v[41:42], v[37:38], 1.0
	v_fma_f64 v[10:11], v[29:30], -v[35:36], v[10:11]
	s_delay_alu instid0(VALU_DEP_3)
	v_fma_f64 v[45:46], v[31:32], v[35:36], v[33:34]
	ds_load_b128 v[29:32], v22 offset:80
	ds_load_b128 v[33:36], v28 offset:944
	v_fma_f64 v[37:38], v[37:38], v[39:40], v[37:38]
	s_waitcnt lgkmcnt(0)
	v_fma_f64 v[10:11], v[35:36], v[29:30], v[10:11]
	v_fma_f64 v[29:30], v[33:34], v[29:30], v[45:46]
	s_delay_alu instid0(VALU_DEP_3) | instskip(NEXT) | instid1(VALU_DEP_3)
	v_mul_f64 v[39:40], v[47:48], v[37:38]
	v_fma_f64 v[10:11], v[33:34], -v[31:32], v[10:11]
	s_delay_alu instid0(VALU_DEP_3) | instskip(NEXT) | instid1(VALU_DEP_3)
	v_fma_f64 v[29:30], v[35:36], v[31:32], v[29:30]
	v_fma_f64 v[31:32], -v[41:42], v[39:40], v[47:48]
	s_delay_alu instid0(VALU_DEP_3) | instskip(NEXT) | instid1(VALU_DEP_3)
	v_add_f64 v[2:3], v[2:3], -v[10:11]
	v_add_f64 v[0:1], v[0:1], -v[29:30]
	s_delay_alu instid0(VALU_DEP_3) | instskip(NEXT) | instid1(VALU_DEP_3)
	v_div_fmas_f64 v[10:11], v[31:32], v[37:38], v[39:40]
	v_mul_f64 v[29:30], v[8:9], v[2:3]
	s_delay_alu instid0(VALU_DEP_3) | instskip(NEXT) | instid1(VALU_DEP_3)
	v_mul_f64 v[8:9], v[8:9], -v[0:1]
	v_div_fixup_f64 v[10:11], v[10:11], v[43:44], 1.0
	s_delay_alu instid0(VALU_DEP_3) | instskip(NEXT) | instid1(VALU_DEP_3)
	v_fma_f64 v[0:1], v[0:1], v[6:7], v[29:30]
	v_fma_f64 v[2:3], v[2:3], v[6:7], v[8:9]
	s_delay_alu instid0(VALU_DEP_2) | instskip(NEXT) | instid1(VALU_DEP_2)
	v_mul_f64 v[0:1], v[10:11], v[0:1]
	v_mul_f64 v[2:3], v[10:11], v[2:3]
	ds_store_b128 v22, v[0:3] offset:96
	s_waitcnt lgkmcnt(0)
	s_waitcnt_vscnt null, 0x0
	buffer_gl0_inv
	ds_load_b128 v[6:9], v26 offset:96
	ds_load_b128 v[29:32], v15
	s_waitcnt lgkmcnt(0)
	v_fma_f64 v[10:11], v[0:1], v[6:7], v[29:30]
	v_fma_f64 v[29:30], v[2:3], v[6:7], v[31:32]
	s_delay_alu instid0(VALU_DEP_2) | instskip(NEXT) | instid1(VALU_DEP_2)
	v_fma_f64 v[6:7], v[2:3], v[8:9], v[10:11]
	v_fma_f64 v[8:9], v[0:1], -v[8:9], v[29:30]
	ds_store_b128 v15, v[6:9]
	s_waitcnt lgkmcnt(0)
	buffer_gl0_inv
	ds_load_b128 v[6:9], v28 offset:1120
	ds_load_b128 v[0:3], v22 offset:112
	s_waitcnt lgkmcnt(1)
	v_cmp_neq_f64_e32 vcc_lo, 0, v[6:7]
	v_cmp_neq_f64_e64 s1, 0, v[8:9]
	s_delay_alu instid0(VALU_DEP_1) | instskip(SKIP_4) | instid1(SALU_CYCLE_1)
	s_or_b32 vcc_lo, vcc_lo, s1
	v_cndmask_b32_e32 v7, 0x3ff00000, v7, vcc_lo
	v_dual_cndmask_b32 v6, 0, v6 :: v_dual_cndmask_b32 v9, 0, v9
	v_cndmask_b32_e32 v8, 0, v8, vcc_lo
	s_or_b32 s1, vcc_lo, s0
	s_xor_b32 s20, s1, -1
	s_delay_alu instid0(SALU_CYCLE_1)
	s_and_saveexec_b32 s1, s20
	s_cbranch_execz .LBB66_10
; %bb.63:                               ;   in Loop: Header=BB66_12 Depth=1
	v_mbcnt_lo_u32_b32 v6, exec_lo, 0
	s_mov_b32 s20, exec_lo
	s_delay_alu instid0(VALU_DEP_1)
	v_cmpx_eq_u32_e32 0, v6
	s_cbranch_execz .LBB66_9
; %bb.64:                               ;   in Loop: Header=BB66_12 Depth=1
	v_mov_b32_e32 v6, s3
	global_atomic_min_i32 v28, v6, s[10:11]
	s_branch .LBB66_9
.LBB66_65:
	s_waitcnt lgkmcnt(0)
	s_cmp_eq_u32 s28, 0
	v_mul_u32_u24_e32 v9, 0x90, v13
	s_cselect_b32 vcc_lo, -1, 0
	v_cmp_ne_u32_e64 s1, 0, v13
	v_cndmask_b32_e32 v0, v20, v16, vcc_lo
	s_mov_b32 s2, exec_lo
	v_add3_u32 v8, v9, v18, 0x900
	s_delay_alu instid0(VALU_DEP_2) | instskip(NEXT) | instid1(VALU_DEP_1)
	v_lshl_add_u32 v0, s26, 6, v0
	v_ashrrev_i32_e32 v1, 31, v0
	s_delay_alu instid0(VALU_DEP_1) | instskip(NEXT) | instid1(VALU_DEP_1)
	v_lshlrev_b64 v[0:1], 4, v[0:1]
	v_add_co_u32 v0, vcc_lo, s18, v0
	s_delay_alu instid0(VALU_DEP_2)
	v_add_co_ci_u32_e32 v1, vcc_lo, s19, v1, vcc_lo
	global_load_b128 v[2:5], v[0:1], off
	s_waitcnt vmcnt(0)
	ds_store_2addr_b64 v8, v[2:3], v[4:5] offset1:1
	s_waitcnt lgkmcnt(0)
	buffer_gl0_inv
	v_cmpx_eq_u32_e32 0, v13
	s_cbranch_execz .LBB66_73
; %bb.66:
	v_mov_b32_e32 v6, 0
	ds_load_b128 v[2:5], v6 offset:3456
	ds_load_b128 v[16:19], v6 offset:2304
	s_waitcnt lgkmcnt(0)
	v_add_f64 v[2:3], v[16:17], -v[2:3]
	v_add_f64 v[6:7], v[18:19], -v[4:5]
	s_delay_alu instid0(VALU_DEP_2) | instskip(NEXT) | instid1(VALU_DEP_2)
	v_cmp_gt_f64_e32 vcc_lo, 0, v[2:3]
	v_cmp_gt_f64_e64 s0, 0, v[6:7]
	v_xor_b32_e32 v4, 0x80000000, v3
	v_xor_b32_e32 v5, 0x80000000, v7
	s_delay_alu instid0(VALU_DEP_2) | instskip(NEXT) | instid1(VALU_DEP_2)
	v_cndmask_b32_e32 v3, v3, v4, vcc_lo
	v_cndmask_b32_e64 v5, v7, v5, s0
	v_cndmask_b32_e32 v2, v2, v2, vcc_lo
	v_cndmask_b32_e64 v4, v6, v6, s0
	s_delay_alu instid0(VALU_DEP_1)
	v_cmp_ngt_f64_e32 vcc_lo, v[2:3], v[4:5]
	s_cbranch_vccz .LBB66_70
; %bb.67:
	v_cmp_eq_f64_e32 vcc_lo, 0, v[6:7]
	v_mov_b32_e32 v6, 0
	v_mov_b32_e32 v7, 0
	s_cbranch_vccnz .LBB66_69
; %bb.68:
	v_div_scale_f64 v[6:7], null, v[4:5], v[4:5], v[2:3]
	v_div_scale_f64 v[18:19], vcc_lo, v[2:3], v[4:5], v[2:3]
	s_delay_alu instid0(VALU_DEP_2) | instskip(SKIP_2) | instid1(VALU_DEP_1)
	v_rcp_f64_e32 v[10:11], v[6:7]
	s_waitcnt_depctr 0xfff
	v_fma_f64 v[16:17], -v[6:7], v[10:11], 1.0
	v_fma_f64 v[10:11], v[10:11], v[16:17], v[10:11]
	s_delay_alu instid0(VALU_DEP_1) | instskip(NEXT) | instid1(VALU_DEP_1)
	v_fma_f64 v[16:17], -v[6:7], v[10:11], 1.0
	v_fma_f64 v[10:11], v[10:11], v[16:17], v[10:11]
	s_delay_alu instid0(VALU_DEP_1) | instskip(NEXT) | instid1(VALU_DEP_1)
	v_mul_f64 v[16:17], v[18:19], v[10:11]
	v_fma_f64 v[6:7], -v[6:7], v[16:17], v[18:19]
	s_delay_alu instid0(VALU_DEP_1) | instskip(NEXT) | instid1(VALU_DEP_1)
	v_div_fmas_f64 v[6:7], v[6:7], v[10:11], v[16:17]
	v_div_fixup_f64 v[6:7], v[6:7], v[4:5], v[2:3]
	s_delay_alu instid0(VALU_DEP_1) | instskip(NEXT) | instid1(VALU_DEP_1)
	v_fma_f64 v[6:7], v[6:7], v[6:7], 1.0
	v_cmp_gt_f64_e32 vcc_lo, 0x10000000, v[6:7]
	v_cndmask_b32_e64 v10, 0, 1, vcc_lo
	s_and_b32 s0, vcc_lo, exec_lo
	s_cselect_b32 s0, 0xffffff80, 0
	s_delay_alu instid0(VALU_DEP_1) | instskip(NEXT) | instid1(VALU_DEP_1)
	v_lshlrev_b32_e32 v10, 8, v10
	v_ldexp_f64 v[6:7], v[6:7], v10
	s_delay_alu instid0(VALU_DEP_1) | instskip(SKIP_4) | instid1(VALU_DEP_1)
	v_rsq_f64_e32 v[10:11], v[6:7]
	v_cmp_class_f64_e64 vcc_lo, v[6:7], 0x260
	s_waitcnt_depctr 0xfff
	v_mul_f64 v[16:17], v[6:7], v[10:11]
	v_mul_f64 v[10:11], v[10:11], 0.5
	v_fma_f64 v[18:19], -v[10:11], v[16:17], 0.5
	s_delay_alu instid0(VALU_DEP_1) | instskip(SKIP_1) | instid1(VALU_DEP_2)
	v_fma_f64 v[16:17], v[16:17], v[18:19], v[16:17]
	v_fma_f64 v[10:11], v[10:11], v[18:19], v[10:11]
	v_fma_f64 v[18:19], -v[16:17], v[16:17], v[6:7]
	s_delay_alu instid0(VALU_DEP_1) | instskip(NEXT) | instid1(VALU_DEP_1)
	v_fma_f64 v[16:17], v[18:19], v[10:11], v[16:17]
	v_fma_f64 v[18:19], -v[16:17], v[16:17], v[6:7]
	s_delay_alu instid0(VALU_DEP_1) | instskip(NEXT) | instid1(VALU_DEP_1)
	v_fma_f64 v[10:11], v[18:19], v[10:11], v[16:17]
	v_ldexp_f64 v[10:11], v[10:11], s0
	s_delay_alu instid0(VALU_DEP_1) | instskip(NEXT) | instid1(VALU_DEP_1)
	v_dual_cndmask_b32 v7, v11, v7 :: v_dual_cndmask_b32 v6, v10, v6
	v_mul_f64 v[6:7], v[4:5], v[6:7]
.LBB66_69:
	s_cbranch_execz .LBB66_71
	s_branch .LBB66_72
.LBB66_70:
                                        ; implicit-def: $vgpr6_vgpr7
.LBB66_71:
	v_div_scale_f64 v[6:7], null, v[2:3], v[2:3], v[4:5]
	v_div_scale_f64 v[18:19], vcc_lo, v[4:5], v[2:3], v[4:5]
	s_delay_alu instid0(VALU_DEP_2) | instskip(SKIP_2) | instid1(VALU_DEP_1)
	v_rcp_f64_e32 v[10:11], v[6:7]
	s_waitcnt_depctr 0xfff
	v_fma_f64 v[16:17], -v[6:7], v[10:11], 1.0
	v_fma_f64 v[10:11], v[10:11], v[16:17], v[10:11]
	s_delay_alu instid0(VALU_DEP_1) | instskip(NEXT) | instid1(VALU_DEP_1)
	v_fma_f64 v[16:17], -v[6:7], v[10:11], 1.0
	v_fma_f64 v[10:11], v[10:11], v[16:17], v[10:11]
	s_delay_alu instid0(VALU_DEP_1) | instskip(NEXT) | instid1(VALU_DEP_1)
	v_mul_f64 v[16:17], v[18:19], v[10:11]
	v_fma_f64 v[6:7], -v[6:7], v[16:17], v[18:19]
	s_delay_alu instid0(VALU_DEP_1) | instskip(NEXT) | instid1(VALU_DEP_1)
	v_div_fmas_f64 v[6:7], v[6:7], v[10:11], v[16:17]
	v_div_fixup_f64 v[4:5], v[6:7], v[2:3], v[4:5]
	s_delay_alu instid0(VALU_DEP_1) | instskip(NEXT) | instid1(VALU_DEP_1)
	v_fma_f64 v[4:5], v[4:5], v[4:5], 1.0
	v_cmp_gt_f64_e32 vcc_lo, 0x10000000, v[4:5]
	v_cndmask_b32_e64 v6, 0, 1, vcc_lo
	s_and_b32 s0, vcc_lo, exec_lo
	s_cselect_b32 s0, 0xffffff80, 0
	s_delay_alu instid0(VALU_DEP_1) | instskip(NEXT) | instid1(VALU_DEP_1)
	v_lshlrev_b32_e32 v6, 8, v6
	v_ldexp_f64 v[4:5], v[4:5], v6
	s_delay_alu instid0(VALU_DEP_1) | instskip(SKIP_4) | instid1(VALU_DEP_1)
	v_rsq_f64_e32 v[6:7], v[4:5]
	v_cmp_class_f64_e64 vcc_lo, v[4:5], 0x260
	s_waitcnt_depctr 0xfff
	v_mul_f64 v[10:11], v[4:5], v[6:7]
	v_mul_f64 v[6:7], v[6:7], 0.5
	v_fma_f64 v[16:17], -v[6:7], v[10:11], 0.5
	s_delay_alu instid0(VALU_DEP_1) | instskip(SKIP_1) | instid1(VALU_DEP_2)
	v_fma_f64 v[10:11], v[10:11], v[16:17], v[10:11]
	v_fma_f64 v[6:7], v[6:7], v[16:17], v[6:7]
	v_fma_f64 v[16:17], -v[10:11], v[10:11], v[4:5]
	s_delay_alu instid0(VALU_DEP_1) | instskip(NEXT) | instid1(VALU_DEP_1)
	v_fma_f64 v[10:11], v[16:17], v[6:7], v[10:11]
	v_fma_f64 v[16:17], -v[10:11], v[10:11], v[4:5]
	s_delay_alu instid0(VALU_DEP_1) | instskip(NEXT) | instid1(VALU_DEP_1)
	v_fma_f64 v[6:7], v[16:17], v[6:7], v[10:11]
	v_ldexp_f64 v[6:7], v[6:7], s0
	s_delay_alu instid0(VALU_DEP_1) | instskip(NEXT) | instid1(VALU_DEP_1)
	v_dual_cndmask_b32 v5, v7, v5 :: v_dual_cndmask_b32 v4, v6, v4
	v_mul_f64 v[6:7], v[2:3], v[4:5]
.LBB66_72:
	s_delay_alu instid0(VALU_DEP_1) | instskip(SKIP_3) | instid1(VALU_DEP_1)
	v_cmp_gt_f64_e32 vcc_lo, 0x10000000, v[6:7]
	v_cndmask_b32_e64 v2, 0, 1, vcc_lo
	s_and_b32 s0, vcc_lo, exec_lo
	s_cselect_b32 s0, 0xffffff80, 0
	v_lshlrev_b32_e32 v2, 8, v2
	s_delay_alu instid0(VALU_DEP_1) | instskip(NEXT) | instid1(VALU_DEP_1)
	v_ldexp_f64 v[2:3], v[6:7], v2
	v_rsq_f64_e32 v[4:5], v[2:3]
	v_cmp_class_f64_e64 vcc_lo, v[2:3], 0x260
	s_waitcnt_depctr 0xfff
	v_mul_f64 v[6:7], v[2:3], v[4:5]
	v_mul_f64 v[4:5], v[4:5], 0.5
	s_delay_alu instid0(VALU_DEP_1) | instskip(NEXT) | instid1(VALU_DEP_1)
	v_fma_f64 v[10:11], -v[4:5], v[6:7], 0.5
	v_fma_f64 v[6:7], v[6:7], v[10:11], v[6:7]
	v_fma_f64 v[4:5], v[4:5], v[10:11], v[4:5]
	s_delay_alu instid0(VALU_DEP_2) | instskip(NEXT) | instid1(VALU_DEP_1)
	v_fma_f64 v[10:11], -v[6:7], v[6:7], v[2:3]
	v_fma_f64 v[6:7], v[10:11], v[4:5], v[6:7]
	s_delay_alu instid0(VALU_DEP_1) | instskip(NEXT) | instid1(VALU_DEP_1)
	v_fma_f64 v[10:11], -v[6:7], v[6:7], v[2:3]
	v_fma_f64 v[4:5], v[10:11], v[4:5], v[6:7]
	s_delay_alu instid0(VALU_DEP_1) | instskip(NEXT) | instid1(VALU_DEP_1)
	v_ldexp_f64 v[5:6], v[4:5], s0
	v_dual_mov_b32 v4, 0 :: v_dual_cndmask_b32 v3, v6, v3
	s_delay_alu instid0(VALU_DEP_1)
	v_dual_cndmask_b32 v2, v5, v2 :: v_dual_mov_b32 v5, v4
	ds_store_b128 v4, v[2:5] offset:2304
.LBB66_73:
	s_or_b32 exec_lo, exec_lo, s2
	v_mov_b32_e32 v2, 0
	s_waitcnt lgkmcnt(0)
	buffer_gl0_inv
	v_cmp_ne_u32_e64 s0, 0, v14
	ds_load_b128 v[2:5], v2 offset:2304
	s_waitcnt lgkmcnt(0)
	v_cmp_neq_f64_e32 vcc_lo, 0, v[2:3]
	v_cmp_neq_f64_e64 s2, 0, v[4:5]
	s_delay_alu instid0(VALU_DEP_1)
	s_or_b32 vcc_lo, vcc_lo, s2
	s_add_i32 s2, s16, s17
	v_cndmask_b32_e32 v3, 0x3ff00000, v3, vcc_lo
	v_dual_cndmask_b32 v2, 0, v2 :: v_dual_cndmask_b32 v5, 0, v5
	v_cndmask_b32_e32 v4, 0, v4, vcc_lo
	s_or_b32 s3, vcc_lo, s0
	s_delay_alu instid0(SALU_CYCLE_1) | instskip(NEXT) | instid1(SALU_CYCLE_1)
	s_xor_b32 s4, s3, -1
	s_and_saveexec_b32 s3, s4
	s_cbranch_execz .LBB66_77
; %bb.74:
	v_mbcnt_lo_u32_b32 v2, exec_lo, 0
	s_mov_b32 s4, exec_lo
	s_delay_alu instid0(VALU_DEP_1)
	v_cmpx_eq_u32_e32 0, v2
	s_cbranch_execz .LBB66_76
; %bb.75:
	v_dual_mov_b32 v2, 0 :: v_dual_mov_b32 v3, s2
	global_atomic_min_i32 v2, v3, s[10:11]
.LBB66_76:
	s_or_b32 exec_lo, exec_lo, s4
	v_mov_b32_e32 v2, 0
	v_dual_mov_b32 v3, 0x3ff00000 :: v_dual_mov_b32 v4, 0
	v_mov_b32_e32 v5, 0
.LBB66_77:
	s_or_b32 exec_lo, exec_lo, s3
	s_and_saveexec_b32 s3, s1
	s_cbranch_execz .LBB66_79
; %bb.78:
	s_delay_alu instid0(VALU_DEP_1) | instskip(NEXT) | instid1(VALU_DEP_1)
	v_mul_f64 v[6:7], v[4:5], v[4:5]
	v_fma_f64 v[6:7], v[2:3], v[2:3], v[6:7]
	s_delay_alu instid0(VALU_DEP_1) | instskip(SKIP_1) | instid1(VALU_DEP_2)
	v_div_scale_f64 v[10:11], null, v[6:7], v[6:7], 1.0
	v_div_scale_f64 v[24:25], vcc_lo, 1.0, v[6:7], 1.0
	v_rcp_f64_e32 v[16:17], v[10:11]
	s_waitcnt_depctr 0xfff
	v_fma_f64 v[18:19], -v[10:11], v[16:17], 1.0
	s_delay_alu instid0(VALU_DEP_1) | instskip(NEXT) | instid1(VALU_DEP_1)
	v_fma_f64 v[16:17], v[16:17], v[18:19], v[16:17]
	v_fma_f64 v[18:19], -v[10:11], v[16:17], 1.0
	s_delay_alu instid0(VALU_DEP_1)
	v_fma_f64 v[26:27], v[16:17], v[18:19], v[16:17]
	ds_load_b128 v[16:19], v9 offset:2304
	ds_load_b128 v[20:23], v9 offset:3456
	s_waitcnt lgkmcnt(0)
	v_add_f64 v[18:19], v[18:19], -v[22:23]
	v_add_f64 v[16:17], v[16:17], -v[20:21]
	v_mul_f64 v[28:29], v[24:25], v[26:27]
	s_delay_alu instid0(VALU_DEP_3) | instskip(NEXT) | instid1(VALU_DEP_3)
	v_mul_f64 v[20:21], v[4:5], v[18:19]
	v_mul_f64 v[4:5], v[4:5], -v[16:17]
	s_delay_alu instid0(VALU_DEP_3) | instskip(NEXT) | instid1(VALU_DEP_3)
	v_fma_f64 v[10:11], -v[10:11], v[28:29], v[24:25]
	v_fma_f64 v[16:17], v[16:17], v[2:3], v[20:21]
	s_delay_alu instid0(VALU_DEP_3) | instskip(NEXT) | instid1(VALU_DEP_3)
	v_fma_f64 v[4:5], v[18:19], v[2:3], v[4:5]
	v_div_fmas_f64 v[10:11], v[10:11], v[26:27], v[28:29]
	s_delay_alu instid0(VALU_DEP_1) | instskip(NEXT) | instid1(VALU_DEP_1)
	v_div_fixup_f64 v[6:7], v[10:11], v[6:7], 1.0
	v_mul_f64 v[2:3], v[6:7], v[16:17]
	s_delay_alu instid0(VALU_DEP_4)
	v_mul_f64 v[4:5], v[6:7], v[4:5]
	v_mul_u32_u24_e32 v6, 0x90, v12
	ds_store_b128 v9, v[2:5] offset:2304
	s_waitcnt lgkmcnt(0)
	s_waitcnt_vscnt null, 0x0
	buffer_gl0_inv
	ds_load_b128 v[16:19], v6 offset:2304
	ds_load_b128 v[20:23], v15
	s_waitcnt lgkmcnt(0)
	v_fma_f64 v[6:7], v[2:3], v[16:17], v[20:21]
	v_fma_f64 v[10:11], v[4:5], v[16:17], v[22:23]
	s_delay_alu instid0(VALU_DEP_2) | instskip(NEXT) | instid1(VALU_DEP_2)
	v_fma_f64 v[4:5], v[4:5], v[18:19], v[6:7]
	v_fma_f64 v[6:7], v[2:3], -v[18:19], v[10:11]
	ds_store_b128 v15, v[4:7]
.LBB66_79:
	s_or_b32 exec_lo, exec_lo, s3
	s_delay_alu instid0(SALU_CYCLE_1)
	s_mov_b32 s3, exec_lo
	s_waitcnt lgkmcnt(0)
	s_waitcnt_vscnt null, 0x0
	buffer_gl0_inv
	v_cmpx_eq_u32_e32 1, v13
	s_cbranch_execz .LBB66_87
; %bb.80:
	v_mov_b32_e32 v6, 0
	ds_load_b128 v[2:5], v6 offset:3616
	ds_load_b128 v[16:19], v6 offset:2464
	s_waitcnt lgkmcnt(0)
	v_add_f64 v[2:3], v[16:17], -v[2:3]
	v_add_f64 v[6:7], v[18:19], -v[4:5]
	s_delay_alu instid0(VALU_DEP_2) | instskip(NEXT) | instid1(VALU_DEP_2)
	v_cmp_gt_f64_e32 vcc_lo, 0, v[2:3]
	v_cmp_gt_f64_e64 s1, 0, v[6:7]
	v_xor_b32_e32 v4, 0x80000000, v3
	v_xor_b32_e32 v5, 0x80000000, v7
	s_delay_alu instid0(VALU_DEP_2) | instskip(NEXT) | instid1(VALU_DEP_2)
	v_cndmask_b32_e32 v3, v3, v4, vcc_lo
	v_cndmask_b32_e64 v5, v7, v5, s1
	v_cndmask_b32_e32 v2, v2, v2, vcc_lo
	v_cndmask_b32_e64 v4, v6, v6, s1
	s_delay_alu instid0(VALU_DEP_1)
	v_cmp_gt_f64_e32 vcc_lo, v[2:3], v[4:5]
	s_cbranch_vccnz .LBB66_84
; %bb.81:
	v_cmp_eq_f64_e32 vcc_lo, 0, v[6:7]
	v_mov_b32_e32 v6, 0
	v_mov_b32_e32 v7, 0
	s_cbranch_vccnz .LBB66_83
; %bb.82:
	v_div_scale_f64 v[6:7], null, v[4:5], v[4:5], v[2:3]
	v_div_scale_f64 v[18:19], vcc_lo, v[2:3], v[4:5], v[2:3]
	s_delay_alu instid0(VALU_DEP_2) | instskip(SKIP_2) | instid1(VALU_DEP_1)
	v_rcp_f64_e32 v[10:11], v[6:7]
	s_waitcnt_depctr 0xfff
	v_fma_f64 v[16:17], -v[6:7], v[10:11], 1.0
	v_fma_f64 v[10:11], v[10:11], v[16:17], v[10:11]
	s_delay_alu instid0(VALU_DEP_1) | instskip(NEXT) | instid1(VALU_DEP_1)
	v_fma_f64 v[16:17], -v[6:7], v[10:11], 1.0
	v_fma_f64 v[10:11], v[10:11], v[16:17], v[10:11]
	s_delay_alu instid0(VALU_DEP_1) | instskip(NEXT) | instid1(VALU_DEP_1)
	v_mul_f64 v[16:17], v[18:19], v[10:11]
	v_fma_f64 v[6:7], -v[6:7], v[16:17], v[18:19]
	s_delay_alu instid0(VALU_DEP_1) | instskip(NEXT) | instid1(VALU_DEP_1)
	v_div_fmas_f64 v[6:7], v[6:7], v[10:11], v[16:17]
	v_div_fixup_f64 v[6:7], v[6:7], v[4:5], v[2:3]
	s_delay_alu instid0(VALU_DEP_1) | instskip(NEXT) | instid1(VALU_DEP_1)
	v_fma_f64 v[6:7], v[6:7], v[6:7], 1.0
	v_cmp_gt_f64_e32 vcc_lo, 0x10000000, v[6:7]
	v_cndmask_b32_e64 v10, 0, 1, vcc_lo
	s_and_b32 s1, vcc_lo, exec_lo
	s_cselect_b32 s1, 0xffffff80, 0
	s_delay_alu instid0(VALU_DEP_1) | instskip(NEXT) | instid1(VALU_DEP_1)
	v_lshlrev_b32_e32 v10, 8, v10
	v_ldexp_f64 v[6:7], v[6:7], v10
	s_delay_alu instid0(VALU_DEP_1) | instskip(SKIP_4) | instid1(VALU_DEP_1)
	v_rsq_f64_e32 v[10:11], v[6:7]
	v_cmp_class_f64_e64 vcc_lo, v[6:7], 0x260
	s_waitcnt_depctr 0xfff
	v_mul_f64 v[16:17], v[6:7], v[10:11]
	v_mul_f64 v[10:11], v[10:11], 0.5
	v_fma_f64 v[18:19], -v[10:11], v[16:17], 0.5
	s_delay_alu instid0(VALU_DEP_1) | instskip(SKIP_1) | instid1(VALU_DEP_2)
	v_fma_f64 v[16:17], v[16:17], v[18:19], v[16:17]
	v_fma_f64 v[10:11], v[10:11], v[18:19], v[10:11]
	v_fma_f64 v[18:19], -v[16:17], v[16:17], v[6:7]
	s_delay_alu instid0(VALU_DEP_1) | instskip(NEXT) | instid1(VALU_DEP_1)
	v_fma_f64 v[16:17], v[18:19], v[10:11], v[16:17]
	v_fma_f64 v[18:19], -v[16:17], v[16:17], v[6:7]
	s_delay_alu instid0(VALU_DEP_1) | instskip(NEXT) | instid1(VALU_DEP_1)
	v_fma_f64 v[10:11], v[18:19], v[10:11], v[16:17]
	v_ldexp_f64 v[10:11], v[10:11], s1
	s_delay_alu instid0(VALU_DEP_1) | instskip(NEXT) | instid1(VALU_DEP_1)
	v_dual_cndmask_b32 v7, v11, v7 :: v_dual_cndmask_b32 v6, v10, v6
	v_mul_f64 v[6:7], v[4:5], v[6:7]
.LBB66_83:
	s_cbranch_execz .LBB66_85
	s_branch .LBB66_86
.LBB66_84:
                                        ; implicit-def: $vgpr6_vgpr7
.LBB66_85:
	v_div_scale_f64 v[6:7], null, v[2:3], v[2:3], v[4:5]
	v_div_scale_f64 v[18:19], vcc_lo, v[4:5], v[2:3], v[4:5]
	s_delay_alu instid0(VALU_DEP_2) | instskip(SKIP_2) | instid1(VALU_DEP_1)
	v_rcp_f64_e32 v[10:11], v[6:7]
	s_waitcnt_depctr 0xfff
	v_fma_f64 v[16:17], -v[6:7], v[10:11], 1.0
	v_fma_f64 v[10:11], v[10:11], v[16:17], v[10:11]
	s_delay_alu instid0(VALU_DEP_1) | instskip(NEXT) | instid1(VALU_DEP_1)
	v_fma_f64 v[16:17], -v[6:7], v[10:11], 1.0
	v_fma_f64 v[10:11], v[10:11], v[16:17], v[10:11]
	s_delay_alu instid0(VALU_DEP_1) | instskip(NEXT) | instid1(VALU_DEP_1)
	v_mul_f64 v[16:17], v[18:19], v[10:11]
	v_fma_f64 v[6:7], -v[6:7], v[16:17], v[18:19]
	s_delay_alu instid0(VALU_DEP_1) | instskip(NEXT) | instid1(VALU_DEP_1)
	v_div_fmas_f64 v[6:7], v[6:7], v[10:11], v[16:17]
	v_div_fixup_f64 v[4:5], v[6:7], v[2:3], v[4:5]
	s_delay_alu instid0(VALU_DEP_1) | instskip(NEXT) | instid1(VALU_DEP_1)
	v_fma_f64 v[4:5], v[4:5], v[4:5], 1.0
	v_cmp_gt_f64_e32 vcc_lo, 0x10000000, v[4:5]
	v_cndmask_b32_e64 v6, 0, 1, vcc_lo
	s_and_b32 s1, vcc_lo, exec_lo
	s_cselect_b32 s1, 0xffffff80, 0
	s_delay_alu instid0(VALU_DEP_1) | instskip(NEXT) | instid1(VALU_DEP_1)
	v_lshlrev_b32_e32 v6, 8, v6
	v_ldexp_f64 v[4:5], v[4:5], v6
	s_delay_alu instid0(VALU_DEP_1) | instskip(SKIP_4) | instid1(VALU_DEP_1)
	v_rsq_f64_e32 v[6:7], v[4:5]
	v_cmp_class_f64_e64 vcc_lo, v[4:5], 0x260
	s_waitcnt_depctr 0xfff
	v_mul_f64 v[10:11], v[4:5], v[6:7]
	v_mul_f64 v[6:7], v[6:7], 0.5
	v_fma_f64 v[16:17], -v[6:7], v[10:11], 0.5
	s_delay_alu instid0(VALU_DEP_1) | instskip(SKIP_1) | instid1(VALU_DEP_2)
	v_fma_f64 v[10:11], v[10:11], v[16:17], v[10:11]
	v_fma_f64 v[6:7], v[6:7], v[16:17], v[6:7]
	v_fma_f64 v[16:17], -v[10:11], v[10:11], v[4:5]
	s_delay_alu instid0(VALU_DEP_1) | instskip(NEXT) | instid1(VALU_DEP_1)
	v_fma_f64 v[10:11], v[16:17], v[6:7], v[10:11]
	v_fma_f64 v[16:17], -v[10:11], v[10:11], v[4:5]
	s_delay_alu instid0(VALU_DEP_1) | instskip(NEXT) | instid1(VALU_DEP_1)
	v_fma_f64 v[6:7], v[16:17], v[6:7], v[10:11]
	v_ldexp_f64 v[6:7], v[6:7], s1
	s_delay_alu instid0(VALU_DEP_1) | instskip(NEXT) | instid1(VALU_DEP_1)
	v_dual_cndmask_b32 v5, v7, v5 :: v_dual_cndmask_b32 v4, v6, v4
	v_mul_f64 v[6:7], v[2:3], v[4:5]
.LBB66_86:
	s_delay_alu instid0(VALU_DEP_1) | instskip(SKIP_3) | instid1(VALU_DEP_1)
	v_cmp_gt_f64_e32 vcc_lo, 0x10000000, v[6:7]
	v_cndmask_b32_e64 v2, 0, 1, vcc_lo
	s_and_b32 s1, vcc_lo, exec_lo
	s_cselect_b32 s1, 0xffffff80, 0
	v_lshlrev_b32_e32 v2, 8, v2
	s_delay_alu instid0(VALU_DEP_1) | instskip(NEXT) | instid1(VALU_DEP_1)
	v_ldexp_f64 v[2:3], v[6:7], v2
	v_rsq_f64_e32 v[4:5], v[2:3]
	v_cmp_class_f64_e64 vcc_lo, v[2:3], 0x260
	s_waitcnt_depctr 0xfff
	v_mul_f64 v[6:7], v[2:3], v[4:5]
	v_mul_f64 v[4:5], v[4:5], 0.5
	s_delay_alu instid0(VALU_DEP_1) | instskip(NEXT) | instid1(VALU_DEP_1)
	v_fma_f64 v[10:11], -v[4:5], v[6:7], 0.5
	v_fma_f64 v[6:7], v[6:7], v[10:11], v[6:7]
	v_fma_f64 v[4:5], v[4:5], v[10:11], v[4:5]
	s_delay_alu instid0(VALU_DEP_2) | instskip(NEXT) | instid1(VALU_DEP_1)
	v_fma_f64 v[10:11], -v[6:7], v[6:7], v[2:3]
	v_fma_f64 v[6:7], v[10:11], v[4:5], v[6:7]
	s_delay_alu instid0(VALU_DEP_1) | instskip(NEXT) | instid1(VALU_DEP_1)
	v_fma_f64 v[10:11], -v[6:7], v[6:7], v[2:3]
	v_fma_f64 v[4:5], v[10:11], v[4:5], v[6:7]
	s_delay_alu instid0(VALU_DEP_1) | instskip(NEXT) | instid1(VALU_DEP_1)
	v_ldexp_f64 v[5:6], v[4:5], s1
	v_dual_mov_b32 v4, 0 :: v_dual_cndmask_b32 v3, v6, v3
	s_delay_alu instid0(VALU_DEP_1)
	v_dual_cndmask_b32 v2, v5, v2 :: v_dual_mov_b32 v5, v4
	ds_store_b128 v4, v[2:5] offset:2464
.LBB66_87:
	s_or_b32 exec_lo, exec_lo, s3
	v_mov_b32_e32 v2, 0
	s_waitcnt lgkmcnt(0)
	buffer_gl0_inv
	ds_load_b128 v[2:5], v2 offset:2464
	s_waitcnt lgkmcnt(0)
	v_cmp_neq_f64_e32 vcc_lo, 0, v[2:3]
	v_cmp_neq_f64_e64 s1, 0, v[4:5]
	s_delay_alu instid0(VALU_DEP_1) | instskip(SKIP_4) | instid1(SALU_CYCLE_1)
	s_or_b32 vcc_lo, vcc_lo, s1
	v_cndmask_b32_e32 v3, 0x3ff00000, v3, vcc_lo
	v_dual_cndmask_b32 v2, 0, v2 :: v_dual_cndmask_b32 v5, 0, v5
	v_cndmask_b32_e32 v4, 0, v4, vcc_lo
	s_or_b32 s1, vcc_lo, s0
	s_xor_b32 s3, s1, -1
	s_delay_alu instid0(SALU_CYCLE_1)
	s_and_saveexec_b32 s1, s3
	s_cbranch_execz .LBB66_91
; %bb.88:
	v_mbcnt_lo_u32_b32 v2, exec_lo, 0
	s_mov_b32 s3, exec_lo
	s_delay_alu instid0(VALU_DEP_1)
	v_cmpx_eq_u32_e32 0, v2
	s_cbranch_execz .LBB66_90
; %bb.89:
	v_dual_mov_b32 v2, 0 :: v_dual_mov_b32 v3, s2
	global_atomic_min_i32 v2, v3, s[10:11]
.LBB66_90:
	s_or_b32 exec_lo, exec_lo, s3
	v_mov_b32_e32 v2, 0
	v_dual_mov_b32 v3, 0x3ff00000 :: v_dual_mov_b32 v4, 0
	v_mov_b32_e32 v5, 0
.LBB66_91:
	s_or_b32 exec_lo, exec_lo, s1
	s_delay_alu instid0(SALU_CYCLE_1)
	s_mov_b32 s1, exec_lo
	v_cmpx_lt_u32_e32 1, v13
	s_cbranch_execz .LBB66_93
; %bb.92:
	v_mul_f64 v[6:7], v[4:5], v[4:5]
	s_delay_alu instid0(VALU_DEP_1) | instskip(NEXT) | instid1(VALU_DEP_1)
	v_fma_f64 v[6:7], v[2:3], v[2:3], v[6:7]
	v_div_scale_f64 v[10:11], null, v[6:7], v[6:7], 1.0
	v_div_scale_f64 v[24:25], vcc_lo, 1.0, v[6:7], 1.0
	s_delay_alu instid0(VALU_DEP_2) | instskip(SKIP_2) | instid1(VALU_DEP_1)
	v_rcp_f64_e32 v[16:17], v[10:11]
	s_waitcnt_depctr 0xfff
	v_fma_f64 v[18:19], -v[10:11], v[16:17], 1.0
	v_fma_f64 v[16:17], v[16:17], v[18:19], v[16:17]
	s_delay_alu instid0(VALU_DEP_1) | instskip(NEXT) | instid1(VALU_DEP_1)
	v_fma_f64 v[18:19], -v[10:11], v[16:17], 1.0
	v_fma_f64 v[26:27], v[16:17], v[18:19], v[16:17]
	ds_load_b128 v[16:19], v9 offset:2320
	ds_load_b128 v[20:23], v9 offset:3472
	s_waitcnt lgkmcnt(0)
	v_add_f64 v[18:19], v[18:19], -v[22:23]
	v_add_f64 v[16:17], v[16:17], -v[20:21]
	v_mul_f64 v[28:29], v[24:25], v[26:27]
	s_delay_alu instid0(VALU_DEP_3) | instskip(NEXT) | instid1(VALU_DEP_3)
	v_mul_f64 v[20:21], v[4:5], v[18:19]
	v_mul_f64 v[4:5], v[4:5], -v[16:17]
	s_delay_alu instid0(VALU_DEP_3) | instskip(NEXT) | instid1(VALU_DEP_3)
	v_fma_f64 v[10:11], -v[10:11], v[28:29], v[24:25]
	v_fma_f64 v[16:17], v[16:17], v[2:3], v[20:21]
	s_delay_alu instid0(VALU_DEP_3) | instskip(NEXT) | instid1(VALU_DEP_3)
	v_fma_f64 v[4:5], v[18:19], v[2:3], v[4:5]
	v_div_fmas_f64 v[10:11], v[10:11], v[26:27], v[28:29]
	s_delay_alu instid0(VALU_DEP_1) | instskip(NEXT) | instid1(VALU_DEP_1)
	v_div_fixup_f64 v[6:7], v[10:11], v[6:7], 1.0
	v_mul_f64 v[2:3], v[6:7], v[16:17]
	s_delay_alu instid0(VALU_DEP_4)
	v_mul_f64 v[4:5], v[6:7], v[4:5]
	v_mul_u32_u24_e32 v6, 0x90, v12
	ds_store_b128 v9, v[2:5] offset:2320
	s_waitcnt lgkmcnt(0)
	s_waitcnt_vscnt null, 0x0
	buffer_gl0_inv
	ds_load_b128 v[16:19], v6 offset:2320
	ds_load_b128 v[20:23], v15
	s_waitcnt lgkmcnt(0)
	v_fma_f64 v[6:7], v[2:3], v[16:17], v[20:21]
	v_fma_f64 v[10:11], v[4:5], v[16:17], v[22:23]
	s_delay_alu instid0(VALU_DEP_2) | instskip(NEXT) | instid1(VALU_DEP_2)
	v_fma_f64 v[4:5], v[4:5], v[18:19], v[6:7]
	v_fma_f64 v[6:7], v[2:3], -v[18:19], v[10:11]
	ds_store_b128 v15, v[4:7]
.LBB66_93:
	s_or_b32 exec_lo, exec_lo, s1
	s_delay_alu instid0(SALU_CYCLE_1)
	s_mov_b32 s3, exec_lo
	s_waitcnt lgkmcnt(0)
	s_waitcnt_vscnt null, 0x0
	buffer_gl0_inv
	v_cmpx_eq_u32_e32 2, v13
	s_cbranch_execz .LBB66_101
; %bb.94:
	v_mov_b32_e32 v6, 0
	ds_load_b128 v[2:5], v6 offset:3776
	ds_load_b128 v[16:19], v6 offset:2624
	s_waitcnt lgkmcnt(0)
	v_add_f64 v[2:3], v[16:17], -v[2:3]
	v_add_f64 v[6:7], v[18:19], -v[4:5]
	s_delay_alu instid0(VALU_DEP_2) | instskip(NEXT) | instid1(VALU_DEP_2)
	v_cmp_gt_f64_e32 vcc_lo, 0, v[2:3]
	v_cmp_gt_f64_e64 s1, 0, v[6:7]
	v_xor_b32_e32 v4, 0x80000000, v3
	v_xor_b32_e32 v5, 0x80000000, v7
	s_delay_alu instid0(VALU_DEP_2) | instskip(NEXT) | instid1(VALU_DEP_2)
	v_cndmask_b32_e32 v3, v3, v4, vcc_lo
	v_cndmask_b32_e64 v5, v7, v5, s1
	v_cndmask_b32_e32 v2, v2, v2, vcc_lo
	v_cndmask_b32_e64 v4, v6, v6, s1
	s_delay_alu instid0(VALU_DEP_1)
	v_cmp_gt_f64_e32 vcc_lo, v[2:3], v[4:5]
	s_cbranch_vccnz .LBB66_98
; %bb.95:
	v_cmp_eq_f64_e32 vcc_lo, 0, v[6:7]
	v_mov_b32_e32 v6, 0
	v_mov_b32_e32 v7, 0
	s_cbranch_vccnz .LBB66_97
; %bb.96:
	v_div_scale_f64 v[6:7], null, v[4:5], v[4:5], v[2:3]
	v_div_scale_f64 v[18:19], vcc_lo, v[2:3], v[4:5], v[2:3]
	s_delay_alu instid0(VALU_DEP_2) | instskip(SKIP_2) | instid1(VALU_DEP_1)
	v_rcp_f64_e32 v[10:11], v[6:7]
	s_waitcnt_depctr 0xfff
	v_fma_f64 v[16:17], -v[6:7], v[10:11], 1.0
	v_fma_f64 v[10:11], v[10:11], v[16:17], v[10:11]
	s_delay_alu instid0(VALU_DEP_1) | instskip(NEXT) | instid1(VALU_DEP_1)
	v_fma_f64 v[16:17], -v[6:7], v[10:11], 1.0
	v_fma_f64 v[10:11], v[10:11], v[16:17], v[10:11]
	s_delay_alu instid0(VALU_DEP_1) | instskip(NEXT) | instid1(VALU_DEP_1)
	v_mul_f64 v[16:17], v[18:19], v[10:11]
	v_fma_f64 v[6:7], -v[6:7], v[16:17], v[18:19]
	s_delay_alu instid0(VALU_DEP_1) | instskip(NEXT) | instid1(VALU_DEP_1)
	v_div_fmas_f64 v[6:7], v[6:7], v[10:11], v[16:17]
	v_div_fixup_f64 v[6:7], v[6:7], v[4:5], v[2:3]
	s_delay_alu instid0(VALU_DEP_1) | instskip(NEXT) | instid1(VALU_DEP_1)
	v_fma_f64 v[6:7], v[6:7], v[6:7], 1.0
	v_cmp_gt_f64_e32 vcc_lo, 0x10000000, v[6:7]
	v_cndmask_b32_e64 v10, 0, 1, vcc_lo
	s_and_b32 s1, vcc_lo, exec_lo
	s_cselect_b32 s1, 0xffffff80, 0
	s_delay_alu instid0(VALU_DEP_1) | instskip(NEXT) | instid1(VALU_DEP_1)
	v_lshlrev_b32_e32 v10, 8, v10
	v_ldexp_f64 v[6:7], v[6:7], v10
	s_delay_alu instid0(VALU_DEP_1) | instskip(SKIP_4) | instid1(VALU_DEP_1)
	v_rsq_f64_e32 v[10:11], v[6:7]
	v_cmp_class_f64_e64 vcc_lo, v[6:7], 0x260
	s_waitcnt_depctr 0xfff
	v_mul_f64 v[16:17], v[6:7], v[10:11]
	v_mul_f64 v[10:11], v[10:11], 0.5
	v_fma_f64 v[18:19], -v[10:11], v[16:17], 0.5
	s_delay_alu instid0(VALU_DEP_1) | instskip(SKIP_1) | instid1(VALU_DEP_2)
	v_fma_f64 v[16:17], v[16:17], v[18:19], v[16:17]
	v_fma_f64 v[10:11], v[10:11], v[18:19], v[10:11]
	v_fma_f64 v[18:19], -v[16:17], v[16:17], v[6:7]
	s_delay_alu instid0(VALU_DEP_1) | instskip(NEXT) | instid1(VALU_DEP_1)
	v_fma_f64 v[16:17], v[18:19], v[10:11], v[16:17]
	v_fma_f64 v[18:19], -v[16:17], v[16:17], v[6:7]
	s_delay_alu instid0(VALU_DEP_1) | instskip(NEXT) | instid1(VALU_DEP_1)
	v_fma_f64 v[10:11], v[18:19], v[10:11], v[16:17]
	v_ldexp_f64 v[10:11], v[10:11], s1
	s_delay_alu instid0(VALU_DEP_1) | instskip(NEXT) | instid1(VALU_DEP_1)
	v_dual_cndmask_b32 v7, v11, v7 :: v_dual_cndmask_b32 v6, v10, v6
	v_mul_f64 v[6:7], v[4:5], v[6:7]
.LBB66_97:
	s_cbranch_execz .LBB66_99
	s_branch .LBB66_100
.LBB66_98:
                                        ; implicit-def: $vgpr6_vgpr7
.LBB66_99:
	v_div_scale_f64 v[6:7], null, v[2:3], v[2:3], v[4:5]
	v_div_scale_f64 v[18:19], vcc_lo, v[4:5], v[2:3], v[4:5]
	s_delay_alu instid0(VALU_DEP_2) | instskip(SKIP_2) | instid1(VALU_DEP_1)
	v_rcp_f64_e32 v[10:11], v[6:7]
	s_waitcnt_depctr 0xfff
	v_fma_f64 v[16:17], -v[6:7], v[10:11], 1.0
	v_fma_f64 v[10:11], v[10:11], v[16:17], v[10:11]
	s_delay_alu instid0(VALU_DEP_1) | instskip(NEXT) | instid1(VALU_DEP_1)
	v_fma_f64 v[16:17], -v[6:7], v[10:11], 1.0
	v_fma_f64 v[10:11], v[10:11], v[16:17], v[10:11]
	s_delay_alu instid0(VALU_DEP_1) | instskip(NEXT) | instid1(VALU_DEP_1)
	v_mul_f64 v[16:17], v[18:19], v[10:11]
	v_fma_f64 v[6:7], -v[6:7], v[16:17], v[18:19]
	s_delay_alu instid0(VALU_DEP_1) | instskip(NEXT) | instid1(VALU_DEP_1)
	v_div_fmas_f64 v[6:7], v[6:7], v[10:11], v[16:17]
	v_div_fixup_f64 v[4:5], v[6:7], v[2:3], v[4:5]
	s_delay_alu instid0(VALU_DEP_1) | instskip(NEXT) | instid1(VALU_DEP_1)
	v_fma_f64 v[4:5], v[4:5], v[4:5], 1.0
	v_cmp_gt_f64_e32 vcc_lo, 0x10000000, v[4:5]
	v_cndmask_b32_e64 v6, 0, 1, vcc_lo
	s_and_b32 s1, vcc_lo, exec_lo
	s_cselect_b32 s1, 0xffffff80, 0
	s_delay_alu instid0(VALU_DEP_1) | instskip(NEXT) | instid1(VALU_DEP_1)
	v_lshlrev_b32_e32 v6, 8, v6
	v_ldexp_f64 v[4:5], v[4:5], v6
	s_delay_alu instid0(VALU_DEP_1) | instskip(SKIP_4) | instid1(VALU_DEP_1)
	v_rsq_f64_e32 v[6:7], v[4:5]
	v_cmp_class_f64_e64 vcc_lo, v[4:5], 0x260
	s_waitcnt_depctr 0xfff
	v_mul_f64 v[10:11], v[4:5], v[6:7]
	v_mul_f64 v[6:7], v[6:7], 0.5
	v_fma_f64 v[16:17], -v[6:7], v[10:11], 0.5
	s_delay_alu instid0(VALU_DEP_1) | instskip(SKIP_1) | instid1(VALU_DEP_2)
	v_fma_f64 v[10:11], v[10:11], v[16:17], v[10:11]
	v_fma_f64 v[6:7], v[6:7], v[16:17], v[6:7]
	v_fma_f64 v[16:17], -v[10:11], v[10:11], v[4:5]
	s_delay_alu instid0(VALU_DEP_1) | instskip(NEXT) | instid1(VALU_DEP_1)
	v_fma_f64 v[10:11], v[16:17], v[6:7], v[10:11]
	v_fma_f64 v[16:17], -v[10:11], v[10:11], v[4:5]
	s_delay_alu instid0(VALU_DEP_1) | instskip(NEXT) | instid1(VALU_DEP_1)
	v_fma_f64 v[6:7], v[16:17], v[6:7], v[10:11]
	v_ldexp_f64 v[6:7], v[6:7], s1
	s_delay_alu instid0(VALU_DEP_1) | instskip(NEXT) | instid1(VALU_DEP_1)
	v_dual_cndmask_b32 v5, v7, v5 :: v_dual_cndmask_b32 v4, v6, v4
	v_mul_f64 v[6:7], v[2:3], v[4:5]
.LBB66_100:
	s_delay_alu instid0(VALU_DEP_1) | instskip(SKIP_3) | instid1(VALU_DEP_1)
	v_cmp_gt_f64_e32 vcc_lo, 0x10000000, v[6:7]
	v_cndmask_b32_e64 v2, 0, 1, vcc_lo
	s_and_b32 s1, vcc_lo, exec_lo
	s_cselect_b32 s1, 0xffffff80, 0
	v_lshlrev_b32_e32 v2, 8, v2
	s_delay_alu instid0(VALU_DEP_1) | instskip(NEXT) | instid1(VALU_DEP_1)
	v_ldexp_f64 v[2:3], v[6:7], v2
	v_rsq_f64_e32 v[4:5], v[2:3]
	v_cmp_class_f64_e64 vcc_lo, v[2:3], 0x260
	s_waitcnt_depctr 0xfff
	v_mul_f64 v[6:7], v[2:3], v[4:5]
	v_mul_f64 v[4:5], v[4:5], 0.5
	s_delay_alu instid0(VALU_DEP_1) | instskip(NEXT) | instid1(VALU_DEP_1)
	v_fma_f64 v[10:11], -v[4:5], v[6:7], 0.5
	v_fma_f64 v[6:7], v[6:7], v[10:11], v[6:7]
	v_fma_f64 v[4:5], v[4:5], v[10:11], v[4:5]
	s_delay_alu instid0(VALU_DEP_2) | instskip(NEXT) | instid1(VALU_DEP_1)
	v_fma_f64 v[10:11], -v[6:7], v[6:7], v[2:3]
	v_fma_f64 v[6:7], v[10:11], v[4:5], v[6:7]
	s_delay_alu instid0(VALU_DEP_1) | instskip(NEXT) | instid1(VALU_DEP_1)
	v_fma_f64 v[10:11], -v[6:7], v[6:7], v[2:3]
	v_fma_f64 v[4:5], v[10:11], v[4:5], v[6:7]
	s_delay_alu instid0(VALU_DEP_1) | instskip(NEXT) | instid1(VALU_DEP_1)
	v_ldexp_f64 v[5:6], v[4:5], s1
	v_dual_mov_b32 v4, 0 :: v_dual_cndmask_b32 v3, v6, v3
	s_delay_alu instid0(VALU_DEP_1)
	v_dual_cndmask_b32 v2, v5, v2 :: v_dual_mov_b32 v5, v4
	ds_store_b128 v4, v[2:5] offset:2624
.LBB66_101:
	s_or_b32 exec_lo, exec_lo, s3
	v_mov_b32_e32 v2, 0
	s_waitcnt lgkmcnt(0)
	buffer_gl0_inv
	ds_load_b128 v[2:5], v2 offset:2624
	s_waitcnt lgkmcnt(0)
	v_cmp_neq_f64_e32 vcc_lo, 0, v[2:3]
	v_cmp_neq_f64_e64 s1, 0, v[4:5]
	s_delay_alu instid0(VALU_DEP_1) | instskip(SKIP_4) | instid1(SALU_CYCLE_1)
	s_or_b32 vcc_lo, vcc_lo, s1
	v_cndmask_b32_e32 v3, 0x3ff00000, v3, vcc_lo
	v_dual_cndmask_b32 v2, 0, v2 :: v_dual_cndmask_b32 v5, 0, v5
	v_cndmask_b32_e32 v4, 0, v4, vcc_lo
	s_or_b32 s1, vcc_lo, s0
	s_xor_b32 s3, s1, -1
	s_delay_alu instid0(SALU_CYCLE_1)
	s_and_saveexec_b32 s1, s3
	s_cbranch_execz .LBB66_105
; %bb.102:
	v_mbcnt_lo_u32_b32 v2, exec_lo, 0
	s_mov_b32 s3, exec_lo
	s_delay_alu instid0(VALU_DEP_1)
	v_cmpx_eq_u32_e32 0, v2
	s_cbranch_execz .LBB66_104
; %bb.103:
	v_dual_mov_b32 v2, 0 :: v_dual_mov_b32 v3, s2
	global_atomic_min_i32 v2, v3, s[10:11]
.LBB66_104:
	s_or_b32 exec_lo, exec_lo, s3
	v_mov_b32_e32 v2, 0
	v_dual_mov_b32 v3, 0x3ff00000 :: v_dual_mov_b32 v4, 0
	v_mov_b32_e32 v5, 0
.LBB66_105:
	s_or_b32 exec_lo, exec_lo, s1
	s_delay_alu instid0(SALU_CYCLE_1)
	s_mov_b32 s1, exec_lo
	v_cmpx_lt_u32_e32 2, v13
	s_cbranch_execz .LBB66_107
; %bb.106:
	v_mul_f64 v[6:7], v[4:5], v[4:5]
	s_delay_alu instid0(VALU_DEP_1) | instskip(NEXT) | instid1(VALU_DEP_1)
	v_fma_f64 v[6:7], v[2:3], v[2:3], v[6:7]
	v_div_scale_f64 v[10:11], null, v[6:7], v[6:7], 1.0
	v_div_scale_f64 v[24:25], vcc_lo, 1.0, v[6:7], 1.0
	s_delay_alu instid0(VALU_DEP_2) | instskip(SKIP_2) | instid1(VALU_DEP_1)
	v_rcp_f64_e32 v[16:17], v[10:11]
	s_waitcnt_depctr 0xfff
	v_fma_f64 v[18:19], -v[10:11], v[16:17], 1.0
	v_fma_f64 v[16:17], v[16:17], v[18:19], v[16:17]
	s_delay_alu instid0(VALU_DEP_1) | instskip(NEXT) | instid1(VALU_DEP_1)
	v_fma_f64 v[18:19], -v[10:11], v[16:17], 1.0
	v_fma_f64 v[26:27], v[16:17], v[18:19], v[16:17]
	ds_load_b128 v[16:19], v9 offset:2336
	ds_load_b128 v[20:23], v9 offset:3488
	s_waitcnt lgkmcnt(0)
	v_add_f64 v[18:19], v[18:19], -v[22:23]
	v_add_f64 v[16:17], v[16:17], -v[20:21]
	v_mul_f64 v[28:29], v[24:25], v[26:27]
	s_delay_alu instid0(VALU_DEP_3) | instskip(NEXT) | instid1(VALU_DEP_3)
	v_mul_f64 v[20:21], v[4:5], v[18:19]
	v_mul_f64 v[4:5], v[4:5], -v[16:17]
	s_delay_alu instid0(VALU_DEP_3) | instskip(NEXT) | instid1(VALU_DEP_3)
	v_fma_f64 v[10:11], -v[10:11], v[28:29], v[24:25]
	v_fma_f64 v[16:17], v[16:17], v[2:3], v[20:21]
	s_delay_alu instid0(VALU_DEP_3) | instskip(NEXT) | instid1(VALU_DEP_3)
	v_fma_f64 v[4:5], v[18:19], v[2:3], v[4:5]
	v_div_fmas_f64 v[10:11], v[10:11], v[26:27], v[28:29]
	s_delay_alu instid0(VALU_DEP_1) | instskip(NEXT) | instid1(VALU_DEP_1)
	v_div_fixup_f64 v[6:7], v[10:11], v[6:7], 1.0
	v_mul_f64 v[2:3], v[6:7], v[16:17]
	s_delay_alu instid0(VALU_DEP_4)
	v_mul_f64 v[4:5], v[6:7], v[4:5]
	v_mul_u32_u24_e32 v6, 0x90, v12
	ds_store_b128 v9, v[2:5] offset:2336
	s_waitcnt lgkmcnt(0)
	s_waitcnt_vscnt null, 0x0
	buffer_gl0_inv
	ds_load_b128 v[16:19], v6 offset:2336
	ds_load_b128 v[20:23], v15
	s_waitcnt lgkmcnt(0)
	v_fma_f64 v[6:7], v[2:3], v[16:17], v[20:21]
	v_fma_f64 v[10:11], v[4:5], v[16:17], v[22:23]
	s_delay_alu instid0(VALU_DEP_2) | instskip(NEXT) | instid1(VALU_DEP_2)
	v_fma_f64 v[4:5], v[4:5], v[18:19], v[6:7]
	v_fma_f64 v[6:7], v[2:3], -v[18:19], v[10:11]
	ds_store_b128 v15, v[4:7]
.LBB66_107:
	s_or_b32 exec_lo, exec_lo, s1
	s_delay_alu instid0(SALU_CYCLE_1)
	s_mov_b32 s3, exec_lo
	s_waitcnt lgkmcnt(0)
	s_waitcnt_vscnt null, 0x0
	buffer_gl0_inv
	v_cmpx_eq_u32_e32 3, v13
	s_cbranch_execz .LBB66_115
; %bb.108:
	v_mov_b32_e32 v6, 0
	ds_load_b128 v[2:5], v6 offset:3936
	ds_load_b128 v[16:19], v6 offset:2784
	s_waitcnt lgkmcnt(0)
	v_add_f64 v[2:3], v[16:17], -v[2:3]
	v_add_f64 v[6:7], v[18:19], -v[4:5]
	s_delay_alu instid0(VALU_DEP_2) | instskip(NEXT) | instid1(VALU_DEP_2)
	v_cmp_gt_f64_e32 vcc_lo, 0, v[2:3]
	v_cmp_gt_f64_e64 s1, 0, v[6:7]
	v_xor_b32_e32 v4, 0x80000000, v3
	v_xor_b32_e32 v5, 0x80000000, v7
	s_delay_alu instid0(VALU_DEP_2) | instskip(NEXT) | instid1(VALU_DEP_2)
	v_cndmask_b32_e32 v3, v3, v4, vcc_lo
	v_cndmask_b32_e64 v5, v7, v5, s1
	v_cndmask_b32_e32 v2, v2, v2, vcc_lo
	v_cndmask_b32_e64 v4, v6, v6, s1
	s_delay_alu instid0(VALU_DEP_1)
	v_cmp_gt_f64_e32 vcc_lo, v[2:3], v[4:5]
	s_cbranch_vccnz .LBB66_112
; %bb.109:
	v_cmp_eq_f64_e32 vcc_lo, 0, v[6:7]
	v_mov_b32_e32 v6, 0
	v_mov_b32_e32 v7, 0
	s_cbranch_vccnz .LBB66_111
; %bb.110:
	v_div_scale_f64 v[6:7], null, v[4:5], v[4:5], v[2:3]
	v_div_scale_f64 v[18:19], vcc_lo, v[2:3], v[4:5], v[2:3]
	s_delay_alu instid0(VALU_DEP_2) | instskip(SKIP_2) | instid1(VALU_DEP_1)
	v_rcp_f64_e32 v[10:11], v[6:7]
	s_waitcnt_depctr 0xfff
	v_fma_f64 v[16:17], -v[6:7], v[10:11], 1.0
	v_fma_f64 v[10:11], v[10:11], v[16:17], v[10:11]
	s_delay_alu instid0(VALU_DEP_1) | instskip(NEXT) | instid1(VALU_DEP_1)
	v_fma_f64 v[16:17], -v[6:7], v[10:11], 1.0
	v_fma_f64 v[10:11], v[10:11], v[16:17], v[10:11]
	s_delay_alu instid0(VALU_DEP_1) | instskip(NEXT) | instid1(VALU_DEP_1)
	v_mul_f64 v[16:17], v[18:19], v[10:11]
	v_fma_f64 v[6:7], -v[6:7], v[16:17], v[18:19]
	s_delay_alu instid0(VALU_DEP_1) | instskip(NEXT) | instid1(VALU_DEP_1)
	v_div_fmas_f64 v[6:7], v[6:7], v[10:11], v[16:17]
	v_div_fixup_f64 v[6:7], v[6:7], v[4:5], v[2:3]
	s_delay_alu instid0(VALU_DEP_1) | instskip(NEXT) | instid1(VALU_DEP_1)
	v_fma_f64 v[6:7], v[6:7], v[6:7], 1.0
	v_cmp_gt_f64_e32 vcc_lo, 0x10000000, v[6:7]
	v_cndmask_b32_e64 v10, 0, 1, vcc_lo
	s_and_b32 s1, vcc_lo, exec_lo
	s_cselect_b32 s1, 0xffffff80, 0
	s_delay_alu instid0(VALU_DEP_1) | instskip(NEXT) | instid1(VALU_DEP_1)
	v_lshlrev_b32_e32 v10, 8, v10
	v_ldexp_f64 v[6:7], v[6:7], v10
	s_delay_alu instid0(VALU_DEP_1) | instskip(SKIP_4) | instid1(VALU_DEP_1)
	v_rsq_f64_e32 v[10:11], v[6:7]
	v_cmp_class_f64_e64 vcc_lo, v[6:7], 0x260
	s_waitcnt_depctr 0xfff
	v_mul_f64 v[16:17], v[6:7], v[10:11]
	v_mul_f64 v[10:11], v[10:11], 0.5
	v_fma_f64 v[18:19], -v[10:11], v[16:17], 0.5
	s_delay_alu instid0(VALU_DEP_1) | instskip(SKIP_1) | instid1(VALU_DEP_2)
	v_fma_f64 v[16:17], v[16:17], v[18:19], v[16:17]
	v_fma_f64 v[10:11], v[10:11], v[18:19], v[10:11]
	v_fma_f64 v[18:19], -v[16:17], v[16:17], v[6:7]
	s_delay_alu instid0(VALU_DEP_1) | instskip(NEXT) | instid1(VALU_DEP_1)
	v_fma_f64 v[16:17], v[18:19], v[10:11], v[16:17]
	v_fma_f64 v[18:19], -v[16:17], v[16:17], v[6:7]
	s_delay_alu instid0(VALU_DEP_1) | instskip(NEXT) | instid1(VALU_DEP_1)
	v_fma_f64 v[10:11], v[18:19], v[10:11], v[16:17]
	v_ldexp_f64 v[10:11], v[10:11], s1
	s_delay_alu instid0(VALU_DEP_1) | instskip(NEXT) | instid1(VALU_DEP_1)
	v_dual_cndmask_b32 v7, v11, v7 :: v_dual_cndmask_b32 v6, v10, v6
	v_mul_f64 v[6:7], v[4:5], v[6:7]
.LBB66_111:
	s_cbranch_execz .LBB66_113
	s_branch .LBB66_114
.LBB66_112:
                                        ; implicit-def: $vgpr6_vgpr7
.LBB66_113:
	v_div_scale_f64 v[6:7], null, v[2:3], v[2:3], v[4:5]
	v_div_scale_f64 v[18:19], vcc_lo, v[4:5], v[2:3], v[4:5]
	s_delay_alu instid0(VALU_DEP_2) | instskip(SKIP_2) | instid1(VALU_DEP_1)
	v_rcp_f64_e32 v[10:11], v[6:7]
	s_waitcnt_depctr 0xfff
	v_fma_f64 v[16:17], -v[6:7], v[10:11], 1.0
	v_fma_f64 v[10:11], v[10:11], v[16:17], v[10:11]
	s_delay_alu instid0(VALU_DEP_1) | instskip(NEXT) | instid1(VALU_DEP_1)
	v_fma_f64 v[16:17], -v[6:7], v[10:11], 1.0
	v_fma_f64 v[10:11], v[10:11], v[16:17], v[10:11]
	s_delay_alu instid0(VALU_DEP_1) | instskip(NEXT) | instid1(VALU_DEP_1)
	v_mul_f64 v[16:17], v[18:19], v[10:11]
	v_fma_f64 v[6:7], -v[6:7], v[16:17], v[18:19]
	s_delay_alu instid0(VALU_DEP_1) | instskip(NEXT) | instid1(VALU_DEP_1)
	v_div_fmas_f64 v[6:7], v[6:7], v[10:11], v[16:17]
	v_div_fixup_f64 v[4:5], v[6:7], v[2:3], v[4:5]
	s_delay_alu instid0(VALU_DEP_1) | instskip(NEXT) | instid1(VALU_DEP_1)
	v_fma_f64 v[4:5], v[4:5], v[4:5], 1.0
	v_cmp_gt_f64_e32 vcc_lo, 0x10000000, v[4:5]
	v_cndmask_b32_e64 v6, 0, 1, vcc_lo
	s_and_b32 s1, vcc_lo, exec_lo
	s_cselect_b32 s1, 0xffffff80, 0
	s_delay_alu instid0(VALU_DEP_1) | instskip(NEXT) | instid1(VALU_DEP_1)
	v_lshlrev_b32_e32 v6, 8, v6
	v_ldexp_f64 v[4:5], v[4:5], v6
	s_delay_alu instid0(VALU_DEP_1) | instskip(SKIP_4) | instid1(VALU_DEP_1)
	v_rsq_f64_e32 v[6:7], v[4:5]
	v_cmp_class_f64_e64 vcc_lo, v[4:5], 0x260
	s_waitcnt_depctr 0xfff
	v_mul_f64 v[10:11], v[4:5], v[6:7]
	v_mul_f64 v[6:7], v[6:7], 0.5
	v_fma_f64 v[16:17], -v[6:7], v[10:11], 0.5
	s_delay_alu instid0(VALU_DEP_1) | instskip(SKIP_1) | instid1(VALU_DEP_2)
	v_fma_f64 v[10:11], v[10:11], v[16:17], v[10:11]
	v_fma_f64 v[6:7], v[6:7], v[16:17], v[6:7]
	v_fma_f64 v[16:17], -v[10:11], v[10:11], v[4:5]
	s_delay_alu instid0(VALU_DEP_1) | instskip(NEXT) | instid1(VALU_DEP_1)
	v_fma_f64 v[10:11], v[16:17], v[6:7], v[10:11]
	v_fma_f64 v[16:17], -v[10:11], v[10:11], v[4:5]
	s_delay_alu instid0(VALU_DEP_1) | instskip(NEXT) | instid1(VALU_DEP_1)
	v_fma_f64 v[6:7], v[16:17], v[6:7], v[10:11]
	v_ldexp_f64 v[6:7], v[6:7], s1
	s_delay_alu instid0(VALU_DEP_1) | instskip(NEXT) | instid1(VALU_DEP_1)
	v_dual_cndmask_b32 v5, v7, v5 :: v_dual_cndmask_b32 v4, v6, v4
	v_mul_f64 v[6:7], v[2:3], v[4:5]
.LBB66_114:
	s_delay_alu instid0(VALU_DEP_1) | instskip(SKIP_3) | instid1(VALU_DEP_1)
	v_cmp_gt_f64_e32 vcc_lo, 0x10000000, v[6:7]
	v_cndmask_b32_e64 v2, 0, 1, vcc_lo
	s_and_b32 s1, vcc_lo, exec_lo
	s_cselect_b32 s1, 0xffffff80, 0
	v_lshlrev_b32_e32 v2, 8, v2
	s_delay_alu instid0(VALU_DEP_1) | instskip(NEXT) | instid1(VALU_DEP_1)
	v_ldexp_f64 v[2:3], v[6:7], v2
	v_rsq_f64_e32 v[4:5], v[2:3]
	v_cmp_class_f64_e64 vcc_lo, v[2:3], 0x260
	s_waitcnt_depctr 0xfff
	v_mul_f64 v[6:7], v[2:3], v[4:5]
	v_mul_f64 v[4:5], v[4:5], 0.5
	s_delay_alu instid0(VALU_DEP_1) | instskip(NEXT) | instid1(VALU_DEP_1)
	v_fma_f64 v[10:11], -v[4:5], v[6:7], 0.5
	v_fma_f64 v[6:7], v[6:7], v[10:11], v[6:7]
	v_fma_f64 v[4:5], v[4:5], v[10:11], v[4:5]
	s_delay_alu instid0(VALU_DEP_2) | instskip(NEXT) | instid1(VALU_DEP_1)
	v_fma_f64 v[10:11], -v[6:7], v[6:7], v[2:3]
	v_fma_f64 v[6:7], v[10:11], v[4:5], v[6:7]
	s_delay_alu instid0(VALU_DEP_1) | instskip(NEXT) | instid1(VALU_DEP_1)
	v_fma_f64 v[10:11], -v[6:7], v[6:7], v[2:3]
	v_fma_f64 v[4:5], v[10:11], v[4:5], v[6:7]
	s_delay_alu instid0(VALU_DEP_1) | instskip(NEXT) | instid1(VALU_DEP_1)
	v_ldexp_f64 v[5:6], v[4:5], s1
	v_dual_mov_b32 v4, 0 :: v_dual_cndmask_b32 v3, v6, v3
	s_delay_alu instid0(VALU_DEP_1)
	v_dual_cndmask_b32 v2, v5, v2 :: v_dual_mov_b32 v5, v4
	ds_store_b128 v4, v[2:5] offset:2784
.LBB66_115:
	s_or_b32 exec_lo, exec_lo, s3
	v_mov_b32_e32 v2, 0
	s_waitcnt lgkmcnt(0)
	buffer_gl0_inv
	ds_load_b128 v[2:5], v2 offset:2784
	s_waitcnt lgkmcnt(0)
	v_cmp_neq_f64_e32 vcc_lo, 0, v[2:3]
	v_cmp_neq_f64_e64 s1, 0, v[4:5]
	s_delay_alu instid0(VALU_DEP_1) | instskip(SKIP_4) | instid1(SALU_CYCLE_1)
	s_or_b32 vcc_lo, vcc_lo, s1
	v_cndmask_b32_e32 v3, 0x3ff00000, v3, vcc_lo
	v_dual_cndmask_b32 v2, 0, v2 :: v_dual_cndmask_b32 v5, 0, v5
	v_cndmask_b32_e32 v4, 0, v4, vcc_lo
	s_or_b32 s1, vcc_lo, s0
	s_xor_b32 s3, s1, -1
	s_delay_alu instid0(SALU_CYCLE_1)
	s_and_saveexec_b32 s1, s3
	s_cbranch_execz .LBB66_119
; %bb.116:
	v_mbcnt_lo_u32_b32 v2, exec_lo, 0
	s_mov_b32 s3, exec_lo
	s_delay_alu instid0(VALU_DEP_1)
	v_cmpx_eq_u32_e32 0, v2
	s_cbranch_execz .LBB66_118
; %bb.117:
	v_dual_mov_b32 v2, 0 :: v_dual_mov_b32 v3, s2
	global_atomic_min_i32 v2, v3, s[10:11]
.LBB66_118:
	s_or_b32 exec_lo, exec_lo, s3
	v_mov_b32_e32 v2, 0
	v_dual_mov_b32 v3, 0x3ff00000 :: v_dual_mov_b32 v4, 0
	v_mov_b32_e32 v5, 0
.LBB66_119:
	s_or_b32 exec_lo, exec_lo, s1
	s_delay_alu instid0(SALU_CYCLE_1)
	s_mov_b32 s1, exec_lo
	v_cmpx_lt_u32_e32 3, v13
	s_cbranch_execz .LBB66_121
; %bb.120:
	v_mul_f64 v[6:7], v[4:5], v[4:5]
	s_delay_alu instid0(VALU_DEP_1) | instskip(NEXT) | instid1(VALU_DEP_1)
	v_fma_f64 v[6:7], v[2:3], v[2:3], v[6:7]
	v_div_scale_f64 v[10:11], null, v[6:7], v[6:7], 1.0
	v_div_scale_f64 v[24:25], vcc_lo, 1.0, v[6:7], 1.0
	s_delay_alu instid0(VALU_DEP_2) | instskip(SKIP_2) | instid1(VALU_DEP_1)
	v_rcp_f64_e32 v[16:17], v[10:11]
	s_waitcnt_depctr 0xfff
	v_fma_f64 v[18:19], -v[10:11], v[16:17], 1.0
	v_fma_f64 v[16:17], v[16:17], v[18:19], v[16:17]
	s_delay_alu instid0(VALU_DEP_1) | instskip(NEXT) | instid1(VALU_DEP_1)
	v_fma_f64 v[18:19], -v[10:11], v[16:17], 1.0
	v_fma_f64 v[26:27], v[16:17], v[18:19], v[16:17]
	ds_load_b128 v[16:19], v9 offset:2352
	ds_load_b128 v[20:23], v9 offset:3504
	s_waitcnt lgkmcnt(0)
	v_add_f64 v[18:19], v[18:19], -v[22:23]
	v_add_f64 v[16:17], v[16:17], -v[20:21]
	v_mul_f64 v[28:29], v[24:25], v[26:27]
	s_delay_alu instid0(VALU_DEP_3) | instskip(NEXT) | instid1(VALU_DEP_3)
	v_mul_f64 v[20:21], v[4:5], v[18:19]
	v_mul_f64 v[4:5], v[4:5], -v[16:17]
	s_delay_alu instid0(VALU_DEP_3) | instskip(NEXT) | instid1(VALU_DEP_3)
	v_fma_f64 v[10:11], -v[10:11], v[28:29], v[24:25]
	v_fma_f64 v[16:17], v[16:17], v[2:3], v[20:21]
	s_delay_alu instid0(VALU_DEP_3) | instskip(NEXT) | instid1(VALU_DEP_3)
	v_fma_f64 v[4:5], v[18:19], v[2:3], v[4:5]
	v_div_fmas_f64 v[10:11], v[10:11], v[26:27], v[28:29]
	s_delay_alu instid0(VALU_DEP_1) | instskip(NEXT) | instid1(VALU_DEP_1)
	v_div_fixup_f64 v[6:7], v[10:11], v[6:7], 1.0
	v_mul_f64 v[2:3], v[6:7], v[16:17]
	s_delay_alu instid0(VALU_DEP_4)
	v_mul_f64 v[4:5], v[6:7], v[4:5]
	v_mul_u32_u24_e32 v6, 0x90, v12
	ds_store_b128 v9, v[2:5] offset:2352
	s_waitcnt lgkmcnt(0)
	s_waitcnt_vscnt null, 0x0
	buffer_gl0_inv
	ds_load_b128 v[16:19], v6 offset:2352
	ds_load_b128 v[20:23], v15
	s_waitcnt lgkmcnt(0)
	v_fma_f64 v[6:7], v[2:3], v[16:17], v[20:21]
	v_fma_f64 v[10:11], v[4:5], v[16:17], v[22:23]
	s_delay_alu instid0(VALU_DEP_2) | instskip(NEXT) | instid1(VALU_DEP_2)
	v_fma_f64 v[4:5], v[4:5], v[18:19], v[6:7]
	v_fma_f64 v[6:7], v[2:3], -v[18:19], v[10:11]
	ds_store_b128 v15, v[4:7]
.LBB66_121:
	s_or_b32 exec_lo, exec_lo, s1
	s_delay_alu instid0(SALU_CYCLE_1)
	s_mov_b32 s3, exec_lo
	s_waitcnt lgkmcnt(0)
	s_waitcnt_vscnt null, 0x0
	buffer_gl0_inv
	v_cmpx_eq_u32_e32 4, v13
	s_cbranch_execz .LBB66_129
; %bb.122:
	v_mov_b32_e32 v6, 0
	ds_load_b128 v[2:5], v6 offset:4096
	ds_load_b128 v[16:19], v6 offset:2944
	s_waitcnt lgkmcnt(0)
	v_add_f64 v[2:3], v[16:17], -v[2:3]
	v_add_f64 v[6:7], v[18:19], -v[4:5]
	s_delay_alu instid0(VALU_DEP_2) | instskip(NEXT) | instid1(VALU_DEP_2)
	v_cmp_gt_f64_e32 vcc_lo, 0, v[2:3]
	v_cmp_gt_f64_e64 s1, 0, v[6:7]
	v_xor_b32_e32 v4, 0x80000000, v3
	v_xor_b32_e32 v5, 0x80000000, v7
	s_delay_alu instid0(VALU_DEP_2) | instskip(NEXT) | instid1(VALU_DEP_2)
	v_cndmask_b32_e32 v3, v3, v4, vcc_lo
	v_cndmask_b32_e64 v5, v7, v5, s1
	v_cndmask_b32_e32 v2, v2, v2, vcc_lo
	v_cndmask_b32_e64 v4, v6, v6, s1
	s_delay_alu instid0(VALU_DEP_1)
	v_cmp_gt_f64_e32 vcc_lo, v[2:3], v[4:5]
	s_cbranch_vccnz .LBB66_126
; %bb.123:
	v_cmp_eq_f64_e32 vcc_lo, 0, v[6:7]
	v_mov_b32_e32 v6, 0
	v_mov_b32_e32 v7, 0
	s_cbranch_vccnz .LBB66_125
; %bb.124:
	v_div_scale_f64 v[6:7], null, v[4:5], v[4:5], v[2:3]
	v_div_scale_f64 v[18:19], vcc_lo, v[2:3], v[4:5], v[2:3]
	s_delay_alu instid0(VALU_DEP_2) | instskip(SKIP_2) | instid1(VALU_DEP_1)
	v_rcp_f64_e32 v[10:11], v[6:7]
	s_waitcnt_depctr 0xfff
	v_fma_f64 v[16:17], -v[6:7], v[10:11], 1.0
	v_fma_f64 v[10:11], v[10:11], v[16:17], v[10:11]
	s_delay_alu instid0(VALU_DEP_1) | instskip(NEXT) | instid1(VALU_DEP_1)
	v_fma_f64 v[16:17], -v[6:7], v[10:11], 1.0
	v_fma_f64 v[10:11], v[10:11], v[16:17], v[10:11]
	s_delay_alu instid0(VALU_DEP_1) | instskip(NEXT) | instid1(VALU_DEP_1)
	v_mul_f64 v[16:17], v[18:19], v[10:11]
	v_fma_f64 v[6:7], -v[6:7], v[16:17], v[18:19]
	s_delay_alu instid0(VALU_DEP_1) | instskip(NEXT) | instid1(VALU_DEP_1)
	v_div_fmas_f64 v[6:7], v[6:7], v[10:11], v[16:17]
	v_div_fixup_f64 v[6:7], v[6:7], v[4:5], v[2:3]
	s_delay_alu instid0(VALU_DEP_1) | instskip(NEXT) | instid1(VALU_DEP_1)
	v_fma_f64 v[6:7], v[6:7], v[6:7], 1.0
	v_cmp_gt_f64_e32 vcc_lo, 0x10000000, v[6:7]
	v_cndmask_b32_e64 v10, 0, 1, vcc_lo
	s_and_b32 s1, vcc_lo, exec_lo
	s_cselect_b32 s1, 0xffffff80, 0
	s_delay_alu instid0(VALU_DEP_1) | instskip(NEXT) | instid1(VALU_DEP_1)
	v_lshlrev_b32_e32 v10, 8, v10
	v_ldexp_f64 v[6:7], v[6:7], v10
	s_delay_alu instid0(VALU_DEP_1) | instskip(SKIP_4) | instid1(VALU_DEP_1)
	v_rsq_f64_e32 v[10:11], v[6:7]
	v_cmp_class_f64_e64 vcc_lo, v[6:7], 0x260
	s_waitcnt_depctr 0xfff
	v_mul_f64 v[16:17], v[6:7], v[10:11]
	v_mul_f64 v[10:11], v[10:11], 0.5
	v_fma_f64 v[18:19], -v[10:11], v[16:17], 0.5
	s_delay_alu instid0(VALU_DEP_1) | instskip(SKIP_1) | instid1(VALU_DEP_2)
	v_fma_f64 v[16:17], v[16:17], v[18:19], v[16:17]
	v_fma_f64 v[10:11], v[10:11], v[18:19], v[10:11]
	v_fma_f64 v[18:19], -v[16:17], v[16:17], v[6:7]
	s_delay_alu instid0(VALU_DEP_1) | instskip(NEXT) | instid1(VALU_DEP_1)
	v_fma_f64 v[16:17], v[18:19], v[10:11], v[16:17]
	v_fma_f64 v[18:19], -v[16:17], v[16:17], v[6:7]
	s_delay_alu instid0(VALU_DEP_1) | instskip(NEXT) | instid1(VALU_DEP_1)
	v_fma_f64 v[10:11], v[18:19], v[10:11], v[16:17]
	v_ldexp_f64 v[10:11], v[10:11], s1
	s_delay_alu instid0(VALU_DEP_1) | instskip(NEXT) | instid1(VALU_DEP_1)
	v_dual_cndmask_b32 v7, v11, v7 :: v_dual_cndmask_b32 v6, v10, v6
	v_mul_f64 v[6:7], v[4:5], v[6:7]
.LBB66_125:
	s_cbranch_execz .LBB66_127
	s_branch .LBB66_128
.LBB66_126:
                                        ; implicit-def: $vgpr6_vgpr7
.LBB66_127:
	v_div_scale_f64 v[6:7], null, v[2:3], v[2:3], v[4:5]
	v_div_scale_f64 v[18:19], vcc_lo, v[4:5], v[2:3], v[4:5]
	s_delay_alu instid0(VALU_DEP_2) | instskip(SKIP_2) | instid1(VALU_DEP_1)
	v_rcp_f64_e32 v[10:11], v[6:7]
	s_waitcnt_depctr 0xfff
	v_fma_f64 v[16:17], -v[6:7], v[10:11], 1.0
	v_fma_f64 v[10:11], v[10:11], v[16:17], v[10:11]
	s_delay_alu instid0(VALU_DEP_1) | instskip(NEXT) | instid1(VALU_DEP_1)
	v_fma_f64 v[16:17], -v[6:7], v[10:11], 1.0
	v_fma_f64 v[10:11], v[10:11], v[16:17], v[10:11]
	s_delay_alu instid0(VALU_DEP_1) | instskip(NEXT) | instid1(VALU_DEP_1)
	v_mul_f64 v[16:17], v[18:19], v[10:11]
	v_fma_f64 v[6:7], -v[6:7], v[16:17], v[18:19]
	s_delay_alu instid0(VALU_DEP_1) | instskip(NEXT) | instid1(VALU_DEP_1)
	v_div_fmas_f64 v[6:7], v[6:7], v[10:11], v[16:17]
	v_div_fixup_f64 v[4:5], v[6:7], v[2:3], v[4:5]
	s_delay_alu instid0(VALU_DEP_1) | instskip(NEXT) | instid1(VALU_DEP_1)
	v_fma_f64 v[4:5], v[4:5], v[4:5], 1.0
	v_cmp_gt_f64_e32 vcc_lo, 0x10000000, v[4:5]
	v_cndmask_b32_e64 v6, 0, 1, vcc_lo
	s_and_b32 s1, vcc_lo, exec_lo
	s_cselect_b32 s1, 0xffffff80, 0
	s_delay_alu instid0(VALU_DEP_1) | instskip(NEXT) | instid1(VALU_DEP_1)
	v_lshlrev_b32_e32 v6, 8, v6
	v_ldexp_f64 v[4:5], v[4:5], v6
	s_delay_alu instid0(VALU_DEP_1) | instskip(SKIP_4) | instid1(VALU_DEP_1)
	v_rsq_f64_e32 v[6:7], v[4:5]
	v_cmp_class_f64_e64 vcc_lo, v[4:5], 0x260
	s_waitcnt_depctr 0xfff
	v_mul_f64 v[10:11], v[4:5], v[6:7]
	v_mul_f64 v[6:7], v[6:7], 0.5
	v_fma_f64 v[16:17], -v[6:7], v[10:11], 0.5
	s_delay_alu instid0(VALU_DEP_1) | instskip(SKIP_1) | instid1(VALU_DEP_2)
	v_fma_f64 v[10:11], v[10:11], v[16:17], v[10:11]
	v_fma_f64 v[6:7], v[6:7], v[16:17], v[6:7]
	v_fma_f64 v[16:17], -v[10:11], v[10:11], v[4:5]
	s_delay_alu instid0(VALU_DEP_1) | instskip(NEXT) | instid1(VALU_DEP_1)
	v_fma_f64 v[10:11], v[16:17], v[6:7], v[10:11]
	v_fma_f64 v[16:17], -v[10:11], v[10:11], v[4:5]
	s_delay_alu instid0(VALU_DEP_1) | instskip(NEXT) | instid1(VALU_DEP_1)
	v_fma_f64 v[6:7], v[16:17], v[6:7], v[10:11]
	v_ldexp_f64 v[6:7], v[6:7], s1
	s_delay_alu instid0(VALU_DEP_1) | instskip(NEXT) | instid1(VALU_DEP_1)
	v_dual_cndmask_b32 v5, v7, v5 :: v_dual_cndmask_b32 v4, v6, v4
	v_mul_f64 v[6:7], v[2:3], v[4:5]
.LBB66_128:
	s_delay_alu instid0(VALU_DEP_1) | instskip(SKIP_3) | instid1(VALU_DEP_1)
	v_cmp_gt_f64_e32 vcc_lo, 0x10000000, v[6:7]
	v_cndmask_b32_e64 v2, 0, 1, vcc_lo
	s_and_b32 s1, vcc_lo, exec_lo
	s_cselect_b32 s1, 0xffffff80, 0
	v_lshlrev_b32_e32 v2, 8, v2
	s_delay_alu instid0(VALU_DEP_1) | instskip(NEXT) | instid1(VALU_DEP_1)
	v_ldexp_f64 v[2:3], v[6:7], v2
	v_rsq_f64_e32 v[4:5], v[2:3]
	v_cmp_class_f64_e64 vcc_lo, v[2:3], 0x260
	s_waitcnt_depctr 0xfff
	v_mul_f64 v[6:7], v[2:3], v[4:5]
	v_mul_f64 v[4:5], v[4:5], 0.5
	s_delay_alu instid0(VALU_DEP_1) | instskip(NEXT) | instid1(VALU_DEP_1)
	v_fma_f64 v[10:11], -v[4:5], v[6:7], 0.5
	v_fma_f64 v[6:7], v[6:7], v[10:11], v[6:7]
	v_fma_f64 v[4:5], v[4:5], v[10:11], v[4:5]
	s_delay_alu instid0(VALU_DEP_2) | instskip(NEXT) | instid1(VALU_DEP_1)
	v_fma_f64 v[10:11], -v[6:7], v[6:7], v[2:3]
	v_fma_f64 v[6:7], v[10:11], v[4:5], v[6:7]
	s_delay_alu instid0(VALU_DEP_1) | instskip(NEXT) | instid1(VALU_DEP_1)
	v_fma_f64 v[10:11], -v[6:7], v[6:7], v[2:3]
	v_fma_f64 v[4:5], v[10:11], v[4:5], v[6:7]
	s_delay_alu instid0(VALU_DEP_1) | instskip(NEXT) | instid1(VALU_DEP_1)
	v_ldexp_f64 v[5:6], v[4:5], s1
	v_dual_mov_b32 v4, 0 :: v_dual_cndmask_b32 v3, v6, v3
	s_delay_alu instid0(VALU_DEP_1)
	v_dual_cndmask_b32 v2, v5, v2 :: v_dual_mov_b32 v5, v4
	ds_store_b128 v4, v[2:5] offset:2944
.LBB66_129:
	s_or_b32 exec_lo, exec_lo, s3
	v_mov_b32_e32 v2, 0
	s_waitcnt lgkmcnt(0)
	buffer_gl0_inv
	ds_load_b128 v[2:5], v2 offset:2944
	s_waitcnt lgkmcnt(0)
	v_cmp_neq_f64_e32 vcc_lo, 0, v[2:3]
	v_cmp_neq_f64_e64 s1, 0, v[4:5]
	s_delay_alu instid0(VALU_DEP_1) | instskip(SKIP_4) | instid1(SALU_CYCLE_1)
	s_or_b32 vcc_lo, vcc_lo, s1
	v_cndmask_b32_e32 v3, 0x3ff00000, v3, vcc_lo
	v_dual_cndmask_b32 v2, 0, v2 :: v_dual_cndmask_b32 v5, 0, v5
	v_cndmask_b32_e32 v4, 0, v4, vcc_lo
	s_or_b32 s1, vcc_lo, s0
	s_xor_b32 s3, s1, -1
	s_delay_alu instid0(SALU_CYCLE_1)
	s_and_saveexec_b32 s1, s3
	s_cbranch_execz .LBB66_133
; %bb.130:
	v_mbcnt_lo_u32_b32 v2, exec_lo, 0
	s_mov_b32 s3, exec_lo
	s_delay_alu instid0(VALU_DEP_1)
	v_cmpx_eq_u32_e32 0, v2
	s_cbranch_execz .LBB66_132
; %bb.131:
	v_dual_mov_b32 v2, 0 :: v_dual_mov_b32 v3, s2
	global_atomic_min_i32 v2, v3, s[10:11]
.LBB66_132:
	s_or_b32 exec_lo, exec_lo, s3
	v_mov_b32_e32 v2, 0
	v_dual_mov_b32 v3, 0x3ff00000 :: v_dual_mov_b32 v4, 0
	v_mov_b32_e32 v5, 0
.LBB66_133:
	s_or_b32 exec_lo, exec_lo, s1
	s_delay_alu instid0(SALU_CYCLE_1)
	s_mov_b32 s1, exec_lo
	v_cmpx_lt_u32_e32 4, v13
	s_cbranch_execz .LBB66_135
; %bb.134:
	v_mul_f64 v[6:7], v[4:5], v[4:5]
	s_delay_alu instid0(VALU_DEP_1) | instskip(NEXT) | instid1(VALU_DEP_1)
	v_fma_f64 v[6:7], v[2:3], v[2:3], v[6:7]
	v_div_scale_f64 v[10:11], null, v[6:7], v[6:7], 1.0
	v_div_scale_f64 v[24:25], vcc_lo, 1.0, v[6:7], 1.0
	s_delay_alu instid0(VALU_DEP_2) | instskip(SKIP_2) | instid1(VALU_DEP_1)
	v_rcp_f64_e32 v[16:17], v[10:11]
	s_waitcnt_depctr 0xfff
	v_fma_f64 v[18:19], -v[10:11], v[16:17], 1.0
	v_fma_f64 v[16:17], v[16:17], v[18:19], v[16:17]
	s_delay_alu instid0(VALU_DEP_1) | instskip(NEXT) | instid1(VALU_DEP_1)
	v_fma_f64 v[18:19], -v[10:11], v[16:17], 1.0
	v_fma_f64 v[26:27], v[16:17], v[18:19], v[16:17]
	ds_load_b128 v[16:19], v9 offset:2368
	ds_load_b128 v[20:23], v9 offset:3520
	s_waitcnt lgkmcnt(0)
	v_add_f64 v[18:19], v[18:19], -v[22:23]
	v_add_f64 v[16:17], v[16:17], -v[20:21]
	v_mul_f64 v[28:29], v[24:25], v[26:27]
	s_delay_alu instid0(VALU_DEP_3) | instskip(NEXT) | instid1(VALU_DEP_3)
	v_mul_f64 v[20:21], v[4:5], v[18:19]
	v_mul_f64 v[4:5], v[4:5], -v[16:17]
	s_delay_alu instid0(VALU_DEP_3) | instskip(NEXT) | instid1(VALU_DEP_3)
	v_fma_f64 v[10:11], -v[10:11], v[28:29], v[24:25]
	v_fma_f64 v[16:17], v[16:17], v[2:3], v[20:21]
	s_delay_alu instid0(VALU_DEP_3) | instskip(NEXT) | instid1(VALU_DEP_3)
	v_fma_f64 v[4:5], v[18:19], v[2:3], v[4:5]
	v_div_fmas_f64 v[10:11], v[10:11], v[26:27], v[28:29]
	s_delay_alu instid0(VALU_DEP_1) | instskip(NEXT) | instid1(VALU_DEP_1)
	v_div_fixup_f64 v[6:7], v[10:11], v[6:7], 1.0
	v_mul_f64 v[2:3], v[6:7], v[16:17]
	s_delay_alu instid0(VALU_DEP_4)
	v_mul_f64 v[4:5], v[6:7], v[4:5]
	v_mul_u32_u24_e32 v6, 0x90, v12
	ds_store_b128 v9, v[2:5] offset:2368
	s_waitcnt lgkmcnt(0)
	s_waitcnt_vscnt null, 0x0
	buffer_gl0_inv
	ds_load_b128 v[16:19], v6 offset:2368
	ds_load_b128 v[20:23], v15
	s_waitcnt lgkmcnt(0)
	v_fma_f64 v[6:7], v[2:3], v[16:17], v[20:21]
	v_fma_f64 v[10:11], v[4:5], v[16:17], v[22:23]
	s_delay_alu instid0(VALU_DEP_2) | instskip(NEXT) | instid1(VALU_DEP_2)
	v_fma_f64 v[4:5], v[4:5], v[18:19], v[6:7]
	v_fma_f64 v[6:7], v[2:3], -v[18:19], v[10:11]
	ds_store_b128 v15, v[4:7]
.LBB66_135:
	s_or_b32 exec_lo, exec_lo, s1
	s_delay_alu instid0(SALU_CYCLE_1)
	s_mov_b32 s3, exec_lo
	s_waitcnt lgkmcnt(0)
	s_waitcnt_vscnt null, 0x0
	buffer_gl0_inv
	v_cmpx_eq_u32_e32 5, v13
	s_cbranch_execz .LBB66_143
; %bb.136:
	v_mov_b32_e32 v6, 0
	ds_load_b128 v[2:5], v6 offset:4256
	ds_load_b128 v[16:19], v6 offset:3104
	s_waitcnt lgkmcnt(0)
	v_add_f64 v[2:3], v[16:17], -v[2:3]
	v_add_f64 v[6:7], v[18:19], -v[4:5]
	s_delay_alu instid0(VALU_DEP_2) | instskip(NEXT) | instid1(VALU_DEP_2)
	v_cmp_gt_f64_e32 vcc_lo, 0, v[2:3]
	v_cmp_gt_f64_e64 s1, 0, v[6:7]
	v_xor_b32_e32 v4, 0x80000000, v3
	v_xor_b32_e32 v5, 0x80000000, v7
	s_delay_alu instid0(VALU_DEP_2) | instskip(NEXT) | instid1(VALU_DEP_2)
	v_cndmask_b32_e32 v3, v3, v4, vcc_lo
	v_cndmask_b32_e64 v5, v7, v5, s1
	v_cndmask_b32_e32 v2, v2, v2, vcc_lo
	v_cndmask_b32_e64 v4, v6, v6, s1
	s_delay_alu instid0(VALU_DEP_1)
	v_cmp_gt_f64_e32 vcc_lo, v[2:3], v[4:5]
	s_cbranch_vccnz .LBB66_140
; %bb.137:
	v_cmp_eq_f64_e32 vcc_lo, 0, v[6:7]
	v_mov_b32_e32 v6, 0
	v_mov_b32_e32 v7, 0
	s_cbranch_vccnz .LBB66_139
; %bb.138:
	v_div_scale_f64 v[6:7], null, v[4:5], v[4:5], v[2:3]
	v_div_scale_f64 v[18:19], vcc_lo, v[2:3], v[4:5], v[2:3]
	s_delay_alu instid0(VALU_DEP_2) | instskip(SKIP_2) | instid1(VALU_DEP_1)
	v_rcp_f64_e32 v[10:11], v[6:7]
	s_waitcnt_depctr 0xfff
	v_fma_f64 v[16:17], -v[6:7], v[10:11], 1.0
	v_fma_f64 v[10:11], v[10:11], v[16:17], v[10:11]
	s_delay_alu instid0(VALU_DEP_1) | instskip(NEXT) | instid1(VALU_DEP_1)
	v_fma_f64 v[16:17], -v[6:7], v[10:11], 1.0
	v_fma_f64 v[10:11], v[10:11], v[16:17], v[10:11]
	s_delay_alu instid0(VALU_DEP_1) | instskip(NEXT) | instid1(VALU_DEP_1)
	v_mul_f64 v[16:17], v[18:19], v[10:11]
	v_fma_f64 v[6:7], -v[6:7], v[16:17], v[18:19]
	s_delay_alu instid0(VALU_DEP_1) | instskip(NEXT) | instid1(VALU_DEP_1)
	v_div_fmas_f64 v[6:7], v[6:7], v[10:11], v[16:17]
	v_div_fixup_f64 v[6:7], v[6:7], v[4:5], v[2:3]
	s_delay_alu instid0(VALU_DEP_1) | instskip(NEXT) | instid1(VALU_DEP_1)
	v_fma_f64 v[6:7], v[6:7], v[6:7], 1.0
	v_cmp_gt_f64_e32 vcc_lo, 0x10000000, v[6:7]
	v_cndmask_b32_e64 v10, 0, 1, vcc_lo
	s_and_b32 s1, vcc_lo, exec_lo
	s_cselect_b32 s1, 0xffffff80, 0
	s_delay_alu instid0(VALU_DEP_1) | instskip(NEXT) | instid1(VALU_DEP_1)
	v_lshlrev_b32_e32 v10, 8, v10
	v_ldexp_f64 v[6:7], v[6:7], v10
	s_delay_alu instid0(VALU_DEP_1) | instskip(SKIP_4) | instid1(VALU_DEP_1)
	v_rsq_f64_e32 v[10:11], v[6:7]
	v_cmp_class_f64_e64 vcc_lo, v[6:7], 0x260
	s_waitcnt_depctr 0xfff
	v_mul_f64 v[16:17], v[6:7], v[10:11]
	v_mul_f64 v[10:11], v[10:11], 0.5
	v_fma_f64 v[18:19], -v[10:11], v[16:17], 0.5
	s_delay_alu instid0(VALU_DEP_1) | instskip(SKIP_1) | instid1(VALU_DEP_2)
	v_fma_f64 v[16:17], v[16:17], v[18:19], v[16:17]
	v_fma_f64 v[10:11], v[10:11], v[18:19], v[10:11]
	v_fma_f64 v[18:19], -v[16:17], v[16:17], v[6:7]
	s_delay_alu instid0(VALU_DEP_1) | instskip(NEXT) | instid1(VALU_DEP_1)
	v_fma_f64 v[16:17], v[18:19], v[10:11], v[16:17]
	v_fma_f64 v[18:19], -v[16:17], v[16:17], v[6:7]
	s_delay_alu instid0(VALU_DEP_1) | instskip(NEXT) | instid1(VALU_DEP_1)
	v_fma_f64 v[10:11], v[18:19], v[10:11], v[16:17]
	v_ldexp_f64 v[10:11], v[10:11], s1
	s_delay_alu instid0(VALU_DEP_1) | instskip(NEXT) | instid1(VALU_DEP_1)
	v_dual_cndmask_b32 v7, v11, v7 :: v_dual_cndmask_b32 v6, v10, v6
	v_mul_f64 v[6:7], v[4:5], v[6:7]
.LBB66_139:
	s_cbranch_execz .LBB66_141
	s_branch .LBB66_142
.LBB66_140:
                                        ; implicit-def: $vgpr6_vgpr7
.LBB66_141:
	v_div_scale_f64 v[6:7], null, v[2:3], v[2:3], v[4:5]
	v_div_scale_f64 v[18:19], vcc_lo, v[4:5], v[2:3], v[4:5]
	s_delay_alu instid0(VALU_DEP_2) | instskip(SKIP_2) | instid1(VALU_DEP_1)
	v_rcp_f64_e32 v[10:11], v[6:7]
	s_waitcnt_depctr 0xfff
	v_fma_f64 v[16:17], -v[6:7], v[10:11], 1.0
	v_fma_f64 v[10:11], v[10:11], v[16:17], v[10:11]
	s_delay_alu instid0(VALU_DEP_1) | instskip(NEXT) | instid1(VALU_DEP_1)
	v_fma_f64 v[16:17], -v[6:7], v[10:11], 1.0
	v_fma_f64 v[10:11], v[10:11], v[16:17], v[10:11]
	s_delay_alu instid0(VALU_DEP_1) | instskip(NEXT) | instid1(VALU_DEP_1)
	v_mul_f64 v[16:17], v[18:19], v[10:11]
	v_fma_f64 v[6:7], -v[6:7], v[16:17], v[18:19]
	s_delay_alu instid0(VALU_DEP_1) | instskip(NEXT) | instid1(VALU_DEP_1)
	v_div_fmas_f64 v[6:7], v[6:7], v[10:11], v[16:17]
	v_div_fixup_f64 v[4:5], v[6:7], v[2:3], v[4:5]
	s_delay_alu instid0(VALU_DEP_1) | instskip(NEXT) | instid1(VALU_DEP_1)
	v_fma_f64 v[4:5], v[4:5], v[4:5], 1.0
	v_cmp_gt_f64_e32 vcc_lo, 0x10000000, v[4:5]
	v_cndmask_b32_e64 v6, 0, 1, vcc_lo
	s_and_b32 s1, vcc_lo, exec_lo
	s_cselect_b32 s1, 0xffffff80, 0
	s_delay_alu instid0(VALU_DEP_1) | instskip(NEXT) | instid1(VALU_DEP_1)
	v_lshlrev_b32_e32 v6, 8, v6
	v_ldexp_f64 v[4:5], v[4:5], v6
	s_delay_alu instid0(VALU_DEP_1) | instskip(SKIP_4) | instid1(VALU_DEP_1)
	v_rsq_f64_e32 v[6:7], v[4:5]
	v_cmp_class_f64_e64 vcc_lo, v[4:5], 0x260
	s_waitcnt_depctr 0xfff
	v_mul_f64 v[10:11], v[4:5], v[6:7]
	v_mul_f64 v[6:7], v[6:7], 0.5
	v_fma_f64 v[16:17], -v[6:7], v[10:11], 0.5
	s_delay_alu instid0(VALU_DEP_1) | instskip(SKIP_1) | instid1(VALU_DEP_2)
	v_fma_f64 v[10:11], v[10:11], v[16:17], v[10:11]
	v_fma_f64 v[6:7], v[6:7], v[16:17], v[6:7]
	v_fma_f64 v[16:17], -v[10:11], v[10:11], v[4:5]
	s_delay_alu instid0(VALU_DEP_1) | instskip(NEXT) | instid1(VALU_DEP_1)
	v_fma_f64 v[10:11], v[16:17], v[6:7], v[10:11]
	v_fma_f64 v[16:17], -v[10:11], v[10:11], v[4:5]
	s_delay_alu instid0(VALU_DEP_1) | instskip(NEXT) | instid1(VALU_DEP_1)
	v_fma_f64 v[6:7], v[16:17], v[6:7], v[10:11]
	v_ldexp_f64 v[6:7], v[6:7], s1
	s_delay_alu instid0(VALU_DEP_1) | instskip(NEXT) | instid1(VALU_DEP_1)
	v_dual_cndmask_b32 v5, v7, v5 :: v_dual_cndmask_b32 v4, v6, v4
	v_mul_f64 v[6:7], v[2:3], v[4:5]
.LBB66_142:
	s_delay_alu instid0(VALU_DEP_1) | instskip(SKIP_3) | instid1(VALU_DEP_1)
	v_cmp_gt_f64_e32 vcc_lo, 0x10000000, v[6:7]
	v_cndmask_b32_e64 v2, 0, 1, vcc_lo
	s_and_b32 s1, vcc_lo, exec_lo
	s_cselect_b32 s1, 0xffffff80, 0
	v_lshlrev_b32_e32 v2, 8, v2
	s_delay_alu instid0(VALU_DEP_1) | instskip(NEXT) | instid1(VALU_DEP_1)
	v_ldexp_f64 v[2:3], v[6:7], v2
	v_rsq_f64_e32 v[4:5], v[2:3]
	v_cmp_class_f64_e64 vcc_lo, v[2:3], 0x260
	s_waitcnt_depctr 0xfff
	v_mul_f64 v[6:7], v[2:3], v[4:5]
	v_mul_f64 v[4:5], v[4:5], 0.5
	s_delay_alu instid0(VALU_DEP_1) | instskip(NEXT) | instid1(VALU_DEP_1)
	v_fma_f64 v[10:11], -v[4:5], v[6:7], 0.5
	v_fma_f64 v[6:7], v[6:7], v[10:11], v[6:7]
	v_fma_f64 v[4:5], v[4:5], v[10:11], v[4:5]
	s_delay_alu instid0(VALU_DEP_2) | instskip(NEXT) | instid1(VALU_DEP_1)
	v_fma_f64 v[10:11], -v[6:7], v[6:7], v[2:3]
	v_fma_f64 v[6:7], v[10:11], v[4:5], v[6:7]
	s_delay_alu instid0(VALU_DEP_1) | instskip(NEXT) | instid1(VALU_DEP_1)
	v_fma_f64 v[10:11], -v[6:7], v[6:7], v[2:3]
	v_fma_f64 v[4:5], v[10:11], v[4:5], v[6:7]
	s_delay_alu instid0(VALU_DEP_1) | instskip(NEXT) | instid1(VALU_DEP_1)
	v_ldexp_f64 v[5:6], v[4:5], s1
	v_dual_mov_b32 v4, 0 :: v_dual_cndmask_b32 v3, v6, v3
	s_delay_alu instid0(VALU_DEP_1)
	v_dual_cndmask_b32 v2, v5, v2 :: v_dual_mov_b32 v5, v4
	ds_store_b128 v4, v[2:5] offset:3104
.LBB66_143:
	s_or_b32 exec_lo, exec_lo, s3
	v_mov_b32_e32 v2, 0
	s_waitcnt lgkmcnt(0)
	buffer_gl0_inv
	ds_load_b128 v[2:5], v2 offset:3104
	s_waitcnt lgkmcnt(0)
	v_cmp_neq_f64_e32 vcc_lo, 0, v[2:3]
	v_cmp_neq_f64_e64 s1, 0, v[4:5]
	s_delay_alu instid0(VALU_DEP_1) | instskip(SKIP_4) | instid1(SALU_CYCLE_1)
	s_or_b32 vcc_lo, vcc_lo, s1
	v_cndmask_b32_e32 v3, 0x3ff00000, v3, vcc_lo
	v_dual_cndmask_b32 v2, 0, v2 :: v_dual_cndmask_b32 v5, 0, v5
	v_cndmask_b32_e32 v4, 0, v4, vcc_lo
	s_or_b32 s1, vcc_lo, s0
	s_xor_b32 s3, s1, -1
	s_delay_alu instid0(SALU_CYCLE_1)
	s_and_saveexec_b32 s1, s3
	s_cbranch_execz .LBB66_147
; %bb.144:
	v_mbcnt_lo_u32_b32 v2, exec_lo, 0
	s_mov_b32 s3, exec_lo
	s_delay_alu instid0(VALU_DEP_1)
	v_cmpx_eq_u32_e32 0, v2
	s_cbranch_execz .LBB66_146
; %bb.145:
	v_dual_mov_b32 v2, 0 :: v_dual_mov_b32 v3, s2
	global_atomic_min_i32 v2, v3, s[10:11]
.LBB66_146:
	s_or_b32 exec_lo, exec_lo, s3
	v_mov_b32_e32 v2, 0
	v_dual_mov_b32 v3, 0x3ff00000 :: v_dual_mov_b32 v4, 0
	v_mov_b32_e32 v5, 0
.LBB66_147:
	s_or_b32 exec_lo, exec_lo, s1
	s_delay_alu instid0(SALU_CYCLE_1)
	s_mov_b32 s1, exec_lo
	v_cmpx_lt_u32_e32 5, v13
	s_cbranch_execz .LBB66_149
; %bb.148:
	v_mul_f64 v[6:7], v[4:5], v[4:5]
	s_delay_alu instid0(VALU_DEP_1) | instskip(NEXT) | instid1(VALU_DEP_1)
	v_fma_f64 v[6:7], v[2:3], v[2:3], v[6:7]
	v_div_scale_f64 v[10:11], null, v[6:7], v[6:7], 1.0
	v_div_scale_f64 v[24:25], vcc_lo, 1.0, v[6:7], 1.0
	s_delay_alu instid0(VALU_DEP_2) | instskip(SKIP_2) | instid1(VALU_DEP_1)
	v_rcp_f64_e32 v[16:17], v[10:11]
	s_waitcnt_depctr 0xfff
	v_fma_f64 v[18:19], -v[10:11], v[16:17], 1.0
	v_fma_f64 v[16:17], v[16:17], v[18:19], v[16:17]
	s_delay_alu instid0(VALU_DEP_1) | instskip(NEXT) | instid1(VALU_DEP_1)
	v_fma_f64 v[18:19], -v[10:11], v[16:17], 1.0
	v_fma_f64 v[26:27], v[16:17], v[18:19], v[16:17]
	ds_load_b128 v[16:19], v9 offset:2384
	ds_load_b128 v[20:23], v9 offset:3536
	s_waitcnt lgkmcnt(0)
	v_add_f64 v[18:19], v[18:19], -v[22:23]
	v_add_f64 v[16:17], v[16:17], -v[20:21]
	v_mul_f64 v[28:29], v[24:25], v[26:27]
	s_delay_alu instid0(VALU_DEP_3) | instskip(NEXT) | instid1(VALU_DEP_3)
	v_mul_f64 v[20:21], v[4:5], v[18:19]
	v_mul_f64 v[4:5], v[4:5], -v[16:17]
	s_delay_alu instid0(VALU_DEP_3) | instskip(NEXT) | instid1(VALU_DEP_3)
	v_fma_f64 v[10:11], -v[10:11], v[28:29], v[24:25]
	v_fma_f64 v[16:17], v[16:17], v[2:3], v[20:21]
	s_delay_alu instid0(VALU_DEP_3) | instskip(NEXT) | instid1(VALU_DEP_3)
	v_fma_f64 v[4:5], v[18:19], v[2:3], v[4:5]
	v_div_fmas_f64 v[10:11], v[10:11], v[26:27], v[28:29]
	s_delay_alu instid0(VALU_DEP_1) | instskip(NEXT) | instid1(VALU_DEP_1)
	v_div_fixup_f64 v[6:7], v[10:11], v[6:7], 1.0
	v_mul_f64 v[2:3], v[6:7], v[16:17]
	s_delay_alu instid0(VALU_DEP_4)
	v_mul_f64 v[4:5], v[6:7], v[4:5]
	v_mul_u32_u24_e32 v6, 0x90, v12
	ds_store_b128 v9, v[2:5] offset:2384
	s_waitcnt lgkmcnt(0)
	s_waitcnt_vscnt null, 0x0
	buffer_gl0_inv
	ds_load_b128 v[16:19], v6 offset:2384
	ds_load_b128 v[20:23], v15
	s_waitcnt lgkmcnt(0)
	v_fma_f64 v[6:7], v[2:3], v[16:17], v[20:21]
	v_fma_f64 v[10:11], v[4:5], v[16:17], v[22:23]
	s_delay_alu instid0(VALU_DEP_2) | instskip(NEXT) | instid1(VALU_DEP_2)
	v_fma_f64 v[4:5], v[4:5], v[18:19], v[6:7]
	v_fma_f64 v[6:7], v[2:3], -v[18:19], v[10:11]
	ds_store_b128 v15, v[4:7]
.LBB66_149:
	s_or_b32 exec_lo, exec_lo, s1
	s_delay_alu instid0(SALU_CYCLE_1)
	s_mov_b32 s3, exec_lo
	s_waitcnt lgkmcnt(0)
	s_waitcnt_vscnt null, 0x0
	buffer_gl0_inv
	v_cmpx_eq_u32_e32 6, v13
	s_cbranch_execz .LBB66_157
; %bb.150:
	v_mov_b32_e32 v6, 0
	ds_load_b128 v[2:5], v6 offset:4416
	ds_load_b128 v[16:19], v6 offset:3264
	s_waitcnt lgkmcnt(0)
	v_add_f64 v[2:3], v[16:17], -v[2:3]
	v_add_f64 v[6:7], v[18:19], -v[4:5]
	s_delay_alu instid0(VALU_DEP_2) | instskip(NEXT) | instid1(VALU_DEP_2)
	v_cmp_gt_f64_e32 vcc_lo, 0, v[2:3]
	v_cmp_gt_f64_e64 s1, 0, v[6:7]
	v_xor_b32_e32 v4, 0x80000000, v3
	v_xor_b32_e32 v5, 0x80000000, v7
	s_delay_alu instid0(VALU_DEP_2) | instskip(NEXT) | instid1(VALU_DEP_2)
	v_cndmask_b32_e32 v3, v3, v4, vcc_lo
	v_cndmask_b32_e64 v5, v7, v5, s1
	v_cndmask_b32_e32 v2, v2, v2, vcc_lo
	v_cndmask_b32_e64 v4, v6, v6, s1
	s_delay_alu instid0(VALU_DEP_1)
	v_cmp_gt_f64_e32 vcc_lo, v[2:3], v[4:5]
	s_cbranch_vccnz .LBB66_154
; %bb.151:
	v_cmp_eq_f64_e32 vcc_lo, 0, v[6:7]
	v_mov_b32_e32 v6, 0
	v_mov_b32_e32 v7, 0
	s_cbranch_vccnz .LBB66_153
; %bb.152:
	v_div_scale_f64 v[6:7], null, v[4:5], v[4:5], v[2:3]
	v_div_scale_f64 v[18:19], vcc_lo, v[2:3], v[4:5], v[2:3]
	s_delay_alu instid0(VALU_DEP_2) | instskip(SKIP_2) | instid1(VALU_DEP_1)
	v_rcp_f64_e32 v[10:11], v[6:7]
	s_waitcnt_depctr 0xfff
	v_fma_f64 v[16:17], -v[6:7], v[10:11], 1.0
	v_fma_f64 v[10:11], v[10:11], v[16:17], v[10:11]
	s_delay_alu instid0(VALU_DEP_1) | instskip(NEXT) | instid1(VALU_DEP_1)
	v_fma_f64 v[16:17], -v[6:7], v[10:11], 1.0
	v_fma_f64 v[10:11], v[10:11], v[16:17], v[10:11]
	s_delay_alu instid0(VALU_DEP_1) | instskip(NEXT) | instid1(VALU_DEP_1)
	v_mul_f64 v[16:17], v[18:19], v[10:11]
	v_fma_f64 v[6:7], -v[6:7], v[16:17], v[18:19]
	s_delay_alu instid0(VALU_DEP_1) | instskip(NEXT) | instid1(VALU_DEP_1)
	v_div_fmas_f64 v[6:7], v[6:7], v[10:11], v[16:17]
	v_div_fixup_f64 v[6:7], v[6:7], v[4:5], v[2:3]
	s_delay_alu instid0(VALU_DEP_1) | instskip(NEXT) | instid1(VALU_DEP_1)
	v_fma_f64 v[6:7], v[6:7], v[6:7], 1.0
	v_cmp_gt_f64_e32 vcc_lo, 0x10000000, v[6:7]
	v_cndmask_b32_e64 v10, 0, 1, vcc_lo
	s_and_b32 s1, vcc_lo, exec_lo
	s_cselect_b32 s1, 0xffffff80, 0
	s_delay_alu instid0(VALU_DEP_1) | instskip(NEXT) | instid1(VALU_DEP_1)
	v_lshlrev_b32_e32 v10, 8, v10
	v_ldexp_f64 v[6:7], v[6:7], v10
	s_delay_alu instid0(VALU_DEP_1) | instskip(SKIP_4) | instid1(VALU_DEP_1)
	v_rsq_f64_e32 v[10:11], v[6:7]
	v_cmp_class_f64_e64 vcc_lo, v[6:7], 0x260
	s_waitcnt_depctr 0xfff
	v_mul_f64 v[16:17], v[6:7], v[10:11]
	v_mul_f64 v[10:11], v[10:11], 0.5
	v_fma_f64 v[18:19], -v[10:11], v[16:17], 0.5
	s_delay_alu instid0(VALU_DEP_1) | instskip(SKIP_1) | instid1(VALU_DEP_2)
	v_fma_f64 v[16:17], v[16:17], v[18:19], v[16:17]
	v_fma_f64 v[10:11], v[10:11], v[18:19], v[10:11]
	v_fma_f64 v[18:19], -v[16:17], v[16:17], v[6:7]
	s_delay_alu instid0(VALU_DEP_1) | instskip(NEXT) | instid1(VALU_DEP_1)
	v_fma_f64 v[16:17], v[18:19], v[10:11], v[16:17]
	v_fma_f64 v[18:19], -v[16:17], v[16:17], v[6:7]
	s_delay_alu instid0(VALU_DEP_1) | instskip(NEXT) | instid1(VALU_DEP_1)
	v_fma_f64 v[10:11], v[18:19], v[10:11], v[16:17]
	v_ldexp_f64 v[10:11], v[10:11], s1
	s_delay_alu instid0(VALU_DEP_1) | instskip(NEXT) | instid1(VALU_DEP_1)
	v_dual_cndmask_b32 v7, v11, v7 :: v_dual_cndmask_b32 v6, v10, v6
	v_mul_f64 v[6:7], v[4:5], v[6:7]
.LBB66_153:
	s_cbranch_execz .LBB66_155
	s_branch .LBB66_156
.LBB66_154:
                                        ; implicit-def: $vgpr6_vgpr7
.LBB66_155:
	v_div_scale_f64 v[6:7], null, v[2:3], v[2:3], v[4:5]
	v_div_scale_f64 v[18:19], vcc_lo, v[4:5], v[2:3], v[4:5]
	s_delay_alu instid0(VALU_DEP_2) | instskip(SKIP_2) | instid1(VALU_DEP_1)
	v_rcp_f64_e32 v[10:11], v[6:7]
	s_waitcnt_depctr 0xfff
	v_fma_f64 v[16:17], -v[6:7], v[10:11], 1.0
	v_fma_f64 v[10:11], v[10:11], v[16:17], v[10:11]
	s_delay_alu instid0(VALU_DEP_1) | instskip(NEXT) | instid1(VALU_DEP_1)
	v_fma_f64 v[16:17], -v[6:7], v[10:11], 1.0
	v_fma_f64 v[10:11], v[10:11], v[16:17], v[10:11]
	s_delay_alu instid0(VALU_DEP_1) | instskip(NEXT) | instid1(VALU_DEP_1)
	v_mul_f64 v[16:17], v[18:19], v[10:11]
	v_fma_f64 v[6:7], -v[6:7], v[16:17], v[18:19]
	s_delay_alu instid0(VALU_DEP_1) | instskip(NEXT) | instid1(VALU_DEP_1)
	v_div_fmas_f64 v[6:7], v[6:7], v[10:11], v[16:17]
	v_div_fixup_f64 v[4:5], v[6:7], v[2:3], v[4:5]
	s_delay_alu instid0(VALU_DEP_1) | instskip(NEXT) | instid1(VALU_DEP_1)
	v_fma_f64 v[4:5], v[4:5], v[4:5], 1.0
	v_cmp_gt_f64_e32 vcc_lo, 0x10000000, v[4:5]
	v_cndmask_b32_e64 v6, 0, 1, vcc_lo
	s_and_b32 s1, vcc_lo, exec_lo
	s_cselect_b32 s1, 0xffffff80, 0
	s_delay_alu instid0(VALU_DEP_1) | instskip(NEXT) | instid1(VALU_DEP_1)
	v_lshlrev_b32_e32 v6, 8, v6
	v_ldexp_f64 v[4:5], v[4:5], v6
	s_delay_alu instid0(VALU_DEP_1) | instskip(SKIP_4) | instid1(VALU_DEP_1)
	v_rsq_f64_e32 v[6:7], v[4:5]
	v_cmp_class_f64_e64 vcc_lo, v[4:5], 0x260
	s_waitcnt_depctr 0xfff
	v_mul_f64 v[10:11], v[4:5], v[6:7]
	v_mul_f64 v[6:7], v[6:7], 0.5
	v_fma_f64 v[16:17], -v[6:7], v[10:11], 0.5
	s_delay_alu instid0(VALU_DEP_1) | instskip(SKIP_1) | instid1(VALU_DEP_2)
	v_fma_f64 v[10:11], v[10:11], v[16:17], v[10:11]
	v_fma_f64 v[6:7], v[6:7], v[16:17], v[6:7]
	v_fma_f64 v[16:17], -v[10:11], v[10:11], v[4:5]
	s_delay_alu instid0(VALU_DEP_1) | instskip(NEXT) | instid1(VALU_DEP_1)
	v_fma_f64 v[10:11], v[16:17], v[6:7], v[10:11]
	v_fma_f64 v[16:17], -v[10:11], v[10:11], v[4:5]
	s_delay_alu instid0(VALU_DEP_1) | instskip(NEXT) | instid1(VALU_DEP_1)
	v_fma_f64 v[6:7], v[16:17], v[6:7], v[10:11]
	v_ldexp_f64 v[6:7], v[6:7], s1
	s_delay_alu instid0(VALU_DEP_1) | instskip(NEXT) | instid1(VALU_DEP_1)
	v_dual_cndmask_b32 v5, v7, v5 :: v_dual_cndmask_b32 v4, v6, v4
	v_mul_f64 v[6:7], v[2:3], v[4:5]
.LBB66_156:
	s_delay_alu instid0(VALU_DEP_1) | instskip(SKIP_3) | instid1(VALU_DEP_1)
	v_cmp_gt_f64_e32 vcc_lo, 0x10000000, v[6:7]
	v_cndmask_b32_e64 v2, 0, 1, vcc_lo
	s_and_b32 s1, vcc_lo, exec_lo
	s_cselect_b32 s1, 0xffffff80, 0
	v_lshlrev_b32_e32 v2, 8, v2
	s_delay_alu instid0(VALU_DEP_1) | instskip(NEXT) | instid1(VALU_DEP_1)
	v_ldexp_f64 v[2:3], v[6:7], v2
	v_rsq_f64_e32 v[4:5], v[2:3]
	v_cmp_class_f64_e64 vcc_lo, v[2:3], 0x260
	s_waitcnt_depctr 0xfff
	v_mul_f64 v[6:7], v[2:3], v[4:5]
	v_mul_f64 v[4:5], v[4:5], 0.5
	s_delay_alu instid0(VALU_DEP_1) | instskip(NEXT) | instid1(VALU_DEP_1)
	v_fma_f64 v[10:11], -v[4:5], v[6:7], 0.5
	v_fma_f64 v[6:7], v[6:7], v[10:11], v[6:7]
	v_fma_f64 v[4:5], v[4:5], v[10:11], v[4:5]
	s_delay_alu instid0(VALU_DEP_2) | instskip(NEXT) | instid1(VALU_DEP_1)
	v_fma_f64 v[10:11], -v[6:7], v[6:7], v[2:3]
	v_fma_f64 v[6:7], v[10:11], v[4:5], v[6:7]
	s_delay_alu instid0(VALU_DEP_1) | instskip(NEXT) | instid1(VALU_DEP_1)
	v_fma_f64 v[10:11], -v[6:7], v[6:7], v[2:3]
	v_fma_f64 v[4:5], v[10:11], v[4:5], v[6:7]
	s_delay_alu instid0(VALU_DEP_1) | instskip(NEXT) | instid1(VALU_DEP_1)
	v_ldexp_f64 v[5:6], v[4:5], s1
	v_dual_mov_b32 v4, 0 :: v_dual_cndmask_b32 v3, v6, v3
	s_delay_alu instid0(VALU_DEP_1)
	v_dual_cndmask_b32 v2, v5, v2 :: v_dual_mov_b32 v5, v4
	ds_store_b128 v4, v[2:5] offset:3264
.LBB66_157:
	s_or_b32 exec_lo, exec_lo, s3
	v_mov_b32_e32 v2, 0
	s_waitcnt lgkmcnt(0)
	buffer_gl0_inv
	ds_load_b128 v[2:5], v2 offset:3264
	s_waitcnt lgkmcnt(0)
	v_cmp_neq_f64_e32 vcc_lo, 0, v[2:3]
	v_cmp_neq_f64_e64 s1, 0, v[4:5]
	s_delay_alu instid0(VALU_DEP_1) | instskip(SKIP_4) | instid1(SALU_CYCLE_1)
	s_or_b32 vcc_lo, vcc_lo, s1
	v_cndmask_b32_e32 v3, 0x3ff00000, v3, vcc_lo
	v_dual_cndmask_b32 v2, 0, v2 :: v_dual_cndmask_b32 v5, 0, v5
	v_cndmask_b32_e32 v4, 0, v4, vcc_lo
	s_or_b32 s1, vcc_lo, s0
	s_xor_b32 s3, s1, -1
	s_delay_alu instid0(SALU_CYCLE_1)
	s_and_saveexec_b32 s1, s3
	s_cbranch_execz .LBB66_161
; %bb.158:
	v_mbcnt_lo_u32_b32 v2, exec_lo, 0
	s_mov_b32 s3, exec_lo
	s_delay_alu instid0(VALU_DEP_1)
	v_cmpx_eq_u32_e32 0, v2
	s_cbranch_execz .LBB66_160
; %bb.159:
	v_dual_mov_b32 v2, 0 :: v_dual_mov_b32 v3, s2
	global_atomic_min_i32 v2, v3, s[10:11]
.LBB66_160:
	s_or_b32 exec_lo, exec_lo, s3
	v_mov_b32_e32 v2, 0
	v_dual_mov_b32 v3, 0x3ff00000 :: v_dual_mov_b32 v4, 0
	v_mov_b32_e32 v5, 0
.LBB66_161:
	s_or_b32 exec_lo, exec_lo, s1
	s_delay_alu instid0(SALU_CYCLE_1)
	s_mov_b32 s1, exec_lo
	v_cmpx_lt_u32_e32 6, v13
	s_cbranch_execz .LBB66_163
; %bb.162:
	v_mul_f64 v[6:7], v[4:5], v[4:5]
	s_delay_alu instid0(VALU_DEP_1) | instskip(NEXT) | instid1(VALU_DEP_1)
	v_fma_f64 v[6:7], v[2:3], v[2:3], v[6:7]
	v_div_scale_f64 v[10:11], null, v[6:7], v[6:7], 1.0
	v_div_scale_f64 v[24:25], vcc_lo, 1.0, v[6:7], 1.0
	s_delay_alu instid0(VALU_DEP_2) | instskip(SKIP_2) | instid1(VALU_DEP_1)
	v_rcp_f64_e32 v[16:17], v[10:11]
	s_waitcnt_depctr 0xfff
	v_fma_f64 v[18:19], -v[10:11], v[16:17], 1.0
	v_fma_f64 v[16:17], v[16:17], v[18:19], v[16:17]
	s_delay_alu instid0(VALU_DEP_1) | instskip(NEXT) | instid1(VALU_DEP_1)
	v_fma_f64 v[18:19], -v[10:11], v[16:17], 1.0
	v_fma_f64 v[26:27], v[16:17], v[18:19], v[16:17]
	ds_load_b128 v[16:19], v9 offset:2400
	ds_load_b128 v[20:23], v9 offset:3552
	s_waitcnt lgkmcnt(0)
	v_add_f64 v[18:19], v[18:19], -v[22:23]
	v_add_f64 v[16:17], v[16:17], -v[20:21]
	v_mul_f64 v[28:29], v[24:25], v[26:27]
	s_delay_alu instid0(VALU_DEP_3) | instskip(NEXT) | instid1(VALU_DEP_3)
	v_mul_f64 v[20:21], v[4:5], v[18:19]
	v_mul_f64 v[4:5], v[4:5], -v[16:17]
	s_delay_alu instid0(VALU_DEP_3) | instskip(NEXT) | instid1(VALU_DEP_3)
	v_fma_f64 v[10:11], -v[10:11], v[28:29], v[24:25]
	v_fma_f64 v[16:17], v[16:17], v[2:3], v[20:21]
	s_delay_alu instid0(VALU_DEP_3) | instskip(NEXT) | instid1(VALU_DEP_3)
	v_fma_f64 v[4:5], v[18:19], v[2:3], v[4:5]
	v_div_fmas_f64 v[10:11], v[10:11], v[26:27], v[28:29]
	s_delay_alu instid0(VALU_DEP_1) | instskip(NEXT) | instid1(VALU_DEP_1)
	v_div_fixup_f64 v[6:7], v[10:11], v[6:7], 1.0
	v_mul_f64 v[2:3], v[6:7], v[16:17]
	s_delay_alu instid0(VALU_DEP_4)
	v_mul_f64 v[4:5], v[6:7], v[4:5]
	v_mul_u32_u24_e32 v6, 0x90, v12
	ds_store_b128 v9, v[2:5] offset:2400
	s_waitcnt lgkmcnt(0)
	s_waitcnt_vscnt null, 0x0
	buffer_gl0_inv
	ds_load_b128 v[16:19], v6 offset:2400
	ds_load_b128 v[20:23], v15
	s_waitcnt lgkmcnt(0)
	v_fma_f64 v[6:7], v[2:3], v[16:17], v[20:21]
	v_fma_f64 v[10:11], v[4:5], v[16:17], v[22:23]
	s_delay_alu instid0(VALU_DEP_2) | instskip(NEXT) | instid1(VALU_DEP_2)
	v_fma_f64 v[4:5], v[4:5], v[18:19], v[6:7]
	v_fma_f64 v[6:7], v[2:3], -v[18:19], v[10:11]
	ds_store_b128 v15, v[4:7]
.LBB66_163:
	s_or_b32 exec_lo, exec_lo, s1
	s_delay_alu instid0(SALU_CYCLE_1)
	s_mov_b32 s3, exec_lo
	s_waitcnt lgkmcnt(0)
	s_waitcnt_vscnt null, 0x0
	buffer_gl0_inv
	v_cmpx_eq_u32_e32 7, v13
	s_cbranch_execz .LBB66_171
; %bb.164:
	v_mov_b32_e32 v6, 0
	ds_load_b128 v[2:5], v6 offset:4576
	ds_load_b128 v[16:19], v6 offset:3424
	s_waitcnt lgkmcnt(0)
	v_add_f64 v[2:3], v[16:17], -v[2:3]
	v_add_f64 v[6:7], v[18:19], -v[4:5]
	s_delay_alu instid0(VALU_DEP_2) | instskip(NEXT) | instid1(VALU_DEP_2)
	v_cmp_gt_f64_e32 vcc_lo, 0, v[2:3]
	v_cmp_gt_f64_e64 s1, 0, v[6:7]
	v_xor_b32_e32 v4, 0x80000000, v3
	v_xor_b32_e32 v5, 0x80000000, v7
	s_delay_alu instid0(VALU_DEP_2) | instskip(NEXT) | instid1(VALU_DEP_2)
	v_cndmask_b32_e32 v3, v3, v4, vcc_lo
	v_cndmask_b32_e64 v5, v7, v5, s1
	v_cndmask_b32_e32 v2, v2, v2, vcc_lo
	v_cndmask_b32_e64 v4, v6, v6, s1
	s_delay_alu instid0(VALU_DEP_1)
	v_cmp_gt_f64_e32 vcc_lo, v[2:3], v[4:5]
	s_cbranch_vccnz .LBB66_168
; %bb.165:
	v_cmp_eq_f64_e32 vcc_lo, 0, v[6:7]
	v_mov_b32_e32 v6, 0
	v_mov_b32_e32 v7, 0
	s_cbranch_vccnz .LBB66_167
; %bb.166:
	v_div_scale_f64 v[6:7], null, v[4:5], v[4:5], v[2:3]
	v_div_scale_f64 v[18:19], vcc_lo, v[2:3], v[4:5], v[2:3]
	s_delay_alu instid0(VALU_DEP_2) | instskip(SKIP_2) | instid1(VALU_DEP_1)
	v_rcp_f64_e32 v[10:11], v[6:7]
	s_waitcnt_depctr 0xfff
	v_fma_f64 v[16:17], -v[6:7], v[10:11], 1.0
	v_fma_f64 v[10:11], v[10:11], v[16:17], v[10:11]
	s_delay_alu instid0(VALU_DEP_1) | instskip(NEXT) | instid1(VALU_DEP_1)
	v_fma_f64 v[16:17], -v[6:7], v[10:11], 1.0
	v_fma_f64 v[10:11], v[10:11], v[16:17], v[10:11]
	s_delay_alu instid0(VALU_DEP_1) | instskip(NEXT) | instid1(VALU_DEP_1)
	v_mul_f64 v[16:17], v[18:19], v[10:11]
	v_fma_f64 v[6:7], -v[6:7], v[16:17], v[18:19]
	s_delay_alu instid0(VALU_DEP_1) | instskip(NEXT) | instid1(VALU_DEP_1)
	v_div_fmas_f64 v[6:7], v[6:7], v[10:11], v[16:17]
	v_div_fixup_f64 v[6:7], v[6:7], v[4:5], v[2:3]
	s_delay_alu instid0(VALU_DEP_1) | instskip(NEXT) | instid1(VALU_DEP_1)
	v_fma_f64 v[6:7], v[6:7], v[6:7], 1.0
	v_cmp_gt_f64_e32 vcc_lo, 0x10000000, v[6:7]
	v_cndmask_b32_e64 v10, 0, 1, vcc_lo
	s_and_b32 s1, vcc_lo, exec_lo
	s_cselect_b32 s1, 0xffffff80, 0
	s_delay_alu instid0(VALU_DEP_1) | instskip(NEXT) | instid1(VALU_DEP_1)
	v_lshlrev_b32_e32 v10, 8, v10
	v_ldexp_f64 v[6:7], v[6:7], v10
	s_delay_alu instid0(VALU_DEP_1) | instskip(SKIP_4) | instid1(VALU_DEP_1)
	v_rsq_f64_e32 v[10:11], v[6:7]
	v_cmp_class_f64_e64 vcc_lo, v[6:7], 0x260
	s_waitcnt_depctr 0xfff
	v_mul_f64 v[16:17], v[6:7], v[10:11]
	v_mul_f64 v[10:11], v[10:11], 0.5
	v_fma_f64 v[18:19], -v[10:11], v[16:17], 0.5
	s_delay_alu instid0(VALU_DEP_1) | instskip(SKIP_1) | instid1(VALU_DEP_2)
	v_fma_f64 v[16:17], v[16:17], v[18:19], v[16:17]
	v_fma_f64 v[10:11], v[10:11], v[18:19], v[10:11]
	v_fma_f64 v[18:19], -v[16:17], v[16:17], v[6:7]
	s_delay_alu instid0(VALU_DEP_1) | instskip(NEXT) | instid1(VALU_DEP_1)
	v_fma_f64 v[16:17], v[18:19], v[10:11], v[16:17]
	v_fma_f64 v[18:19], -v[16:17], v[16:17], v[6:7]
	s_delay_alu instid0(VALU_DEP_1) | instskip(NEXT) | instid1(VALU_DEP_1)
	v_fma_f64 v[10:11], v[18:19], v[10:11], v[16:17]
	v_ldexp_f64 v[10:11], v[10:11], s1
	s_delay_alu instid0(VALU_DEP_1) | instskip(NEXT) | instid1(VALU_DEP_1)
	v_dual_cndmask_b32 v7, v11, v7 :: v_dual_cndmask_b32 v6, v10, v6
	v_mul_f64 v[6:7], v[4:5], v[6:7]
.LBB66_167:
	s_cbranch_execz .LBB66_169
	s_branch .LBB66_170
.LBB66_168:
                                        ; implicit-def: $vgpr6_vgpr7
.LBB66_169:
	v_div_scale_f64 v[6:7], null, v[2:3], v[2:3], v[4:5]
	v_div_scale_f64 v[18:19], vcc_lo, v[4:5], v[2:3], v[4:5]
	s_delay_alu instid0(VALU_DEP_2) | instskip(SKIP_2) | instid1(VALU_DEP_1)
	v_rcp_f64_e32 v[10:11], v[6:7]
	s_waitcnt_depctr 0xfff
	v_fma_f64 v[16:17], -v[6:7], v[10:11], 1.0
	v_fma_f64 v[10:11], v[10:11], v[16:17], v[10:11]
	s_delay_alu instid0(VALU_DEP_1) | instskip(NEXT) | instid1(VALU_DEP_1)
	v_fma_f64 v[16:17], -v[6:7], v[10:11], 1.0
	v_fma_f64 v[10:11], v[10:11], v[16:17], v[10:11]
	s_delay_alu instid0(VALU_DEP_1) | instskip(NEXT) | instid1(VALU_DEP_1)
	v_mul_f64 v[16:17], v[18:19], v[10:11]
	v_fma_f64 v[6:7], -v[6:7], v[16:17], v[18:19]
	s_delay_alu instid0(VALU_DEP_1) | instskip(NEXT) | instid1(VALU_DEP_1)
	v_div_fmas_f64 v[6:7], v[6:7], v[10:11], v[16:17]
	v_div_fixup_f64 v[4:5], v[6:7], v[2:3], v[4:5]
	s_delay_alu instid0(VALU_DEP_1) | instskip(NEXT) | instid1(VALU_DEP_1)
	v_fma_f64 v[4:5], v[4:5], v[4:5], 1.0
	v_cmp_gt_f64_e32 vcc_lo, 0x10000000, v[4:5]
	v_cndmask_b32_e64 v6, 0, 1, vcc_lo
	s_and_b32 s1, vcc_lo, exec_lo
	s_cselect_b32 s1, 0xffffff80, 0
	s_delay_alu instid0(VALU_DEP_1) | instskip(NEXT) | instid1(VALU_DEP_1)
	v_lshlrev_b32_e32 v6, 8, v6
	v_ldexp_f64 v[4:5], v[4:5], v6
	s_delay_alu instid0(VALU_DEP_1) | instskip(SKIP_4) | instid1(VALU_DEP_1)
	v_rsq_f64_e32 v[6:7], v[4:5]
	v_cmp_class_f64_e64 vcc_lo, v[4:5], 0x260
	s_waitcnt_depctr 0xfff
	v_mul_f64 v[10:11], v[4:5], v[6:7]
	v_mul_f64 v[6:7], v[6:7], 0.5
	v_fma_f64 v[16:17], -v[6:7], v[10:11], 0.5
	s_delay_alu instid0(VALU_DEP_1) | instskip(SKIP_1) | instid1(VALU_DEP_2)
	v_fma_f64 v[10:11], v[10:11], v[16:17], v[10:11]
	v_fma_f64 v[6:7], v[6:7], v[16:17], v[6:7]
	v_fma_f64 v[16:17], -v[10:11], v[10:11], v[4:5]
	s_delay_alu instid0(VALU_DEP_1) | instskip(NEXT) | instid1(VALU_DEP_1)
	v_fma_f64 v[10:11], v[16:17], v[6:7], v[10:11]
	v_fma_f64 v[16:17], -v[10:11], v[10:11], v[4:5]
	s_delay_alu instid0(VALU_DEP_1) | instskip(NEXT) | instid1(VALU_DEP_1)
	v_fma_f64 v[6:7], v[16:17], v[6:7], v[10:11]
	v_ldexp_f64 v[6:7], v[6:7], s1
	s_delay_alu instid0(VALU_DEP_1) | instskip(NEXT) | instid1(VALU_DEP_1)
	v_dual_cndmask_b32 v5, v7, v5 :: v_dual_cndmask_b32 v4, v6, v4
	v_mul_f64 v[6:7], v[2:3], v[4:5]
.LBB66_170:
	s_delay_alu instid0(VALU_DEP_1) | instskip(SKIP_3) | instid1(VALU_DEP_1)
	v_cmp_gt_f64_e32 vcc_lo, 0x10000000, v[6:7]
	v_cndmask_b32_e64 v2, 0, 1, vcc_lo
	s_and_b32 s1, vcc_lo, exec_lo
	s_cselect_b32 s1, 0xffffff80, 0
	v_lshlrev_b32_e32 v2, 8, v2
	s_delay_alu instid0(VALU_DEP_1) | instskip(NEXT) | instid1(VALU_DEP_1)
	v_ldexp_f64 v[2:3], v[6:7], v2
	v_rsq_f64_e32 v[4:5], v[2:3]
	v_cmp_class_f64_e64 vcc_lo, v[2:3], 0x260
	s_waitcnt_depctr 0xfff
	v_mul_f64 v[6:7], v[2:3], v[4:5]
	v_mul_f64 v[4:5], v[4:5], 0.5
	s_delay_alu instid0(VALU_DEP_1) | instskip(NEXT) | instid1(VALU_DEP_1)
	v_fma_f64 v[10:11], -v[4:5], v[6:7], 0.5
	v_fma_f64 v[6:7], v[6:7], v[10:11], v[6:7]
	v_fma_f64 v[4:5], v[4:5], v[10:11], v[4:5]
	s_delay_alu instid0(VALU_DEP_2) | instskip(NEXT) | instid1(VALU_DEP_1)
	v_fma_f64 v[10:11], -v[6:7], v[6:7], v[2:3]
	v_fma_f64 v[6:7], v[10:11], v[4:5], v[6:7]
	s_delay_alu instid0(VALU_DEP_1) | instskip(NEXT) | instid1(VALU_DEP_1)
	v_fma_f64 v[10:11], -v[6:7], v[6:7], v[2:3]
	v_fma_f64 v[4:5], v[10:11], v[4:5], v[6:7]
	s_delay_alu instid0(VALU_DEP_1) | instskip(NEXT) | instid1(VALU_DEP_1)
	v_ldexp_f64 v[5:6], v[4:5], s1
	v_dual_mov_b32 v4, 0 :: v_dual_cndmask_b32 v3, v6, v3
	s_delay_alu instid0(VALU_DEP_1)
	v_dual_cndmask_b32 v2, v5, v2 :: v_dual_mov_b32 v5, v4
	ds_store_b128 v4, v[2:5] offset:3424
.LBB66_171:
	s_or_b32 exec_lo, exec_lo, s3
	v_mov_b32_e32 v2, 0
	s_waitcnt lgkmcnt(0)
	buffer_gl0_inv
	ds_load_b128 v[2:5], v2 offset:3424
	s_waitcnt lgkmcnt(0)
	v_cmp_neq_f64_e32 vcc_lo, 0, v[2:3]
	v_cmp_neq_f64_e64 s1, 0, v[4:5]
	s_delay_alu instid0(VALU_DEP_1) | instskip(SKIP_4) | instid1(SALU_CYCLE_1)
	s_or_b32 vcc_lo, vcc_lo, s1
	v_cndmask_b32_e32 v3, 0x3ff00000, v3, vcc_lo
	v_dual_cndmask_b32 v2, 0, v2 :: v_dual_cndmask_b32 v5, 0, v5
	v_cndmask_b32_e32 v4, 0, v4, vcc_lo
	s_or_b32 s0, vcc_lo, s0
	s_xor_b32 s1, s0, -1
	s_delay_alu instid0(SALU_CYCLE_1)
	s_and_saveexec_b32 s0, s1
	s_cbranch_execz .LBB66_175
; %bb.172:
	v_mbcnt_lo_u32_b32 v2, exec_lo, 0
	s_mov_b32 s1, exec_lo
	s_delay_alu instid0(VALU_DEP_1)
	v_cmpx_eq_u32_e32 0, v2
	s_cbranch_execz .LBB66_174
; %bb.173:
	v_dual_mov_b32 v2, 0 :: v_dual_mov_b32 v3, s2
	global_atomic_min_i32 v2, v3, s[10:11]
.LBB66_174:
	s_or_b32 exec_lo, exec_lo, s1
	v_mov_b32_e32 v2, 0
	v_dual_mov_b32 v3, 0x3ff00000 :: v_dual_mov_b32 v4, 0
	v_mov_b32_e32 v5, 0
.LBB66_175:
	s_or_b32 exec_lo, exec_lo, s0
	s_delay_alu instid0(SALU_CYCLE_1)
	s_mov_b32 s0, exec_lo
	v_cmpx_lt_u32_e32 7, v13
	s_cbranch_execz .LBB66_177
; %bb.176:
	v_mul_f64 v[6:7], v[4:5], v[4:5]
	s_delay_alu instid0(VALU_DEP_1) | instskip(NEXT) | instid1(VALU_DEP_1)
	v_fma_f64 v[6:7], v[2:3], v[2:3], v[6:7]
	v_div_scale_f64 v[10:11], null, v[6:7], v[6:7], 1.0
	v_div_scale_f64 v[24:25], vcc_lo, 1.0, v[6:7], 1.0
	s_delay_alu instid0(VALU_DEP_2) | instskip(SKIP_2) | instid1(VALU_DEP_1)
	v_rcp_f64_e32 v[16:17], v[10:11]
	s_waitcnt_depctr 0xfff
	v_fma_f64 v[18:19], -v[10:11], v[16:17], 1.0
	v_fma_f64 v[16:17], v[16:17], v[18:19], v[16:17]
	s_delay_alu instid0(VALU_DEP_1) | instskip(NEXT) | instid1(VALU_DEP_1)
	v_fma_f64 v[18:19], -v[10:11], v[16:17], 1.0
	v_fma_f64 v[26:27], v[16:17], v[18:19], v[16:17]
	ds_load_b128 v[16:19], v9 offset:2416
	ds_load_b128 v[20:23], v9 offset:3568
	s_waitcnt lgkmcnt(0)
	v_add_f64 v[18:19], v[18:19], -v[22:23]
	v_add_f64 v[16:17], v[16:17], -v[20:21]
	v_mul_f64 v[28:29], v[24:25], v[26:27]
	s_delay_alu instid0(VALU_DEP_3) | instskip(NEXT) | instid1(VALU_DEP_3)
	v_mul_f64 v[20:21], v[4:5], v[18:19]
	v_mul_f64 v[4:5], v[4:5], -v[16:17]
	s_delay_alu instid0(VALU_DEP_3) | instskip(NEXT) | instid1(VALU_DEP_3)
	v_fma_f64 v[10:11], -v[10:11], v[28:29], v[24:25]
	v_fma_f64 v[16:17], v[16:17], v[2:3], v[20:21]
	s_delay_alu instid0(VALU_DEP_3) | instskip(NEXT) | instid1(VALU_DEP_3)
	v_fma_f64 v[4:5], v[18:19], v[2:3], v[4:5]
	v_div_fmas_f64 v[10:11], v[10:11], v[26:27], v[28:29]
	s_delay_alu instid0(VALU_DEP_1) | instskip(NEXT) | instid1(VALU_DEP_1)
	v_div_fixup_f64 v[6:7], v[10:11], v[6:7], 1.0
	v_mul_f64 v[2:3], v[6:7], v[16:17]
	s_delay_alu instid0(VALU_DEP_4)
	v_mul_f64 v[4:5], v[6:7], v[4:5]
	v_mul_u32_u24_e32 v6, 0x90, v12
	ds_store_b128 v9, v[2:5] offset:2416
	s_waitcnt lgkmcnt(0)
	s_waitcnt_vscnt null, 0x0
	buffer_gl0_inv
	ds_load_b128 v[16:19], v6 offset:2416
	ds_load_b128 v[20:23], v15
	s_waitcnt lgkmcnt(0)
	v_fma_f64 v[6:7], v[2:3], v[16:17], v[20:21]
	v_fma_f64 v[9:10], v[4:5], v[16:17], v[22:23]
	s_delay_alu instid0(VALU_DEP_2) | instskip(NEXT) | instid1(VALU_DEP_2)
	v_fma_f64 v[4:5], v[4:5], v[18:19], v[6:7]
	v_fma_f64 v[6:7], v[2:3], -v[18:19], v[9:10]
	ds_store_b128 v15, v[4:7]
.LBB66_177:
	s_or_b32 exec_lo, exec_lo, s0
	s_waitcnt lgkmcnt(0)
	s_waitcnt_vscnt null, 0x0
	buffer_gl0_inv
	ds_load_2addr_b64 v[2:5], v8 offset1:1
	v_cmp_eq_u32_e64 s3, 0, v14
	s_waitcnt lgkmcnt(0)
	global_store_b128 v[0:1], v[2:5], off
	s_branch .LBB66_183
.LBB66_178:
	v_or_b32_e32 v0, v12, v13
	s_mov_b32 s0, exec_lo
	s_delay_alu instid0(VALU_DEP_1)
	v_cmpx_eq_u32_e32 0, v0
	s_cbranch_execz .LBB66_182
; %bb.179:
	v_mbcnt_lo_u32_b32 v0, exec_lo, 0
	s_mov_b32 s1, exec_lo
	s_delay_alu instid0(VALU_DEP_1)
	v_cmpx_eq_u32_e32 0, v0
	s_cbranch_execz .LBB66_181
; %bb.180:
	s_add_i32 s2, s16, s17
	s_delay_alu instid0(SALU_CYCLE_1)
	v_dual_mov_b32 v0, 0 :: v_dual_mov_b32 v1, s2
	global_atomic_min_i32 v0, v1, s[10:11]
.LBB66_181:
	s_or_b32 exec_lo, exec_lo, s1
	s_delay_alu instid0(SALU_CYCLE_1)
	s_or_b32 s3, s3, exec_lo
.LBB66_182:
	s_or_b32 exec_lo, exec_lo, s0
.LBB66_183:
	s_and_saveexec_b32 s0, s3
	s_cbranch_execnz .LBB66_185
; %bb.184:
	s_nop 0
	s_sendmsg sendmsg(MSG_DEALLOC_VGPRS)
	s_endpgm
.LBB66_185:
	v_dual_mov_b32 v0, 0 :: v_dual_mov_b32 v1, 1
	s_add_u32 s0, s6, s8
	s_addc_u32 s1, s7, s9
	s_waitcnt_vscnt null, 0x0
	global_store_b32 v0, v1, s[0:1]
	s_nop 0
	s_sendmsg sendmsg(MSG_DEALLOC_VGPRS)
	s_endpgm
	.section	.rodata,"a",@progbits
	.p2align	6, 0x0
	.amdhsa_kernel _ZN9rocsparseL26bsric0_2_8_unrolled_kernelILi64ELi32ELi8E21rocsparse_complex_numIdEEEv20rocsparse_direction_iiPKiS5_PT2_S5_PiS5_S8_21rocsparse_index_base_
		.amdhsa_group_segment_fixed_size 4992
		.amdhsa_private_segment_fixed_size 0
		.amdhsa_kernarg_size 76
		.amdhsa_user_sgpr_count 15
		.amdhsa_user_sgpr_dispatch_ptr 0
		.amdhsa_user_sgpr_queue_ptr 0
		.amdhsa_user_sgpr_kernarg_segment_ptr 1
		.amdhsa_user_sgpr_dispatch_id 0
		.amdhsa_user_sgpr_private_segment_size 0
		.amdhsa_wavefront_size32 1
		.amdhsa_uses_dynamic_stack 0
		.amdhsa_enable_private_segment 0
		.amdhsa_system_sgpr_workgroup_id_x 1
		.amdhsa_system_sgpr_workgroup_id_y 0
		.amdhsa_system_sgpr_workgroup_id_z 0
		.amdhsa_system_sgpr_workgroup_info 0
		.amdhsa_system_vgpr_workitem_id 1
		.amdhsa_next_free_vgpr 76
		.amdhsa_next_free_sgpr 37
		.amdhsa_reserve_vcc 1
		.amdhsa_float_round_mode_32 0
		.amdhsa_float_round_mode_16_64 0
		.amdhsa_float_denorm_mode_32 3
		.amdhsa_float_denorm_mode_16_64 3
		.amdhsa_dx10_clamp 1
		.amdhsa_ieee_mode 1
		.amdhsa_fp16_overflow 0
		.amdhsa_workgroup_processor_mode 1
		.amdhsa_memory_ordered 1
		.amdhsa_forward_progress 0
		.amdhsa_shared_vgpr_count 0
		.amdhsa_exception_fp_ieee_invalid_op 0
		.amdhsa_exception_fp_denorm_src 0
		.amdhsa_exception_fp_ieee_div_zero 0
		.amdhsa_exception_fp_ieee_overflow 0
		.amdhsa_exception_fp_ieee_underflow 0
		.amdhsa_exception_fp_ieee_inexact 0
		.amdhsa_exception_int_div_zero 0
	.end_amdhsa_kernel
	.section	.text._ZN9rocsparseL26bsric0_2_8_unrolled_kernelILi64ELi32ELi8E21rocsparse_complex_numIdEEEv20rocsparse_direction_iiPKiS5_PT2_S5_PiS5_S8_21rocsparse_index_base_,"axG",@progbits,_ZN9rocsparseL26bsric0_2_8_unrolled_kernelILi64ELi32ELi8E21rocsparse_complex_numIdEEEv20rocsparse_direction_iiPKiS5_PT2_S5_PiS5_S8_21rocsparse_index_base_,comdat
.Lfunc_end66:
	.size	_ZN9rocsparseL26bsric0_2_8_unrolled_kernelILi64ELi32ELi8E21rocsparse_complex_numIdEEEv20rocsparse_direction_iiPKiS5_PT2_S5_PiS5_S8_21rocsparse_index_base_, .Lfunc_end66-_ZN9rocsparseL26bsric0_2_8_unrolled_kernelILi64ELi32ELi8E21rocsparse_complex_numIdEEEv20rocsparse_direction_iiPKiS5_PT2_S5_PiS5_S8_21rocsparse_index_base_
                                        ; -- End function
	.section	.AMDGPU.csdata,"",@progbits
; Kernel info:
; codeLenInByte = 20036
; NumSgprs: 39
; NumVgprs: 76
; ScratchSize: 0
; MemoryBound: 1
; FloatMode: 240
; IeeeMode: 1
; LDSByteSize: 4992 bytes/workgroup (compile time only)
; SGPRBlocks: 4
; VGPRBlocks: 9
; NumSGPRsForWavesPerEU: 39
; NumVGPRsForWavesPerEU: 76
; Occupancy: 13
; WaveLimiterHint : 1
; COMPUTE_PGM_RSRC2:SCRATCH_EN: 0
; COMPUTE_PGM_RSRC2:USER_SGPR: 15
; COMPUTE_PGM_RSRC2:TRAP_HANDLER: 0
; COMPUTE_PGM_RSRC2:TGID_X_EN: 1
; COMPUTE_PGM_RSRC2:TGID_Y_EN: 0
; COMPUTE_PGM_RSRC2:TGID_Z_EN: 0
; COMPUTE_PGM_RSRC2:TIDIG_COMP_CNT: 1
	.section	.text._ZN9rocsparseL18bsric0_9_16_kernelILi64ELi32ELi16E21rocsparse_complex_numIdEEEv20rocsparse_direction_iiPKiS5_PT2_S5_PiS5_S8_21rocsparse_index_base_,"axG",@progbits,_ZN9rocsparseL18bsric0_9_16_kernelILi64ELi32ELi16E21rocsparse_complex_numIdEEEv20rocsparse_direction_iiPKiS5_PT2_S5_PiS5_S8_21rocsparse_index_base_,comdat
	.globl	_ZN9rocsparseL18bsric0_9_16_kernelILi64ELi32ELi16E21rocsparse_complex_numIdEEEv20rocsparse_direction_iiPKiS5_PT2_S5_PiS5_S8_21rocsparse_index_base_ ; -- Begin function _ZN9rocsparseL18bsric0_9_16_kernelILi64ELi32ELi16E21rocsparse_complex_numIdEEEv20rocsparse_direction_iiPKiS5_PT2_S5_PiS5_S8_21rocsparse_index_base_
	.p2align	8
	.type	_ZN9rocsparseL18bsric0_9_16_kernelILi64ELi32ELi16E21rocsparse_complex_numIdEEEv20rocsparse_direction_iiPKiS5_PT2_S5_PiS5_S8_21rocsparse_index_base_,@function
_ZN9rocsparseL18bsric0_9_16_kernelILi64ELi32ELi16E21rocsparse_complex_numIdEEEv20rocsparse_direction_iiPKiS5_PT2_S5_PiS5_S8_21rocsparse_index_base_: ; @_ZN9rocsparseL18bsric0_9_16_kernelILi64ELi32ELi16E21rocsparse_complex_numIdEEEv20rocsparse_direction_iiPKiS5_PT2_S5_PiS5_S8_21rocsparse_index_base_
; %bb.0:
	s_load_b256 s[4:11], s[0:1], 0x28
	s_mov_b32 s2, s15
	s_mov_b32 s3, 0
	v_and_b32_e32 v18, 0x3ff, v0
	s_lshl_b64 s[12:13], s[2:3], 2
	v_bfe_u32 v9, v0, 10, 10
	s_waitcnt lgkmcnt(0)
	s_add_u32 s8, s8, s12
	s_addc_u32 s9, s9, s13
	s_load_b32 s16, s[8:9], 0x0
	s_waitcnt lgkmcnt(0)
	s_ashr_i32 s17, s16, 31
	s_delay_alu instid0(SALU_CYCLE_1) | instskip(NEXT) | instid1(SALU_CYCLE_1)
	s_lshl_b64 s[8:9], s[16:17], 2
	s_add_u32 s12, s4, s8
	s_addc_u32 s13, s5, s9
	s_load_b32 s28, s[12:13], 0x0
	s_load_b32 s17, s[0:1], 0x48
	s_waitcnt lgkmcnt(0)
	s_cmp_lg_u32 s28, -1
	s_cbranch_scc0 .LBB67_137
; %bb.1:
	s_clause 0x1
	s_load_b128 s[12:15], s[0:1], 0x10
	s_load_b64 s[18:19], s[0:1], 0x20
	v_lshlrev_b32_e32 v0, 2, v9
	v_lshlrev_b32_e32 v21, 4, v9
	s_waitcnt lgkmcnt(0)
	s_add_u32 s2, s12, s8
	s_addc_u32 s3, s13, s9
	s_load_b32 s2, s[2:3], 0x0
	s_waitcnt lgkmcnt(0)
	s_sub_i32 s31, s2, s17
	s_mov_b32 s2, exec_lo
	v_add3_u32 v0, v0, v18, s31
	s_delay_alu instid0(VALU_DEP_1)
	v_cmpx_ge_i32_e64 s28, v0
	s_cbranch_execz .LBB67_4
; %bb.2:
	v_lshlrev_b32_e32 v1, 2, v18
	s_mov_b32 s3, 0
	s_delay_alu instid0(VALU_DEP_1)
	v_add3_u32 v2, v21, v1, 0x4500
	.p2align	6
.LBB67_3:                               ; =>This Inner Loop Header: Depth=1
	v_ashrrev_i32_e32 v1, 31, v0
	s_delay_alu instid0(VALU_DEP_1) | instskip(SKIP_1) | instid1(VALU_DEP_2)
	v_lshlrev_b64 v[3:4], 2, v[0:1]
	v_add_nc_u32_e32 v0, 64, v0
	v_add_co_u32 v3, vcc_lo, s14, v3
	s_delay_alu instid0(VALU_DEP_3) | instskip(NEXT) | instid1(VALU_DEP_3)
	v_add_co_ci_u32_e32 v4, vcc_lo, s15, v4, vcc_lo
	v_cmp_lt_i32_e32 vcc_lo, s28, v0
	global_load_b32 v1, v[3:4], off
	s_or_b32 s3, vcc_lo, s3
	s_waitcnt vmcnt(0)
	v_subrev_nc_u32_e32 v1, s17, v1
	ds_store_b32 v2, v1
	v_add_nc_u32_e32 v2, 0x100, v2
	s_and_not1_b32 exec_lo, exec_lo, s3
	s_cbranch_execnz .LBB67_3
.LBB67_4:
	s_or_b32 exec_lo, exec_lo, s2
	v_mul_u32_u24_e32 v19, 0x110, v9
	v_lshlrev_b32_e32 v20, 4, v18
	s_mov_b32 s2, exec_lo
	v_cmpx_gt_u32_e32 16, v18
	s_cbranch_execz .LBB67_7
; %bb.5:
	v_mov_b32_e32 v0, 0
	v_add_nc_u32_e32 v4, -4, v18
	v_add3_u32 v5, v19, v20, 0x3300
	s_mov_b32 s3, 0
	s_delay_alu instid0(VALU_DEP_3)
	v_mov_b32_e32 v1, v0
	v_mov_b32_e32 v2, v0
	;; [unrolled: 1-line block ×3, first 2 shown]
.LBB67_6:                               ; =>This Inner Loop Header: Depth=1
	v_add_nc_u32_e32 v4, 4, v4
	ds_store_b128 v5, v[0:3]
	v_add_nc_u32_e32 v5, 64, v5
	v_cmp_lt_u32_e32 vcc_lo, 11, v4
	s_or_b32 s3, vcc_lo, s3
	s_delay_alu instid0(SALU_CYCLE_1)
	s_and_not1_b32 exec_lo, exec_lo, s3
	s_cbranch_execnz .LBB67_6
.LBB67_7:
	s_or_b32 exec_lo, exec_lo, s2
	s_clause 0x1
	s_load_b32 s29, s[0:1], 0x8
	s_load_b32 s30, s[0:1], 0x0
	s_cmp_ge_i32 s31, s28
	s_waitcnt lgkmcnt(0)
	buffer_gl0_inv
	v_cmp_gt_i32_e64 s0, s29, v18
	s_cbranch_scc1 .LBB67_92
; %bb.8:
	v_mad_u64_u32 v[0:1], null, s29, s31, v[9:10]
	v_or_b32_e32 v1, v18, v9
	v_mad_u32_u24 v22, 0x110, v9, v20
	v_mul_lo_u32 v23, v9, s29
	v_mul_lo_u32 v25, v18, s29
	s_movk_i32 s3, 0x2200
	s_cmp_lg_u32 s30, 0
	v_mul_lo_u32 v27, s29, v0
	v_cmp_gt_i32_e64 s1, s29, v9
	v_cmp_ne_u32_e64 s2, 0, v1
	v_add_nc_u32_e32 v24, 0x1100, v22
	v_mad_u32_u24 v26, 0x110, v9, s3
	v_mad_u32_u24 v28, 0x110, v18, s3
	v_dual_mov_b32 v0, 0 :: v_dual_add_nc_u32 v29, 0x3300, v22
	v_add_nc_u32_e32 v30, 0x2200, v22
	s_cselect_b32 s33, -1, 0
	s_cmp_gt_i32 s29, 0
	s_mul_i32 s35, s29, s29
	s_cselect_b32 s34, -1, 0
	s_lshl_b32 s36, s29, 2
	s_mov_b32 s20, s31
	s_branch .LBB67_10
.LBB67_9:                               ;   in Loop: Header=BB67_10 Depth=1
	s_set_inst_prefetch_distance 0x2
	s_or_b32 exec_lo, exec_lo, s3
	s_add_i32 s20, s20, 1
	v_add_nc_u32_e32 v27, s35, v27
	s_cmp_ge_i32 s20, s28
	s_waitcnt_vscnt null, 0x0
	buffer_gl1_inv
	buffer_gl0_inv
	s_cselect_b32 s3, -1, 0
	s_delay_alu instid0(SALU_CYCLE_1)
	s_and_b32 vcc_lo, exec_lo, s3
	s_cbranch_vccnz .LBB67_92
.LBB67_10:                              ; =>This Loop Header: Depth=1
                                        ;     Child Loop BB67_14 Depth 2
                                        ;     Child Loop BB67_27 Depth 2
	;; [unrolled: 1-line block ×5, first 2 shown]
                                        ;       Child Loop BB67_59 Depth 3
                                        ;     Child Loop BB67_72 Depth 2
                                        ;       Child Loop BB67_78 Depth 3
                                        ;       Child Loop BB67_81 Depth 3
                                        ;     Child Loop BB67_86 Depth 2
	s_ashr_i32 s21, s20, 31
	s_delay_alu instid0(SALU_CYCLE_1) | instskip(NEXT) | instid1(SALU_CYCLE_1)
	s_lshl_b64 s[22:23], s[20:21], 2
	s_add_u32 s22, s14, s22
	s_addc_u32 s23, s15, s23
	s_load_b32 s37, s[22:23], 0x0
	s_waitcnt lgkmcnt(0)
	s_sub_i32 s24, s37, s17
	s_delay_alu instid0(SALU_CYCLE_1) | instskip(NEXT) | instid1(SALU_CYCLE_1)
	s_ashr_i32 s25, s24, 31
	s_lshl_b64 s[22:23], s[24:25], 2
	s_delay_alu instid0(SALU_CYCLE_1)
	s_add_u32 s26, s4, s22
	s_addc_u32 s27, s5, s23
	s_load_b32 s3, s[26:27], 0x0
	s_waitcnt lgkmcnt(0)
	s_cmp_eq_u32 s3, -1
	s_cbranch_scc1 .LBB67_91
; %bb.11:                               ;   in Loop: Header=BB67_10 Depth=1
	s_add_u32 s26, s12, s22
	s_addc_u32 s27, s13, s23
	s_mul_i32 s21, s20, s29
	s_load_b32 s25, s[26:27], 0x0
	s_and_saveexec_b32 s38, s0
	s_cbranch_execz .LBB67_24
; %bb.12:                               ;   in Loop: Header=BB67_10 Depth=1
	v_mov_b32_e32 v8, v24
	v_mov_b32_e32 v10, v18
	s_mov_b32 s39, 0
	s_branch .LBB67_14
.LBB67_13:                              ;   in Loop: Header=BB67_14 Depth=2
	s_or_b32 exec_lo, exec_lo, s26
	v_dual_mov_b32 v1, v0 :: v_dual_add_nc_u32 v10, 4, v10
	v_mov_b32_e32 v2, v0
	v_mov_b32_e32 v3, v0
	s_waitcnt vmcnt(0)
	ds_store_b128 v8, v[4:7] offset:4352
	ds_store_b128 v8, v[0:3]
	v_add_nc_u32_e32 v8, 64, v8
	v_cmp_le_i32_e32 vcc_lo, s29, v10
	s_or_b32 s39, vcc_lo, s39
	s_delay_alu instid0(SALU_CYCLE_1)
	s_and_not1_b32 exec_lo, exec_lo, s39
	s_cbranch_execz .LBB67_24
.LBB67_14:                              ;   Parent Loop BB67_10 Depth=1
                                        ; =>  This Inner Loop Header: Depth=2
	s_and_b32 vcc_lo, exec_lo, s33
	s_cbranch_vccz .LBB67_18
; %bb.15:                               ;   in Loop: Header=BB67_14 Depth=2
	s_mov_b32 s41, 0
	s_mov_b32 s40, 0
                                        ; implicit-def: $vgpr1
	s_and_saveexec_b32 s26, s1
	s_delay_alu instid0(SALU_CYCLE_1)
	s_xor_b32 s26, exec_lo, s26
; %bb.16:                               ;   in Loop: Header=BB67_14 Depth=2
	v_add_nc_u32_e32 v3, s21, v10
	s_mov_b32 s40, exec_lo
	s_delay_alu instid0(VALU_DEP_1)
	v_mad_u64_u32 v[1:2], null, v3, s29, v[9:10]
; %bb.17:                               ;   in Loop: Header=BB67_14 Depth=2
	s_or_b32 exec_lo, exec_lo, s26
	s_mov_b64 s[26:27], 0
	s_and_b32 vcc_lo, exec_lo, s41
	s_cbranch_vccnz .LBB67_19
	s_branch .LBB67_22
.LBB67_18:                              ;   in Loop: Header=BB67_14 Depth=2
	s_mov_b32 s40, 0
                                        ; implicit-def: $vgpr1
                                        ; implicit-def: $sgpr26_sgpr27
	s_cbranch_execz .LBB67_22
.LBB67_19:                              ;   in Loop: Header=BB67_14 Depth=2
                                        ; implicit-def: $vgpr1
	s_and_saveexec_b32 s26, s1
; %bb.20:                               ;   in Loop: Header=BB67_14 Depth=2
	v_add_nc_u32_e32 v1, v27, v10
	s_or_b32 s40, s40, exec_lo
; %bb.21:                               ;   in Loop: Header=BB67_14 Depth=2
	s_or_b32 exec_lo, exec_lo, s26
	s_mov_b64 s[26:27], 0
.LBB67_22:                              ;   in Loop: Header=BB67_14 Depth=2
	s_delay_alu instid0(SALU_CYCLE_1)
	v_dual_mov_b32 v4, s26 :: v_dual_mov_b32 v5, s27
	v_dual_mov_b32 v6, s26 :: v_dual_mov_b32 v7, s27
	s_and_saveexec_b32 s26, s40
	s_cbranch_execz .LBB67_13
; %bb.23:                               ;   in Loop: Header=BB67_14 Depth=2
	v_ashrrev_i32_e32 v2, 31, v1
	s_delay_alu instid0(VALU_DEP_1) | instskip(NEXT) | instid1(VALU_DEP_1)
	v_lshlrev_b64 v[1:2], 4, v[1:2]
	v_add_co_u32 v1, vcc_lo, s18, v1
	s_delay_alu instid0(VALU_DEP_2)
	v_add_co_ci_u32_e32 v2, vcc_lo, s19, v2, vcc_lo
	global_load_b128 v[4:7], v[1:2], off
	s_branch .LBB67_13
.LBB67_24:                              ;   in Loop: Header=BB67_10 Depth=1
	s_or_b32 exec_lo, exec_lo, s38
; %bb.25:                               ;   in Loop: Header=BB67_10 Depth=1
	ds_load_b32 v1, v0 offset:17664
	s_waitcnt lgkmcnt(0)
	s_sub_i32 s26, s25, s17
	s_delay_alu instid0(SALU_CYCLE_1) | instskip(SKIP_3) | instid1(SALU_CYCLE_1)
	s_cmp_le_i32 s26, s3
	s_cselect_b32 s25, -1, 0
	v_cmp_ge_i32_e32 vcc_lo, s24, v1
	s_and_b32 s25, s25, vcc_lo
	s_and_not1_b32 vcc_lo, exec_lo, s25
	s_mov_b32 s25, 0
	s_cbranch_vccnz .LBB67_37
; %bb.26:                               ;   in Loop: Header=BB67_10 Depth=1
	s_mov_b32 s38, 0
	s_mov_b32 s39, 0
.LBB67_27:                              ;   Parent Loop BB67_10 Depth=1
                                        ; =>  This Inner Loop Header: Depth=2
	s_ashr_i32 s27, s26, 31
	s_mov_b32 s42, -1
	s_lshl_b64 s[40:41], s[26:27], 2
	s_delay_alu instid0(SALU_CYCLE_1) | instskip(SKIP_2) | instid1(SALU_CYCLE_1)
	s_add_u32 s40, s14, s40
	s_addc_u32 s41, s15, s41
	s_lshl_b32 s25, s39, 2
	v_mov_b32_e32 v1, s25
	s_load_b32 s25, s[40:41], 0x0
                                        ; implicit-def: $sgpr41
                                        ; implicit-def: $sgpr40
	ds_load_b32 v1, v1 offset:17664
	s_waitcnt lgkmcnt(0)
	s_sub_i32 s43, s25, s17
                                        ; implicit-def: $sgpr25
	s_delay_alu instid0(SALU_CYCLE_1)
	v_cmp_ge_i32_e32 vcc_lo, s43, v1
	v_readfirstlane_b32 s27, v1
	s_cbranch_vccz .LBB67_33
; %bb.28:                               ;   in Loop: Header=BB67_27 Depth=2
	s_delay_alu instid0(VALU_DEP_1)
	s_cmp_le_i32 s43, s27
                                        ; implicit-def: $sgpr25
                                        ; implicit-def: $sgpr41
                                        ; implicit-def: $sgpr40
	s_cbranch_scc0 .LBB67_30
; %bb.29:                               ;   in Loop: Header=BB67_27 Depth=2
	s_add_i32 s25, s39, s31
	s_lshl_b32 s40, s38, 2
	s_mul_i32 s25, s25, s35
	s_mul_i32 s41, s26, s35
	s_delay_alu instid0(SALU_CYCLE_1)
	v_dual_mov_b32 v1, s25 :: v_dual_mov_b32 v2, s41
	v_add_nc_u32_e64 v3, 0x4400, s40
	s_add_i32 s40, s39, 1
	s_add_i32 s41, s26, 1
	;; [unrolled: 1-line block ×3, first 2 shown]
	s_mov_b32 s42, 0
	ds_store_2addr_b32 v3, v2, v1 offset1:32
.LBB67_30:                              ;   in Loop: Header=BB67_27 Depth=2
	s_and_not1_b32 vcc_lo, exec_lo, s42
	s_cbranch_vccnz .LBB67_32
; %bb.31:                               ;   in Loop: Header=BB67_27 Depth=2
	s_add_i32 s40, s39, 1
	s_mov_b32 s25, s38
	s_mov_b32 s41, s26
.LBB67_32:                              ;   in Loop: Header=BB67_27 Depth=2
	s_mov_b32 s42, 0
.LBB67_33:                              ;   in Loop: Header=BB67_27 Depth=2
	s_delay_alu instid0(SALU_CYCLE_1)
	s_and_not1_b32 vcc_lo, exec_lo, s42
	s_cbranch_vccnz .LBB67_35
; %bb.34:                               ;   in Loop: Header=BB67_27 Depth=2
	s_add_i32 s41, s26, 1
	s_mov_b32 s40, s39
	s_mov_b32 s25, s38
.LBB67_35:                              ;   in Loop: Header=BB67_27 Depth=2
	s_cmp_le_i32 s41, s3
	s_cselect_b32 s26, -1, 0
	s_cmp_le_i32 s27, s24
	s_cselect_b32 s27, -1, 0
	s_delay_alu instid0(SALU_CYCLE_1) | instskip(NEXT) | instid1(SALU_CYCLE_1)
	s_and_b32 s26, s26, s27
	s_and_b32 vcc_lo, exec_lo, s26
	s_cbranch_vccz .LBB67_37
; %bb.36:                               ;   in Loop: Header=BB67_27 Depth=2
	s_mov_b32 s38, s25
	s_mov_b32 s26, s41
	;; [unrolled: 1-line block ×3, first 2 shown]
	s_branch .LBB67_27
.LBB67_37:                              ;   in Loop: Header=BB67_10 Depth=1
	s_add_u32 s22, s6, s22
	s_addc_u32 s23, s7, s23
	s_waitcnt lgkmcnt(0)
	buffer_gl0_inv
.LBB67_38:                              ;   Parent Loop BB67_10 Depth=1
                                        ; =>  This Inner Loop Header: Depth=2
	global_load_b32 v1, v0, s[22:23] glc
	s_waitcnt vmcnt(0)
	v_cmp_eq_u32_e32 vcc_lo, 0, v1
	s_cbranch_vccnz .LBB67_38
; %bb.39:                               ;   in Loop: Header=BB67_10 Depth=1
	buffer_gl1_inv
	buffer_gl0_inv
	s_and_saveexec_b32 s24, s0
	s_cbranch_execz .LBB67_52
; %bb.40:                               ;   in Loop: Header=BB67_10 Depth=1
	s_mul_i32 s3, s3, s29
	s_delay_alu instid0(SALU_CYCLE_1) | instskip(SKIP_2) | instid1(VALU_DEP_2)
	v_dual_mov_b32 v10, v18 :: v_dual_add_nc_u32 v1, s3, v9
	v_mov_b32_e32 v8, v22
	s_mov_b32 s26, 0
	v_mul_lo_u32 v7, v1, s29
	s_branch .LBB67_42
.LBB67_41:                              ;   in Loop: Header=BB67_42 Depth=2
	s_or_b32 exec_lo, exec_lo, s22
	v_add_nc_u32_e32 v10, 4, v10
	s_waitcnt vmcnt(0)
	ds_store_b128 v8, v[1:4]
	v_add_nc_u32_e32 v8, 64, v8
	v_cmp_le_i32_e32 vcc_lo, s29, v10
	s_or_b32 s26, vcc_lo, s26
	s_delay_alu instid0(SALU_CYCLE_1)
	s_and_not1_b32 exec_lo, exec_lo, s26
	s_cbranch_execz .LBB67_52
.LBB67_42:                              ;   Parent Loop BB67_10 Depth=1
                                        ; =>  This Inner Loop Header: Depth=2
	s_and_b32 vcc_lo, exec_lo, s33
	s_cbranch_vccz .LBB67_46
; %bb.43:                               ;   in Loop: Header=BB67_42 Depth=2
	s_mov_b32 s38, 0
	s_mov_b32 s27, 0
                                        ; implicit-def: $vgpr5
	s_and_saveexec_b32 s22, s1
	s_delay_alu instid0(SALU_CYCLE_1)
	s_xor_b32 s22, exec_lo, s22
; %bb.44:                               ;   in Loop: Header=BB67_42 Depth=2
	v_add_nc_u32_e32 v1, s3, v10
	s_mov_b32 s27, exec_lo
	s_delay_alu instid0(VALU_DEP_1)
	v_mad_u64_u32 v[5:6], null, v1, s29, v[9:10]
; %bb.45:                               ;   in Loop: Header=BB67_42 Depth=2
	s_or_b32 exec_lo, exec_lo, s22
	s_mov_b64 s[22:23], 0
	s_and_b32 vcc_lo, exec_lo, s38
	s_cbranch_vccnz .LBB67_47
	s_branch .LBB67_50
.LBB67_46:                              ;   in Loop: Header=BB67_42 Depth=2
	s_mov_b32 s27, 0
                                        ; implicit-def: $vgpr5
                                        ; implicit-def: $sgpr22_sgpr23
	s_cbranch_execz .LBB67_50
.LBB67_47:                              ;   in Loop: Header=BB67_42 Depth=2
                                        ; implicit-def: $vgpr5
	s_and_saveexec_b32 s22, s1
; %bb.48:                               ;   in Loop: Header=BB67_42 Depth=2
	s_delay_alu instid0(VALU_DEP_1)
	v_add_nc_u32_e32 v5, v7, v10
	s_or_b32 s27, s27, exec_lo
; %bb.49:                               ;   in Loop: Header=BB67_42 Depth=2
	s_or_b32 exec_lo, exec_lo, s22
	s_mov_b64 s[22:23], 0
.LBB67_50:                              ;   in Loop: Header=BB67_42 Depth=2
	s_delay_alu instid0(SALU_CYCLE_1)
	v_dual_mov_b32 v1, s22 :: v_dual_mov_b32 v2, s23
	v_dual_mov_b32 v3, s22 :: v_dual_mov_b32 v4, s23
	s_and_saveexec_b32 s22, s27
	s_cbranch_execz .LBB67_41
; %bb.51:                               ;   in Loop: Header=BB67_42 Depth=2
	v_ashrrev_i32_e32 v6, 31, v5
	s_delay_alu instid0(VALU_DEP_1) | instskip(NEXT) | instid1(VALU_DEP_1)
	v_lshlrev_b64 v[1:2], 4, v[5:6]
	v_add_co_u32 v1, vcc_lo, s18, v1
	s_delay_alu instid0(VALU_DEP_2)
	v_add_co_ci_u32_e32 v2, vcc_lo, s19, v2, vcc_lo
	global_load_b128 v[1:4], v[1:2], off
	s_branch .LBB67_41
.LBB67_52:                              ;   in Loop: Header=BB67_10 Depth=1
	s_or_b32 exec_lo, exec_lo, s24
; %bb.53:                               ;   in Loop: Header=BB67_10 Depth=1
	s_cmp_lt_i32 s25, 2
	s_cbranch_scc1 .LBB67_69
; %bb.54:                               ;   in Loop: Header=BB67_10 Depth=1
	s_add_i32 s3, s25, -2
	s_mov_b32 s22, 0
	s_branch .LBB67_56
.LBB67_55:                              ;   in Loop: Header=BB67_56 Depth=2
	s_or_b32 exec_lo, exec_lo, s23
	s_add_i32 s23, s22, 1
	s_cmp_eq_u32 s22, s3
	s_mov_b32 s22, s23
	s_cbranch_scc1 .LBB67_69
.LBB67_56:                              ;   Parent Loop BB67_10 Depth=1
                                        ; =>  This Loop Header: Depth=2
                                        ;       Child Loop BB67_59 Depth 3
	s_and_saveexec_b32 s23, s0
	s_cbranch_execz .LBB67_55
; %bb.57:                               ;   in Loop: Header=BB67_56 Depth=2
	s_lshl_b32 s24, s22, 2
	v_mov_b32_e32 v35, v18
	v_add_nc_u32_e64 v1, 0x4400, s24
	s_mov_b32 s24, 0
	ds_load_2addr_b32 v[1:2], v1 offset1:32
	s_waitcnt lgkmcnt(0)
	v_add_nc_u32_e32 v31, v2, v23
	v_add_nc_u32_e32 v32, v9, v2
	;; [unrolled: 1-line block ×4, first 2 shown]
	s_branch .LBB67_59
.LBB67_58:                              ;   in Loop: Header=BB67_59 Depth=3
	v_lshlrev_b32_e32 v5, 4, v35
	v_add_nc_u32_e32 v35, 4, v35
	v_add_nc_u32_e32 v33, 4, v33
	;; [unrolled: 1-line block ×3, first 2 shown]
	s_delay_alu instid0(VALU_DEP_4) | instskip(NEXT) | instid1(VALU_DEP_4)
	v_mad_u32_u24 v10, 0x110, v9, v5
	v_cmp_le_i32_e32 vcc_lo, s29, v35
	ds_load_b128 v[5:8], v10 offset:4352
	s_or_b32 s24, vcc_lo, s24
	s_waitcnt lgkmcnt(0)
	v_add_f64 v[3:4], v[3:4], v[5:6]
	v_add_f64 v[5:6], v[1:2], v[7:8]
	ds_store_b128 v10, v[3:6] offset:4352
	s_and_not1_b32 exec_lo, exec_lo, s24
	s_cbranch_execz .LBB67_55
.LBB67_59:                              ;   Parent Loop BB67_10 Depth=1
                                        ;     Parent Loop BB67_56 Depth=2
                                        ; =>    This Inner Loop Header: Depth=3
	v_mov_b32_e32 v14, 0
	s_delay_alu instid0(VALU_DEP_3) | instskip(SKIP_2) | instid1(VALU_DEP_2)
	v_dual_mov_b32 v15, 0 :: v_dual_mov_b32 v10, v33
	v_mov_b32_e32 v12, v32
	s_mov_b32 s25, 0
	v_dual_mov_b32 v17, v15 :: v_dual_mov_b32 v16, v14
	s_and_b32 vcc_lo, exec_lo, s33
	s_cbranch_vccz .LBB67_63
.LBB67_60:                              ;   in Loop: Header=BB67_59 Depth=3
	v_ashrrev_i32_e32 v11, 31, v10
	v_mov_b32_e32 v5, 0
	v_mov_b32_e32 v6, 0
	s_delay_alu instid0(VALU_DEP_3) | instskip(NEXT) | instid1(VALU_DEP_2)
	v_lshlrev_b64 v[1:2], 4, v[10:11]
	v_dual_mov_b32 v8, v6 :: v_dual_mov_b32 v7, v5
	s_delay_alu instid0(VALU_DEP_2) | instskip(NEXT) | instid1(VALU_DEP_3)
	v_add_co_u32 v1, vcc_lo, s18, v1
	v_add_co_ci_u32_e32 v2, vcc_lo, s19, v2, vcc_lo
	global_load_b128 v[1:4], v[1:2], off
	s_and_saveexec_b32 s26, s1
	s_cbranch_execz .LBB67_62
; %bb.61:                               ;   in Loop: Header=BB67_59 Depth=3
	v_ashrrev_i32_e32 v13, 31, v12
	s_delay_alu instid0(VALU_DEP_1) | instskip(NEXT) | instid1(VALU_DEP_1)
	v_lshlrev_b64 v[5:6], 4, v[12:13]
	v_add_co_u32 v5, vcc_lo, s18, v5
	s_delay_alu instid0(VALU_DEP_2)
	v_add_co_ci_u32_e32 v6, vcc_lo, s19, v6, vcc_lo
	global_load_b128 v[5:8], v[5:6], off
.LBB67_62:                              ;   in Loop: Header=BB67_59 Depth=3
	s_or_b32 exec_lo, exec_lo, s26
	s_waitcnt vmcnt(0)
	v_fma_f64 v[36:37], v[1:2], v[5:6], v[16:17]
	v_fma_f64 v[5:6], v[3:4], v[5:6], v[14:15]
	s_delay_alu instid0(VALU_DEP_2) | instskip(NEXT) | instid1(VALU_DEP_2)
	v_fma_f64 v[3:4], v[3:4], v[7:8], v[36:37]
	v_fma_f64 v[1:2], v[1:2], -v[7:8], v[5:6]
	s_branch .LBB67_67
.LBB67_63:                              ;   in Loop: Header=BB67_59 Depth=3
                                        ; implicit-def: $vgpr1_vgpr2
                                        ; implicit-def: $vgpr3_vgpr4
	s_cbranch_execz .LBB67_67
; %bb.64:                               ;   in Loop: Header=BB67_59 Depth=3
	v_add_nc_u32_e32 v1, s25, v34
	v_mov_b32_e32 v5, 0
	v_mov_b32_e32 v6, 0
	s_delay_alu instid0(VALU_DEP_3) | instskip(NEXT) | instid1(VALU_DEP_2)
	v_ashrrev_i32_e32 v2, 31, v1
	v_dual_mov_b32 v8, v6 :: v_dual_mov_b32 v7, v5
	s_delay_alu instid0(VALU_DEP_2) | instskip(NEXT) | instid1(VALU_DEP_1)
	v_lshlrev_b64 v[1:2], 4, v[1:2]
	v_add_co_u32 v1, vcc_lo, s18, v1
	s_delay_alu instid0(VALU_DEP_2)
	v_add_co_ci_u32_e32 v2, vcc_lo, s19, v2, vcc_lo
	global_load_b128 v[1:4], v[1:2], off
	s_and_saveexec_b32 s26, s1
	s_cbranch_execz .LBB67_66
; %bb.65:                               ;   in Loop: Header=BB67_59 Depth=3
	v_add_nc_u32_e32 v5, s25, v31
	s_delay_alu instid0(VALU_DEP_1) | instskip(NEXT) | instid1(VALU_DEP_1)
	v_ashrrev_i32_e32 v6, 31, v5
	v_lshlrev_b64 v[5:6], 4, v[5:6]
	s_delay_alu instid0(VALU_DEP_1) | instskip(NEXT) | instid1(VALU_DEP_2)
	v_add_co_u32 v5, vcc_lo, s18, v5
	v_add_co_ci_u32_e32 v6, vcc_lo, s19, v6, vcc_lo
	global_load_b128 v[5:8], v[5:6], off
.LBB67_66:                              ;   in Loop: Header=BB67_59 Depth=3
	s_or_b32 exec_lo, exec_lo, s26
	s_waitcnt vmcnt(0)
	v_fma_f64 v[16:17], v[1:2], v[5:6], v[16:17]
	v_fma_f64 v[5:6], v[3:4], v[5:6], v[14:15]
	s_delay_alu instid0(VALU_DEP_2) | instskip(NEXT) | instid1(VALU_DEP_2)
	v_fma_f64 v[3:4], v[3:4], v[7:8], v[16:17]
	v_fma_f64 v[1:2], v[1:2], -v[7:8], v[5:6]
.LBB67_67:                              ;   in Loop: Header=BB67_59 Depth=3
	v_add_nc_u32_e32 v12, s29, v12
	v_add_nc_u32_e32 v10, s29, v10
	s_add_i32 s25, s25, 1
	s_delay_alu instid0(SALU_CYCLE_1)
	s_cmp_eq_u32 s29, s25
	s_cbranch_scc1 .LBB67_58
; %bb.68:                               ;   in Loop: Header=BB67_59 Depth=3
	s_delay_alu instid0(VALU_DEP_3)
	v_dual_mov_b32 v15, v2 :: v_dual_mov_b32 v14, v1
	v_dual_mov_b32 v17, v4 :: v_dual_mov_b32 v16, v3
	s_and_b32 vcc_lo, exec_lo, s33
	s_cbranch_vccnz .LBB67_60
	s_branch .LBB67_63
.LBB67_69:                              ;   in Loop: Header=BB67_10 Depth=1
	s_and_not1_b32 vcc_lo, exec_lo, s34
	s_waitcnt lgkmcnt(0)
	buffer_gl0_inv
	s_cbranch_vccnz .LBB67_82
; %bb.70:                               ;   in Loop: Header=BB67_10 Depth=1
	v_mov_b32_e32 v14, v28
	s_mov_b32 s22, 0
	s_mov_b32 s23, 0
	s_branch .LBB67_72
.LBB67_71:                              ;   in Loop: Header=BB67_72 Depth=2
	s_or_b32 exec_lo, exec_lo, s3
	v_add_nc_u32_e32 v14, 16, v14
	s_add_i32 s23, s23, 1
	s_addk_i32 s22, 0x110
	s_cmp_eq_u32 s23, s29
	s_waitcnt lgkmcnt(0)
	buffer_gl0_inv
	s_cbranch_scc1 .LBB67_82
.LBB67_72:                              ;   Parent Loop BB67_10 Depth=1
                                        ; =>  This Loop Header: Depth=2
                                        ;       Child Loop BB67_78 Depth 3
                                        ;       Child Loop BB67_81 Depth 3
	s_lshl_b32 s24, s23, 4
	s_mul_i32 s3, s23, 0x110
	v_mad_u32_u24 v15, 0x110, v9, s24
	s_add_i32 s3, s24, s3
	s_delay_alu instid0(SALU_CYCLE_1)
	v_mov_b32_e32 v1, s3
	ds_load_b128 v[5:8], v1
	ds_load_b128 v[1:4], v15 offset:8704
	s_waitcnt lgkmcnt(1)
	v_cmp_neq_f64_e32 vcc_lo, 0, v[5:6]
	v_cmp_neq_f64_e64 s3, 0, v[7:8]
	s_delay_alu instid0(VALU_DEP_1) | instskip(SKIP_4) | instid1(SALU_CYCLE_1)
	s_or_b32 vcc_lo, vcc_lo, s3
	v_cndmask_b32_e32 v10, 0, v5, vcc_lo
	v_cndmask_b32_e32 v11, 0x3ff00000, v6, vcc_lo
	v_dual_cndmask_b32 v13, 0, v8 :: v_dual_cndmask_b32 v12, 0, v7
	s_or_b32 s3, vcc_lo, s2
	s_xor_b32 s24, s3, -1
	s_delay_alu instid0(SALU_CYCLE_1)
	s_and_saveexec_b32 s3, s24
	s_cbranch_execz .LBB67_76
; %bb.73:                               ;   in Loop: Header=BB67_72 Depth=2
	v_mbcnt_lo_u32_b32 v5, exec_lo, 0
	s_mov_b32 s24, exec_lo
	s_delay_alu instid0(VALU_DEP_1)
	v_cmpx_eq_u32_e32 0, v5
	s_cbranch_execz .LBB67_75
; %bb.74:                               ;   in Loop: Header=BB67_72 Depth=2
	v_mov_b32_e32 v5, s37
	global_atomic_min_i32 v0, v5, s[10:11]
.LBB67_75:                              ;   in Loop: Header=BB67_72 Depth=2
	s_or_b32 exec_lo, exec_lo, s24
	v_mov_b32_e32 v10, 0
	v_dual_mov_b32 v11, 0x3ff00000 :: v_dual_mov_b32 v12, 0
	v_mov_b32_e32 v13, 0
.LBB67_76:                              ;   in Loop: Header=BB67_72 Depth=2
	s_or_b32 exec_lo, exec_lo, s3
	v_lshl_add_u32 v5, s23, 4, v19
	s_cmp_eq_u32 s23, 0
	ds_load_b128 v[5:8], v5 offset:4352
	s_cbranch_scc1 .LBB67_79
; %bb.77:                               ;   in Loop: Header=BB67_72 Depth=2
	v_mov_b32_e32 v16, v26
	s_mov_b32 s3, 0
	s_mov_b32 s24, s22
	.p2align	6
.LBB67_78:                              ;   Parent Loop BB67_10 Depth=1
                                        ;     Parent Loop BB67_72 Depth=2
                                        ; =>    This Inner Loop Header: Depth=3
	s_delay_alu instid0(SALU_CYCLE_1)
	v_mov_b32_e32 v17, s24
	s_add_i32 s3, s3, 1
	s_add_i32 s24, s24, 16
	s_cmp_ge_u32 s3, s23
	ds_load_b128 v[31:34], v16
	ds_load_b128 v[35:38], v17
	v_add_nc_u32_e32 v16, 16, v16
	s_waitcnt lgkmcnt(0)
	v_fma_f64 v[5:6], v[35:36], v[31:32], v[5:6]
	v_fma_f64 v[7:8], v[37:38], v[31:32], v[7:8]
	s_delay_alu instid0(VALU_DEP_2) | instskip(NEXT) | instid1(VALU_DEP_2)
	v_fma_f64 v[5:6], v[37:38], v[33:34], v[5:6]
	v_fma_f64 v[7:8], v[35:36], -v[33:34], v[7:8]
	s_cbranch_scc0 .LBB67_78
.LBB67_79:                              ;   in Loop: Header=BB67_72 Depth=2
	v_mul_f64 v[16:17], v[12:13], v[12:13]
	s_waitcnt lgkmcnt(0)
	s_delay_alu instid0(VALU_DEP_2) | instskip(NEXT) | instid1(VALU_DEP_4)
	v_add_f64 v[3:4], v[3:4], -v[7:8]
	v_add_f64 v[1:2], v[1:2], -v[5:6]
	v_add_nc_u32_e32 v15, 0x2200, v15
	s_delay_alu instid0(VALU_DEP_4) | instskip(NEXT) | instid1(VALU_DEP_4)
	v_fma_f64 v[16:17], v[10:11], v[10:11], v[16:17]
	v_mul_f64 v[5:6], v[12:13], v[3:4]
	s_delay_alu instid0(VALU_DEP_4) | instskip(NEXT) | instid1(VALU_DEP_3)
	v_mul_f64 v[12:13], v[12:13], -v[1:2]
	v_div_scale_f64 v[31:32], null, v[16:17], v[16:17], 1.0
	v_div_scale_f64 v[37:38], vcc_lo, 1.0, v[16:17], 1.0
	s_delay_alu instid0(VALU_DEP_4) | instskip(NEXT) | instid1(VALU_DEP_4)
	v_fma_f64 v[1:2], v[1:2], v[10:11], v[5:6]
	v_fma_f64 v[3:4], v[3:4], v[10:11], v[12:13]
	s_delay_alu instid0(VALU_DEP_4) | instskip(SKIP_2) | instid1(VALU_DEP_1)
	v_rcp_f64_e32 v[33:34], v[31:32]
	s_waitcnt_depctr 0xfff
	v_fma_f64 v[35:36], -v[31:32], v[33:34], 1.0
	v_fma_f64 v[33:34], v[33:34], v[35:36], v[33:34]
	s_delay_alu instid0(VALU_DEP_1) | instskip(NEXT) | instid1(VALU_DEP_1)
	v_fma_f64 v[35:36], -v[31:32], v[33:34], 1.0
	v_fma_f64 v[33:34], v[33:34], v[35:36], v[33:34]
	s_delay_alu instid0(VALU_DEP_1) | instskip(NEXT) | instid1(VALU_DEP_1)
	v_mul_f64 v[35:36], v[37:38], v[33:34]
	v_fma_f64 v[7:8], -v[31:32], v[35:36], v[37:38]
	s_delay_alu instid0(VALU_DEP_1) | instskip(NEXT) | instid1(VALU_DEP_1)
	v_div_fmas_f64 v[7:8], v[7:8], v[33:34], v[35:36]
	v_div_fixup_f64 v[5:6], v[7:8], v[16:17], 1.0
	s_delay_alu instid0(VALU_DEP_1)
	v_mul_f64 v[1:2], v[5:6], v[1:2]
	v_mul_f64 v[3:4], v[5:6], v[3:4]
	ds_store_b128 v15, v[1:4]
	s_waitcnt lgkmcnt(0)
	s_waitcnt_vscnt null, 0x0
	buffer_gl0_inv
	s_and_saveexec_b32 s3, s0
	s_cbranch_execz .LBB67_71
; %bb.80:                               ;   in Loop: Header=BB67_72 Depth=2
	v_dual_mov_b32 v5, v29 :: v_dual_mov_b32 v6, v14
	v_mov_b32_e32 v7, v18
	s_mov_b32 s24, 0
	.p2align	6
.LBB67_81:                              ;   Parent Loop BB67_10 Depth=1
                                        ;     Parent Loop BB67_72 Depth=2
                                        ; =>    This Inner Loop Header: Depth=3
	ds_load_b128 v[10:13], v6
	ds_load_b128 v[31:34], v5
	v_add_nc_u32_e32 v7, 4, v7
	v_add_nc_u32_e32 v6, 0x440, v6
	s_delay_alu instid0(VALU_DEP_2) | instskip(SKIP_4) | instid1(VALU_DEP_2)
	v_cmp_le_i32_e32 vcc_lo, s29, v7
	s_or_b32 s24, vcc_lo, s24
	s_waitcnt lgkmcnt(0)
	v_fma_f64 v[15:16], v[1:2], v[10:11], v[31:32]
	v_fma_f64 v[31:32], v[3:4], v[10:11], v[33:34]
	;; [unrolled: 1-line block ×3, first 2 shown]
	s_delay_alu instid0(VALU_DEP_2)
	v_fma_f64 v[12:13], v[1:2], -v[12:13], v[31:32]
	ds_store_b128 v5, v[10:13]
	v_add_nc_u32_e32 v5, 64, v5
	s_and_not1_b32 exec_lo, exec_lo, s24
	s_cbranch_execnz .LBB67_81
	s_branch .LBB67_71
.LBB67_82:                              ;   in Loop: Header=BB67_10 Depth=1
	s_and_saveexec_b32 s3, s0
	s_cbranch_execz .LBB67_9
; %bb.83:                               ;   in Loop: Header=BB67_10 Depth=1
	v_mov_b32_e32 v3, v30
	v_mov_b32_e32 v4, v18
	s_mov_b32 s22, 0
	s_set_inst_prefetch_distance 0x1
	s_branch .LBB67_86
	.p2align	6
.LBB67_84:                              ;   in Loop: Header=BB67_86 Depth=2
	ds_load_2addr_b64 v[5:8], v3 offset1:1
	v_ashrrev_i32_e32 v2, 31, v1
	s_delay_alu instid0(VALU_DEP_1) | instskip(NEXT) | instid1(VALU_DEP_1)
	v_lshlrev_b64 v[1:2], 4, v[1:2]
	v_add_co_u32 v1, vcc_lo, s18, v1
	s_delay_alu instid0(VALU_DEP_2)
	v_add_co_ci_u32_e32 v2, vcc_lo, s19, v2, vcc_lo
	s_waitcnt lgkmcnt(0)
	global_store_b128 v[1:2], v[5:8], off
.LBB67_85:                              ;   in Loop: Header=BB67_86 Depth=2
	s_or_b32 exec_lo, exec_lo, s23
	v_add_nc_u32_e32 v4, 4, v4
	v_add_nc_u32_e32 v3, 64, v3
	s_delay_alu instid0(VALU_DEP_2) | instskip(SKIP_1) | instid1(SALU_CYCLE_1)
	v_cmp_le_i32_e32 vcc_lo, s29, v4
	s_or_b32 s22, vcc_lo, s22
	s_and_not1_b32 exec_lo, exec_lo, s22
	s_cbranch_execz .LBB67_9
.LBB67_86:                              ;   Parent Loop BB67_10 Depth=1
                                        ; =>  This Inner Loop Header: Depth=2
	s_and_saveexec_b32 s23, s1
	s_cbranch_execz .LBB67_85
; %bb.87:                               ;   in Loop: Header=BB67_86 Depth=2
	s_and_b32 vcc_lo, exec_lo, s33
	s_cbranch_vccz .LBB67_89
; %bb.88:                               ;   in Loop: Header=BB67_86 Depth=2
	v_add_nc_u32_e32 v5, s21, v4
	s_delay_alu instid0(VALU_DEP_1)
	v_mad_u64_u32 v[1:2], null, v5, s29, v[9:10]
	s_cbranch_execnz .LBB67_84
	s_branch .LBB67_90
.LBB67_89:                              ;   in Loop: Header=BB67_86 Depth=2
                                        ; implicit-def: $vgpr1
.LBB67_90:                              ;   in Loop: Header=BB67_86 Depth=2
	v_add_nc_u32_e32 v1, v27, v4
	s_branch .LBB67_84
.LBB67_91:                              ;   in Loop: Header=BB67_10 Depth=1
                                        ; implicit-def: $sgpr20
                                        ; implicit-def: $vgpr27
	s_cbranch_execz .LBB67_10
.LBB67_92:
	v_cmp_gt_i32_e64 s0, s29, v18
	s_delay_alu instid0(VALU_DEP_1)
	s_and_saveexec_b32 s4, s0
	s_cbranch_execz .LBB67_105
; %bb.93:
	s_mul_i32 s5, s28, s29
	v_cmp_gt_i32_e64 s1, s29, v9
	v_add_nc_u32_e32 v0, s5, v9
	v_add3_u32 v7, v19, v20, 0x2200
	v_mov_b32_e32 v8, v18
	s_cmp_lg_u32 s30, 0
	s_mov_b32 s12, 0
	v_mul_lo_u32 v6, v0, s29
	s_cselect_b32 s13, -1, 0
	s_branch .LBB67_95
.LBB67_94:                              ;   in Loop: Header=BB67_95 Depth=1
	s_or_b32 exec_lo, exec_lo, s2
	v_add_nc_u32_e32 v8, 4, v8
	s_waitcnt vmcnt(0)
	ds_store_b128 v7, v[0:3]
	v_add_nc_u32_e32 v7, 64, v7
	v_cmp_le_i32_e32 vcc_lo, s29, v8
	s_or_b32 s12, vcc_lo, s12
	s_delay_alu instid0(SALU_CYCLE_1)
	s_and_not1_b32 exec_lo, exec_lo, s12
	s_cbranch_execz .LBB67_105
.LBB67_95:                              ; =>This Inner Loop Header: Depth=1
	s_and_b32 vcc_lo, exec_lo, s13
	s_cbranch_vccz .LBB67_99
; %bb.96:                               ;   in Loop: Header=BB67_95 Depth=1
	s_mov_b32 s15, 0
	s_mov_b32 s14, 0
                                        ; implicit-def: $vgpr4
	s_and_saveexec_b32 s2, s1
	s_delay_alu instid0(SALU_CYCLE_1)
	s_xor_b32 s2, exec_lo, s2
; %bb.97:                               ;   in Loop: Header=BB67_95 Depth=1
	v_add_nc_u32_e32 v0, s5, v8
	s_mov_b32 s14, exec_lo
	s_delay_alu instid0(VALU_DEP_1)
	v_mad_u64_u32 v[4:5], null, v0, s29, v[9:10]
; %bb.98:                               ;   in Loop: Header=BB67_95 Depth=1
	s_or_b32 exec_lo, exec_lo, s2
	s_mov_b64 s[2:3], 0
	s_and_b32 vcc_lo, exec_lo, s15
	s_cbranch_vccnz .LBB67_100
	s_branch .LBB67_103
.LBB67_99:                              ;   in Loop: Header=BB67_95 Depth=1
	s_mov_b32 s14, 0
                                        ; implicit-def: $vgpr4
                                        ; implicit-def: $sgpr2_sgpr3
	s_cbranch_execz .LBB67_103
.LBB67_100:                             ;   in Loop: Header=BB67_95 Depth=1
                                        ; implicit-def: $vgpr4
	s_and_saveexec_b32 s2, s1
; %bb.101:                              ;   in Loop: Header=BB67_95 Depth=1
	v_add_nc_u32_e32 v4, v6, v8
	s_or_b32 s14, s14, exec_lo
; %bb.102:                              ;   in Loop: Header=BB67_95 Depth=1
	s_or_b32 exec_lo, exec_lo, s2
	s_mov_b64 s[2:3], 0
.LBB67_103:                             ;   in Loop: Header=BB67_95 Depth=1
	s_delay_alu instid0(SALU_CYCLE_1)
	v_dual_mov_b32 v0, s2 :: v_dual_mov_b32 v1, s3
	v_dual_mov_b32 v2, s2 :: v_dual_mov_b32 v3, s3
	s_and_saveexec_b32 s2, s14
	s_cbranch_execz .LBB67_94
; %bb.104:                              ;   in Loop: Header=BB67_95 Depth=1
	v_ashrrev_i32_e32 v5, 31, v4
	s_delay_alu instid0(VALU_DEP_1) | instskip(NEXT) | instid1(VALU_DEP_1)
	v_lshlrev_b64 v[0:1], 4, v[4:5]
	v_add_co_u32 v0, vcc_lo, s18, v0
	s_delay_alu instid0(VALU_DEP_2)
	v_add_co_ci_u32_e32 v1, vcc_lo, s19, v1, vcc_lo
	global_load_b128 v[0:3], v[0:1], off
	s_branch .LBB67_94
.LBB67_105:
	s_or_b32 exec_lo, exec_lo, s4
; %bb.106:
	s_cmp_lt_i32 s29, 1
	s_waitcnt lgkmcnt(0)
	buffer_gl0_inv
	s_cbranch_scc1 .LBB67_125
; %bb.107:
	v_or_b32_e32 v0, v18, v9
	v_mad_u32_u24 v1, 0x110, v9, v21
	s_movk_i32 s2, 0x2200
	v_add3_u32 v13, v19, v20, 0x3300
	v_mad_u32_u24 v12, 0x110, v18, s2
	v_cmp_ne_u32_e64 s1, 0, v0
	v_add_nc_u32_e32 v10, 0x2200, v1
	v_dual_mov_b32 v2, 0 :: v_dual_add_nc_u32 v11, 0x3300, v1
	s_mov_b32 s3, 0
	s_add_i32 s4, s16, s17
	s_branch .LBB67_109
.LBB67_108:                             ;   in Loop: Header=BB67_109 Depth=1
	s_or_b32 exec_lo, exec_lo, s2
	v_add_nc_u32_e32 v12, 16, v12
	s_add_i32 s3, s3, 1
	s_waitcnt lgkmcnt(0)
	s_waitcnt_vscnt null, 0x0
	buffer_gl0_inv
	s_cmp_eq_u32 s3, s29
	s_cbranch_scc1 .LBB67_125
.LBB67_109:                             ; =>This Loop Header: Depth=1
                                        ;     Child Loop BB67_124 Depth 2
	s_mov_b32 s5, exec_lo
	v_cmpx_eq_u32_e64 s3, v9
	s_cbranch_execz .LBB67_117
; %bb.110:                              ;   in Loop: Header=BB67_109 Depth=1
	ds_load_b128 v[3:6], v11
	ds_load_b128 v[14:17], v10
	s_waitcnt lgkmcnt(0)
	v_add_f64 v[0:1], v[14:15], -v[3:4]
	v_add_f64 v[7:8], v[16:17], -v[5:6]
                                        ; implicit-def: $vgpr5_vgpr6
	s_delay_alu instid0(VALU_DEP_2) | instskip(NEXT) | instid1(VALU_DEP_2)
	v_cmp_gt_f64_e32 vcc_lo, 0, v[0:1]
	v_cmp_gt_f64_e64 s2, 0, v[7:8]
	v_xor_b32_e32 v3, 0x80000000, v1
	v_xor_b32_e32 v4, 0x80000000, v8
	s_delay_alu instid0(VALU_DEP_2) | instskip(NEXT) | instid1(VALU_DEP_2)
	v_dual_cndmask_b32 v1, v1, v3 :: v_dual_cndmask_b32 v0, v0, v0
	v_cndmask_b32_e64 v4, v8, v4, s2
	v_cndmask_b32_e64 v3, v7, v7, s2
	s_mov_b32 s2, exec_lo
	s_delay_alu instid0(VALU_DEP_1)
	v_cmpx_ngt_f64_e32 v[0:1], v[3:4]
	s_xor_b32 s2, exec_lo, s2
	s_cbranch_execz .LBB67_114
; %bb.111:                              ;   in Loop: Header=BB67_109 Depth=1
	v_mov_b32_e32 v5, 0
	v_mov_b32_e32 v6, 0
	s_mov_b32 s12, exec_lo
	v_cmpx_neq_f64_e32 0, v[7:8]
	s_cbranch_execz .LBB67_113
; %bb.112:                              ;   in Loop: Header=BB67_109 Depth=1
	v_div_scale_f64 v[5:6], null, v[3:4], v[3:4], v[0:1]
	v_div_scale_f64 v[16:17], vcc_lo, v[0:1], v[3:4], v[0:1]
	s_delay_alu instid0(VALU_DEP_2) | instskip(SKIP_2) | instid1(VALU_DEP_1)
	v_rcp_f64_e32 v[7:8], v[5:6]
	s_waitcnt_depctr 0xfff
	v_fma_f64 v[14:15], -v[5:6], v[7:8], 1.0
	v_fma_f64 v[7:8], v[7:8], v[14:15], v[7:8]
	s_delay_alu instid0(VALU_DEP_1) | instskip(NEXT) | instid1(VALU_DEP_1)
	v_fma_f64 v[14:15], -v[5:6], v[7:8], 1.0
	v_fma_f64 v[7:8], v[7:8], v[14:15], v[7:8]
	s_delay_alu instid0(VALU_DEP_1) | instskip(NEXT) | instid1(VALU_DEP_1)
	v_mul_f64 v[14:15], v[16:17], v[7:8]
	v_fma_f64 v[5:6], -v[5:6], v[14:15], v[16:17]
	s_delay_alu instid0(VALU_DEP_1) | instskip(NEXT) | instid1(VALU_DEP_1)
	v_div_fmas_f64 v[5:6], v[5:6], v[7:8], v[14:15]
	v_div_fixup_f64 v[0:1], v[5:6], v[3:4], v[0:1]
	s_delay_alu instid0(VALU_DEP_1) | instskip(NEXT) | instid1(VALU_DEP_1)
	v_fma_f64 v[0:1], v[0:1], v[0:1], 1.0
	v_cmp_gt_f64_e32 vcc_lo, 0x10000000, v[0:1]
	v_cndmask_b32_e64 v5, 0, 1, vcc_lo
	s_delay_alu instid0(VALU_DEP_1) | instskip(NEXT) | instid1(VALU_DEP_1)
	v_lshlrev_b32_e32 v5, 8, v5
	v_ldexp_f64 v[0:1], v[0:1], v5
	s_delay_alu instid0(VALU_DEP_1) | instskip(SKIP_3) | instid1(VALU_DEP_1)
	v_rsq_f64_e32 v[5:6], v[0:1]
	s_waitcnt_depctr 0xfff
	v_mul_f64 v[7:8], v[0:1], v[5:6]
	v_mul_f64 v[5:6], v[5:6], 0.5
	v_fma_f64 v[14:15], -v[5:6], v[7:8], 0.5
	s_delay_alu instid0(VALU_DEP_1) | instskip(SKIP_1) | instid1(VALU_DEP_2)
	v_fma_f64 v[7:8], v[7:8], v[14:15], v[7:8]
	v_fma_f64 v[5:6], v[5:6], v[14:15], v[5:6]
	v_fma_f64 v[14:15], -v[7:8], v[7:8], v[0:1]
	s_delay_alu instid0(VALU_DEP_1) | instskip(NEXT) | instid1(VALU_DEP_1)
	v_fma_f64 v[7:8], v[14:15], v[5:6], v[7:8]
	v_fma_f64 v[14:15], -v[7:8], v[7:8], v[0:1]
	s_delay_alu instid0(VALU_DEP_1) | instskip(SKIP_2) | instid1(VALU_DEP_2)
	v_fma_f64 v[5:6], v[14:15], v[5:6], v[7:8]
	v_cndmask_b32_e64 v7, 0, 0xffffff80, vcc_lo
	v_cmp_class_f64_e64 vcc_lo, v[0:1], 0x260
	v_ldexp_f64 v[5:6], v[5:6], v7
	s_delay_alu instid0(VALU_DEP_1) | instskip(NEXT) | instid1(VALU_DEP_1)
	v_dual_cndmask_b32 v1, v6, v1 :: v_dual_cndmask_b32 v0, v5, v0
	v_mul_f64 v[5:6], v[3:4], v[0:1]
.LBB67_113:                             ;   in Loop: Header=BB67_109 Depth=1
	s_or_b32 exec_lo, exec_lo, s12
                                        ; implicit-def: $vgpr0_vgpr1
                                        ; implicit-def: $vgpr3_vgpr4
.LBB67_114:                             ;   in Loop: Header=BB67_109 Depth=1
	s_and_not1_saveexec_b32 s2, s2
	s_cbranch_execz .LBB67_116
; %bb.115:                              ;   in Loop: Header=BB67_109 Depth=1
	v_div_scale_f64 v[5:6], null, v[0:1], v[0:1], v[3:4]
	v_div_scale_f64 v[16:17], vcc_lo, v[3:4], v[0:1], v[3:4]
	s_delay_alu instid0(VALU_DEP_2) | instskip(SKIP_2) | instid1(VALU_DEP_1)
	v_rcp_f64_e32 v[7:8], v[5:6]
	s_waitcnt_depctr 0xfff
	v_fma_f64 v[14:15], -v[5:6], v[7:8], 1.0
	v_fma_f64 v[7:8], v[7:8], v[14:15], v[7:8]
	s_delay_alu instid0(VALU_DEP_1) | instskip(NEXT) | instid1(VALU_DEP_1)
	v_fma_f64 v[14:15], -v[5:6], v[7:8], 1.0
	v_fma_f64 v[7:8], v[7:8], v[14:15], v[7:8]
	s_delay_alu instid0(VALU_DEP_1) | instskip(NEXT) | instid1(VALU_DEP_1)
	v_mul_f64 v[14:15], v[16:17], v[7:8]
	v_fma_f64 v[5:6], -v[5:6], v[14:15], v[16:17]
	s_delay_alu instid0(VALU_DEP_1) | instskip(NEXT) | instid1(VALU_DEP_1)
	v_div_fmas_f64 v[5:6], v[5:6], v[7:8], v[14:15]
	v_div_fixup_f64 v[3:4], v[5:6], v[0:1], v[3:4]
	s_delay_alu instid0(VALU_DEP_1) | instskip(NEXT) | instid1(VALU_DEP_1)
	v_fma_f64 v[3:4], v[3:4], v[3:4], 1.0
	v_cmp_gt_f64_e32 vcc_lo, 0x10000000, v[3:4]
	v_cndmask_b32_e64 v5, 0, 1, vcc_lo
	s_delay_alu instid0(VALU_DEP_1) | instskip(NEXT) | instid1(VALU_DEP_1)
	v_lshlrev_b32_e32 v5, 8, v5
	v_ldexp_f64 v[3:4], v[3:4], v5
	s_delay_alu instid0(VALU_DEP_1) | instskip(SKIP_3) | instid1(VALU_DEP_1)
	v_rsq_f64_e32 v[5:6], v[3:4]
	s_waitcnt_depctr 0xfff
	v_mul_f64 v[7:8], v[3:4], v[5:6]
	v_mul_f64 v[5:6], v[5:6], 0.5
	v_fma_f64 v[14:15], -v[5:6], v[7:8], 0.5
	s_delay_alu instid0(VALU_DEP_1) | instskip(SKIP_1) | instid1(VALU_DEP_2)
	v_fma_f64 v[7:8], v[7:8], v[14:15], v[7:8]
	v_fma_f64 v[5:6], v[5:6], v[14:15], v[5:6]
	v_fma_f64 v[14:15], -v[7:8], v[7:8], v[3:4]
	s_delay_alu instid0(VALU_DEP_1) | instskip(NEXT) | instid1(VALU_DEP_1)
	v_fma_f64 v[7:8], v[14:15], v[5:6], v[7:8]
	v_fma_f64 v[14:15], -v[7:8], v[7:8], v[3:4]
	s_delay_alu instid0(VALU_DEP_1) | instskip(SKIP_2) | instid1(VALU_DEP_2)
	v_fma_f64 v[5:6], v[14:15], v[5:6], v[7:8]
	v_cndmask_b32_e64 v7, 0, 0xffffff80, vcc_lo
	v_cmp_class_f64_e64 vcc_lo, v[3:4], 0x260
	v_ldexp_f64 v[5:6], v[5:6], v7
	s_delay_alu instid0(VALU_DEP_1) | instskip(NEXT) | instid1(VALU_DEP_1)
	v_dual_cndmask_b32 v4, v6, v4 :: v_dual_cndmask_b32 v3, v5, v3
	v_mul_f64 v[5:6], v[0:1], v[3:4]
.LBB67_116:                             ;   in Loop: Header=BB67_109 Depth=1
	s_or_b32 exec_lo, exec_lo, s2
	s_delay_alu instid0(VALU_DEP_1) | instskip(SKIP_1) | instid1(VALU_DEP_1)
	v_cmp_gt_f64_e32 vcc_lo, 0x10000000, v[5:6]
	v_cndmask_b32_e64 v0, 0, 1, vcc_lo
	v_lshlrev_b32_e32 v0, 8, v0
	s_delay_alu instid0(VALU_DEP_1) | instskip(NEXT) | instid1(VALU_DEP_1)
	v_ldexp_f64 v[0:1], v[5:6], v0
	v_rsq_f64_e32 v[3:4], v[0:1]
	s_waitcnt_depctr 0xfff
	v_mul_f64 v[5:6], v[0:1], v[3:4]
	v_mul_f64 v[3:4], v[3:4], 0.5
	s_delay_alu instid0(VALU_DEP_1) | instskip(NEXT) | instid1(VALU_DEP_1)
	v_fma_f64 v[7:8], -v[3:4], v[5:6], 0.5
	v_fma_f64 v[5:6], v[5:6], v[7:8], v[5:6]
	v_fma_f64 v[3:4], v[3:4], v[7:8], v[3:4]
	s_delay_alu instid0(VALU_DEP_2) | instskip(NEXT) | instid1(VALU_DEP_1)
	v_fma_f64 v[7:8], -v[5:6], v[5:6], v[0:1]
	v_fma_f64 v[5:6], v[7:8], v[3:4], v[5:6]
	s_delay_alu instid0(VALU_DEP_1) | instskip(NEXT) | instid1(VALU_DEP_1)
	v_fma_f64 v[7:8], -v[5:6], v[5:6], v[0:1]
	v_fma_f64 v[3:4], v[7:8], v[3:4], v[5:6]
	v_cndmask_b32_e64 v5, 0, 0xffffff80, vcc_lo
	v_cmp_class_f64_e64 vcc_lo, v[0:1], 0x260
	s_delay_alu instid0(VALU_DEP_2) | instskip(NEXT) | instid1(VALU_DEP_1)
	v_ldexp_f64 v[3:4], v[3:4], v5
	v_dual_cndmask_b32 v1, v4, v1 :: v_dual_cndmask_b32 v0, v3, v0
	v_mov_b32_e32 v3, v2
	ds_store_b128 v10, v[0:3]
.LBB67_117:                             ;   in Loop: Header=BB67_109 Depth=1
	s_or_b32 exec_lo, exec_lo, s5
	s_lshl_b32 s5, s3, 4
	s_mul_i32 s2, s3, 0x110
	s_waitcnt lgkmcnt(0)
	buffer_gl0_inv
	s_add_i32 s2, s2, s5
	v_mad_u32_u24 v14, 0x110, v9, s5
	v_mov_b32_e32 v0, s2
	ds_load_b128 v[3:6], v14 offset:8704
	ds_load_b128 v[21:24], v0 offset:8704
	s_waitcnt lgkmcnt(0)
	v_cmp_neq_f64_e32 vcc_lo, 0, v[21:22]
	v_cmp_neq_f64_e64 s2, 0, v[23:24]
	s_delay_alu instid0(VALU_DEP_1) | instskip(SKIP_4) | instid1(SALU_CYCLE_1)
	s_or_b32 vcc_lo, vcc_lo, s2
	v_dual_cndmask_b32 v1, 0, v24 :: v_dual_cndmask_b32 v0, 0, v23
	v_cndmask_b32_e32 v7, 0, v21, vcc_lo
	v_cndmask_b32_e32 v8, 0x3ff00000, v22, vcc_lo
	s_or_b32 s2, vcc_lo, s1
	s_xor_b32 s5, s2, -1
	s_delay_alu instid0(SALU_CYCLE_1)
	s_and_saveexec_b32 s2, s5
	s_cbranch_execz .LBB67_121
; %bb.118:                              ;   in Loop: Header=BB67_109 Depth=1
	v_mbcnt_lo_u32_b32 v0, exec_lo, 0
	s_mov_b32 s5, exec_lo
	s_delay_alu instid0(VALU_DEP_1)
	v_cmpx_eq_u32_e32 0, v0
	s_cbranch_execz .LBB67_120
; %bb.119:                              ;   in Loop: Header=BB67_109 Depth=1
	v_mov_b32_e32 v0, s4
	global_atomic_min_i32 v2, v0, s[10:11]
.LBB67_120:                             ;   in Loop: Header=BB67_109 Depth=1
	s_or_b32 exec_lo, exec_lo, s5
	v_dual_mov_b32 v0, 0 :: v_dual_mov_b32 v7, 0
	v_dual_mov_b32 v1, 0 :: v_dual_mov_b32 v8, 0x3ff00000
.LBB67_121:                             ;   in Loop: Header=BB67_109 Depth=1
	s_or_b32 exec_lo, exec_lo, s2
	s_delay_alu instid0(SALU_CYCLE_1)
	s_mov_b32 s2, exec_lo
	v_cmpx_lt_u32_e64 s3, v9
	s_cbranch_execz .LBB67_108
; %bb.122:                              ;   in Loop: Header=BB67_109 Depth=1
	v_mul_f64 v[15:16], v[0:1], v[0:1]
	v_lshl_add_u32 v17, s3, 4, v19
	s_delay_alu instid0(VALU_DEP_2) | instskip(NEXT) | instid1(VALU_DEP_1)
	v_fma_f64 v[15:16], v[7:8], v[7:8], v[15:16]
	v_div_scale_f64 v[25:26], null, v[15:16], v[15:16], 1.0
	v_div_scale_f64 v[27:28], vcc_lo, 1.0, v[15:16], 1.0
	s_delay_alu instid0(VALU_DEP_2) | instskip(SKIP_2) | instid1(VALU_DEP_1)
	v_rcp_f64_e32 v[21:22], v[25:26]
	s_waitcnt_depctr 0xfff
	v_fma_f64 v[23:24], -v[25:26], v[21:22], 1.0
	v_fma_f64 v[21:22], v[21:22], v[23:24], v[21:22]
	s_delay_alu instid0(VALU_DEP_1) | instskip(NEXT) | instid1(VALU_DEP_1)
	v_fma_f64 v[23:24], -v[25:26], v[21:22], 1.0
	v_fma_f64 v[29:30], v[21:22], v[23:24], v[21:22]
	ds_load_b128 v[21:24], v17 offset:13056
	s_waitcnt lgkmcnt(0)
	v_add_f64 v[5:6], v[5:6], -v[23:24]
	v_add_f64 v[3:4], v[3:4], -v[21:22]
	v_mul_f64 v[31:32], v[27:28], v[29:30]
	s_delay_alu instid0(VALU_DEP_3) | instskip(NEXT) | instid1(VALU_DEP_3)
	v_mul_f64 v[21:22], v[0:1], v[5:6]
	v_mul_f64 v[0:1], v[0:1], -v[3:4]
	s_delay_alu instid0(VALU_DEP_3) | instskip(NEXT) | instid1(VALU_DEP_3)
	v_fma_f64 v[23:24], -v[25:26], v[31:32], v[27:28]
	v_fma_f64 v[3:4], v[3:4], v[7:8], v[21:22]
	s_delay_alu instid0(VALU_DEP_3) | instskip(NEXT) | instid1(VALU_DEP_3)
	v_fma_f64 v[0:1], v[5:6], v[7:8], v[0:1]
	v_div_fmas_f64 v[23:24], v[23:24], v[29:30], v[31:32]
	s_delay_alu instid0(VALU_DEP_1) | instskip(NEXT) | instid1(VALU_DEP_1)
	v_div_fixup_f64 v[15:16], v[23:24], v[15:16], 1.0
	v_mul_f64 v[3:4], v[15:16], v[3:4]
	s_delay_alu instid0(VALU_DEP_4)
	v_mul_f64 v[5:6], v[15:16], v[0:1]
	v_add_nc_u32_e32 v0, 0x2200, v14
	ds_store_b128 v0, v[3:6]
	s_waitcnt lgkmcnt(0)
	s_waitcnt_vscnt null, 0x0
	buffer_gl0_inv
	s_and_b32 exec_lo, exec_lo, s0
	s_cbranch_execz .LBB67_108
; %bb.123:                              ;   in Loop: Header=BB67_109 Depth=1
	v_dual_mov_b32 v0, v13 :: v_dual_mov_b32 v1, v12
	v_mov_b32_e32 v7, v18
	s_mov_b32 s5, 0
	.p2align	6
.LBB67_124:                             ;   Parent Loop BB67_109 Depth=1
                                        ; =>  This Inner Loop Header: Depth=2
	ds_load_b128 v[14:17], v1
	ds_load_b128 v[21:24], v0
	v_add_nc_u32_e32 v7, 4, v7
	v_add_nc_u32_e32 v1, 0x440, v1
	s_delay_alu instid0(VALU_DEP_2) | instskip(SKIP_4) | instid1(VALU_DEP_2)
	v_cmp_le_i32_e32 vcc_lo, s29, v7
	s_or_b32 s5, vcc_lo, s5
	s_waitcnt lgkmcnt(0)
	v_fma_f64 v[21:22], v[3:4], v[14:15], v[21:22]
	v_fma_f64 v[23:24], v[5:6], v[14:15], v[23:24]
	;; [unrolled: 1-line block ×3, first 2 shown]
	s_delay_alu instid0(VALU_DEP_2)
	v_fma_f64 v[16:17], v[3:4], -v[16:17], v[23:24]
	ds_store_b128 v0, v[14:17]
	v_add_nc_u32_e32 v0, 64, v0
	s_and_not1_b32 exec_lo, exec_lo, s5
	s_cbranch_execnz .LBB67_124
	s_branch .LBB67_108
.LBB67_125:
	s_and_saveexec_b32 s1, s0
	s_cbranch_execz .LBB67_134
; %bb.126:
	s_mul_i32 s28, s28, s29
	v_cmp_gt_i32_e64 s0, s29, v9
	v_add_nc_u32_e32 v0, s28, v9
	v_add3_u32 v3, v19, v20, 0x2200
	v_mov_b32_e32 v4, v18
	s_cmp_lg_u32 s30, 0
	s_mov_b32 s2, 0
	v_mul_lo_u32 v2, v0, s29
	s_cselect_b32 s3, -1, 0
	s_set_inst_prefetch_distance 0x1
	s_branch .LBB67_129
	.p2align	6
.LBB67_127:                             ;   in Loop: Header=BB67_129 Depth=1
	ds_load_2addr_b64 v[5:8], v3 offset1:1
	v_ashrrev_i32_e32 v1, 31, v0
	s_delay_alu instid0(VALU_DEP_1) | instskip(NEXT) | instid1(VALU_DEP_1)
	v_lshlrev_b64 v[0:1], 4, v[0:1]
	v_add_co_u32 v0, vcc_lo, s18, v0
	s_delay_alu instid0(VALU_DEP_2)
	v_add_co_ci_u32_e32 v1, vcc_lo, s19, v1, vcc_lo
	s_waitcnt lgkmcnt(0)
	global_store_b128 v[0:1], v[5:8], off
.LBB67_128:                             ;   in Loop: Header=BB67_129 Depth=1
	s_or_b32 exec_lo, exec_lo, s4
	v_add_nc_u32_e32 v4, 4, v4
	v_add_nc_u32_e32 v3, 64, v3
	s_delay_alu instid0(VALU_DEP_2) | instskip(SKIP_1) | instid1(SALU_CYCLE_1)
	v_cmp_le_i32_e32 vcc_lo, s29, v4
	s_or_b32 s2, vcc_lo, s2
	s_and_not1_b32 exec_lo, exec_lo, s2
	s_cbranch_execz .LBB67_134
.LBB67_129:                             ; =>This Inner Loop Header: Depth=1
	s_and_saveexec_b32 s4, s0
	s_cbranch_execz .LBB67_128
; %bb.130:                              ;   in Loop: Header=BB67_129 Depth=1
	s_and_b32 vcc_lo, exec_lo, s3
	s_cbranch_vccz .LBB67_132
; %bb.131:                              ;   in Loop: Header=BB67_129 Depth=1
	v_add_nc_u32_e32 v5, s28, v4
	s_delay_alu instid0(VALU_DEP_1)
	v_mad_u64_u32 v[0:1], null, v5, s29, v[9:10]
	s_cbranch_execnz .LBB67_127
	s_branch .LBB67_133
.LBB67_132:                             ;   in Loop: Header=BB67_129 Depth=1
                                        ; implicit-def: $vgpr0
.LBB67_133:                             ;   in Loop: Header=BB67_129 Depth=1
	v_add_nc_u32_e32 v0, v2, v4
	s_branch .LBB67_127
.LBB67_134:
	s_set_inst_prefetch_distance 0x2
	s_or_b32 exec_lo, exec_lo, s1
	v_or_b32_e32 v0, v18, v9
	s_delay_alu instid0(VALU_DEP_1)
	v_cmp_eq_u32_e64 s3, 0, v0
.LBB67_135:
	s_delay_alu instid0(VALU_DEP_1)
	s_and_saveexec_b32 s0, s3
	s_cbranch_execnz .LBB67_143
.LBB67_136:
	s_nop 0
	s_sendmsg sendmsg(MSG_DEALLOC_VGPRS)
	s_endpgm
.LBB67_137:
	s_cbranch_execz .LBB67_135
; %bb.138:
	v_or_b32_e32 v0, v18, v9
	s_mov_b32 s0, exec_lo
	s_delay_alu instid0(VALU_DEP_1)
	v_cmpx_eq_u32_e32 0, v0
	s_cbranch_execz .LBB67_142
; %bb.139:
	v_mbcnt_lo_u32_b32 v0, exec_lo, 0
	s_mov_b32 s1, exec_lo
	s_delay_alu instid0(VALU_DEP_1)
	v_cmpx_eq_u32_e32 0, v0
	s_cbranch_execz .LBB67_141
; %bb.140:
	s_add_i32 s2, s16, s17
	s_delay_alu instid0(SALU_CYCLE_1)
	v_dual_mov_b32 v0, 0 :: v_dual_mov_b32 v1, s2
	global_atomic_min_i32 v0, v1, s[10:11]
.LBB67_141:
	s_or_b32 exec_lo, exec_lo, s1
	s_delay_alu instid0(SALU_CYCLE_1)
	s_or_b32 s3, s3, exec_lo
.LBB67_142:
	s_or_b32 exec_lo, exec_lo, s0
	s_and_saveexec_b32 s0, s3
	s_cbranch_execz .LBB67_136
.LBB67_143:
	v_dual_mov_b32 v0, 0 :: v_dual_mov_b32 v1, 1
	s_add_u32 s0, s6, s8
	s_addc_u32 s1, s7, s9
	s_waitcnt_vscnt null, 0x0
	global_store_b32 v0, v1, s[0:1]
	s_nop 0
	s_sendmsg sendmsg(MSG_DEALLOC_VGPRS)
	s_endpgm
	.section	.rodata,"a",@progbits
	.p2align	6, 0x0
	.amdhsa_kernel _ZN9rocsparseL18bsric0_9_16_kernelILi64ELi32ELi16E21rocsparse_complex_numIdEEEv20rocsparse_direction_iiPKiS5_PT2_S5_PiS5_S8_21rocsparse_index_base_
		.amdhsa_group_segment_fixed_size 17792
		.amdhsa_private_segment_fixed_size 0
		.amdhsa_kernarg_size 76
		.amdhsa_user_sgpr_count 15
		.amdhsa_user_sgpr_dispatch_ptr 0
		.amdhsa_user_sgpr_queue_ptr 0
		.amdhsa_user_sgpr_kernarg_segment_ptr 1
		.amdhsa_user_sgpr_dispatch_id 0
		.amdhsa_user_sgpr_private_segment_size 0
		.amdhsa_wavefront_size32 1
		.amdhsa_uses_dynamic_stack 0
		.amdhsa_enable_private_segment 0
		.amdhsa_system_sgpr_workgroup_id_x 1
		.amdhsa_system_sgpr_workgroup_id_y 0
		.amdhsa_system_sgpr_workgroup_id_z 0
		.amdhsa_system_sgpr_workgroup_info 0
		.amdhsa_system_vgpr_workitem_id 1
		.amdhsa_next_free_vgpr 39
		.amdhsa_next_free_sgpr 44
		.amdhsa_reserve_vcc 1
		.amdhsa_float_round_mode_32 0
		.amdhsa_float_round_mode_16_64 0
		.amdhsa_float_denorm_mode_32 3
		.amdhsa_float_denorm_mode_16_64 3
		.amdhsa_dx10_clamp 1
		.amdhsa_ieee_mode 1
		.amdhsa_fp16_overflow 0
		.amdhsa_workgroup_processor_mode 1
		.amdhsa_memory_ordered 1
		.amdhsa_forward_progress 0
		.amdhsa_shared_vgpr_count 0
		.amdhsa_exception_fp_ieee_invalid_op 0
		.amdhsa_exception_fp_denorm_src 0
		.amdhsa_exception_fp_ieee_div_zero 0
		.amdhsa_exception_fp_ieee_overflow 0
		.amdhsa_exception_fp_ieee_underflow 0
		.amdhsa_exception_fp_ieee_inexact 0
		.amdhsa_exception_int_div_zero 0
	.end_amdhsa_kernel
	.section	.text._ZN9rocsparseL18bsric0_9_16_kernelILi64ELi32ELi16E21rocsparse_complex_numIdEEEv20rocsparse_direction_iiPKiS5_PT2_S5_PiS5_S8_21rocsparse_index_base_,"axG",@progbits,_ZN9rocsparseL18bsric0_9_16_kernelILi64ELi32ELi16E21rocsparse_complex_numIdEEEv20rocsparse_direction_iiPKiS5_PT2_S5_PiS5_S8_21rocsparse_index_base_,comdat
.Lfunc_end67:
	.size	_ZN9rocsparseL18bsric0_9_16_kernelILi64ELi32ELi16E21rocsparse_complex_numIdEEEv20rocsparse_direction_iiPKiS5_PT2_S5_PiS5_S8_21rocsparse_index_base_, .Lfunc_end67-_ZN9rocsparseL18bsric0_9_16_kernelILi64ELi32ELi16E21rocsparse_complex_numIdEEEv20rocsparse_direction_iiPKiS5_PT2_S5_PiS5_S8_21rocsparse_index_base_
                                        ; -- End function
	.section	.AMDGPU.csdata,"",@progbits
; Kernel info:
; codeLenInByte = 5500
; NumSgprs: 46
; NumVgprs: 39
; ScratchSize: 0
; MemoryBound: 1
; FloatMode: 240
; IeeeMode: 1
; LDSByteSize: 17792 bytes/workgroup (compile time only)
; SGPRBlocks: 5
; VGPRBlocks: 4
; NumSGPRsForWavesPerEU: 46
; NumVGPRsForWavesPerEU: 39
; Occupancy: 4
; WaveLimiterHint : 1
; COMPUTE_PGM_RSRC2:SCRATCH_EN: 0
; COMPUTE_PGM_RSRC2:USER_SGPR: 15
; COMPUTE_PGM_RSRC2:TRAP_HANDLER: 0
; COMPUTE_PGM_RSRC2:TGID_X_EN: 1
; COMPUTE_PGM_RSRC2:TGID_Y_EN: 0
; COMPUTE_PGM_RSRC2:TGID_Z_EN: 0
; COMPUTE_PGM_RSRC2:TIDIG_COMP_CNT: 1
	.section	.text._ZN9rocsparseL19bsric0_17_32_kernelILi64ELi32ELi32E21rocsparse_complex_numIdEEEv20rocsparse_direction_iiPKiS5_PT2_S5_PiS5_S8_21rocsparse_index_base_,"axG",@progbits,_ZN9rocsparseL19bsric0_17_32_kernelILi64ELi32ELi32E21rocsparse_complex_numIdEEEv20rocsparse_direction_iiPKiS5_PT2_S5_PiS5_S8_21rocsparse_index_base_,comdat
	.globl	_ZN9rocsparseL19bsric0_17_32_kernelILi64ELi32ELi32E21rocsparse_complex_numIdEEEv20rocsparse_direction_iiPKiS5_PT2_S5_PiS5_S8_21rocsparse_index_base_ ; -- Begin function _ZN9rocsparseL19bsric0_17_32_kernelILi64ELi32ELi32E21rocsparse_complex_numIdEEEv20rocsparse_direction_iiPKiS5_PT2_S5_PiS5_S8_21rocsparse_index_base_
	.p2align	8
	.type	_ZN9rocsparseL19bsric0_17_32_kernelILi64ELi32ELi32E21rocsparse_complex_numIdEEEv20rocsparse_direction_iiPKiS5_PT2_S5_PiS5_S8_21rocsparse_index_base_,@function
_ZN9rocsparseL19bsric0_17_32_kernelILi64ELi32ELi32E21rocsparse_complex_numIdEEEv20rocsparse_direction_iiPKiS5_PT2_S5_PiS5_S8_21rocsparse_index_base_: ; @_ZN9rocsparseL19bsric0_17_32_kernelILi64ELi32ELi32E21rocsparse_complex_numIdEEEv20rocsparse_direction_iiPKiS5_PT2_S5_PiS5_S8_21rocsparse_index_base_
; %bb.0:
	s_load_b256 s[4:11], s[0:1], 0x28
	s_mov_b32 s2, s15
	s_mov_b32 s3, 0
	v_and_b32_e32 v18, 0x3ff, v0
	s_lshl_b64 s[12:13], s[2:3], 2
	v_bfe_u32 v9, v0, 10, 10
	s_waitcnt lgkmcnt(0)
	s_add_u32 s8, s8, s12
	s_addc_u32 s9, s9, s13
	s_load_b32 s16, s[8:9], 0x0
	s_waitcnt lgkmcnt(0)
	s_ashr_i32 s17, s16, 31
	s_delay_alu instid0(SALU_CYCLE_1) | instskip(NEXT) | instid1(SALU_CYCLE_1)
	s_lshl_b64 s[8:9], s[16:17], 2
	s_add_u32 s12, s4, s8
	s_addc_u32 s13, s5, s9
	s_load_b32 s28, s[12:13], 0x0
	s_load_b32 s17, s[0:1], 0x48
	s_waitcnt lgkmcnt(0)
	s_cmp_lg_u32 s28, -1
	s_cbranch_scc0 .LBB68_125
; %bb.1:
	s_clause 0x1
	s_load_b128 s[12:15], s[0:1], 0x10
	s_load_b64 s[18:19], s[0:1], 0x20
	v_lshlrev_b32_e32 v0, 1, v9
	s_waitcnt lgkmcnt(0)
	s_add_u32 s2, s12, s8
	s_addc_u32 s3, s13, s9
	s_load_b32 s2, s[2:3], 0x0
	s_waitcnt lgkmcnt(0)
	s_sub_i32 s31, s2, s17
	s_mov_b32 s2, exec_lo
	v_add3_u32 v0, v0, v18, s31
	s_delay_alu instid0(VALU_DEP_1)
	v_cmpx_ge_i32_e64 s28, v0
	s_cbranch_execz .LBB68_4
; %bb.2:
	v_lshlrev_b32_e32 v1, 3, v9
	v_lshlrev_b32_e32 v2, 2, v18
	s_mov_b32 s3, 0
	s_delay_alu instid0(VALU_DEP_1)
	v_add3_u32 v2, v1, v2, 0xc700
	.p2align	6
.LBB68_3:                               ; =>This Inner Loop Header: Depth=1
	v_ashrrev_i32_e32 v1, 31, v0
	s_delay_alu instid0(VALU_DEP_1) | instskip(SKIP_1) | instid1(VALU_DEP_2)
	v_lshlrev_b64 v[3:4], 2, v[0:1]
	v_add_nc_u32_e32 v0, 64, v0
	v_add_co_u32 v3, vcc_lo, s14, v3
	s_delay_alu instid0(VALU_DEP_3) | instskip(NEXT) | instid1(VALU_DEP_3)
	v_add_co_ci_u32_e32 v4, vcc_lo, s15, v4, vcc_lo
	v_cmp_lt_i32_e32 vcc_lo, s28, v0
	global_load_b32 v1, v[3:4], off
	s_or_b32 s3, vcc_lo, s3
	s_waitcnt vmcnt(0)
	v_subrev_nc_u32_e32 v1, s17, v1
	ds_store_b32 v2, v1
	v_add_nc_u32_e32 v2, 0x100, v2
	s_and_not1_b32 exec_lo, exec_lo, s3
	s_cbranch_execnz .LBB68_3
.LBB68_4:
	s_or_b32 exec_lo, exec_lo, s2
	v_mul_u32_u24_e32 v19, 0x210, v9
	v_lshlrev_b32_e32 v20, 4, v18
	s_mov_b32 s2, exec_lo
	v_cmpx_gt_u32_e32 32, v18
	s_cbranch_execz .LBB68_7
; %bb.5:
	v_mov_b32_e32 v0, 0
	v_add_nc_u32_e32 v4, -2, v18
	v_add3_u32 v5, v19, v20, 0x8400
	s_mov_b32 s3, 0
	s_delay_alu instid0(VALU_DEP_3)
	v_mov_b32_e32 v1, v0
	v_mov_b32_e32 v2, v0
	;; [unrolled: 1-line block ×3, first 2 shown]
.LBB68_6:                               ; =>This Inner Loop Header: Depth=1
	v_add_nc_u32_e32 v4, 2, v4
	ds_store_b128 v5, v[0:3]
	v_add_nc_u32_e32 v5, 32, v5
	v_cmp_lt_u32_e32 vcc_lo, 29, v4
	s_or_b32 s3, vcc_lo, s3
	s_delay_alu instid0(SALU_CYCLE_1)
	s_and_not1_b32 exec_lo, exec_lo, s3
	s_cbranch_execnz .LBB68_6
.LBB68_7:
	s_or_b32 exec_lo, exec_lo, s2
	s_clause 0x1
	s_load_b32 s29, s[0:1], 0x8
	s_load_b32 s30, s[0:1], 0x0
	s_cmp_ge_i32 s31, s28
	s_waitcnt lgkmcnt(0)
	buffer_gl0_inv
	v_cmp_gt_i32_e64 s0, s29, v18
	s_cbranch_scc1 .LBB68_80
; %bb.8:
	v_mad_u64_u32 v[0:1], null, s29, s31, v[9:10]
	v_or_b32_e32 v1, v18, v9
	v_mad_u32_u24 v22, 0x210, v9, v20
	s_cmp_eq_u32 s30, 0
	v_mul_lo_u32 v21, v9, s29
	v_mul_lo_u32 v23, v18, s29
	s_movk_i32 s3, 0x4200
	v_mul_lo_u32 v25, s29, v0
	s_cselect_b32 s33, -1, 0
	s_cmp_lg_u32 s30, 0
	v_cmp_gt_i32_e64 s1, s29, v9
	v_cmp_ne_u32_e64 s2, 0, v1
	v_mad_u32_u24 v24, 0x210, v9, s3
	v_mad_u32_u24 v26, 0x210, v18, s3
	v_dual_mov_b32 v0, 0 :: v_dual_add_nc_u32 v27, 0x8400, v22
	v_add_nc_u32_e32 v28, 0x4200, v22
	s_cselect_b32 s34, -1, 0
	s_cmp_gt_i32 s29, 0
	s_mul_i32 s36, s29, s29
	s_cselect_b32 s35, -1, 0
	s_lshl_b32 s37, s29, 1
	s_mov_b32 s20, s31
	s_branch .LBB68_10
.LBB68_9:                               ;   in Loop: Header=BB68_10 Depth=1
	s_set_inst_prefetch_distance 0x2
	s_or_b32 exec_lo, exec_lo, s3
	s_add_i32 s20, s20, 1
	v_add_nc_u32_e32 v25, s36, v25
	s_cmp_ge_i32 s20, s28
	s_waitcnt_vscnt null, 0x0
	buffer_gl1_inv
	buffer_gl0_inv
	s_cselect_b32 s3, -1, 0
	s_delay_alu instid0(SALU_CYCLE_1)
	s_and_b32 vcc_lo, exec_lo, s3
	s_cbranch_vccnz .LBB68_80
.LBB68_10:                              ; =>This Loop Header: Depth=1
                                        ;     Child Loop BB68_14 Depth 2
                                        ;     Child Loop BB68_27 Depth 2
	;; [unrolled: 1-line block ×4, first 2 shown]
                                        ;       Child Loop BB68_45 Depth 3
                                        ;     Child Loop BB68_58 Depth 2
                                        ;       Child Loop BB68_65 Depth 3
                                        ;       Child Loop BB68_69 Depth 3
                                        ;     Child Loop BB68_74 Depth 2
	s_ashr_i32 s21, s20, 31
	s_delay_alu instid0(SALU_CYCLE_1) | instskip(NEXT) | instid1(SALU_CYCLE_1)
	s_lshl_b64 s[22:23], s[20:21], 2
	s_add_u32 s22, s14, s22
	s_addc_u32 s23, s15, s23
	s_load_b32 s38, s[22:23], 0x0
	s_waitcnt lgkmcnt(0)
	s_sub_i32 s24, s38, s17
	s_delay_alu instid0(SALU_CYCLE_1) | instskip(NEXT) | instid1(SALU_CYCLE_1)
	s_ashr_i32 s25, s24, 31
	s_lshl_b64 s[22:23], s[24:25], 2
	s_delay_alu instid0(SALU_CYCLE_1)
	s_add_u32 s26, s4, s22
	s_addc_u32 s27, s5, s23
	s_load_b32 s3, s[26:27], 0x0
	s_waitcnt lgkmcnt(0)
	s_cmp_eq_u32 s3, -1
	s_cbranch_scc1 .LBB68_79
; %bb.11:                               ;   in Loop: Header=BB68_10 Depth=1
	s_add_u32 s26, s12, s22
	s_addc_u32 s27, s13, s23
	s_mul_i32 s21, s20, s29
	s_load_b32 s25, s[26:27], 0x0
	s_and_saveexec_b32 s39, s0
	s_cbranch_execz .LBB68_24
; %bb.12:                               ;   in Loop: Header=BB68_10 Depth=1
	v_mov_b32_e32 v8, v22
	v_mov_b32_e32 v10, v18
	s_mov_b32 s40, 0
	s_branch .LBB68_14
.LBB68_13:                              ;   in Loop: Header=BB68_14 Depth=2
	s_or_b32 exec_lo, exec_lo, s26
	v_dual_mov_b32 v1, v0 :: v_dual_add_nc_u32 v10, 2, v10
	v_mov_b32_e32 v2, v0
	v_mov_b32_e32 v3, v0
	s_waitcnt vmcnt(0)
	ds_store_b128 v8, v[4:7] offset:16896
	ds_store_b128 v8, v[0:3]
	v_add_nc_u32_e32 v8, 32, v8
	v_cmp_le_i32_e32 vcc_lo, s29, v10
	s_or_b32 s40, vcc_lo, s40
	s_delay_alu instid0(SALU_CYCLE_1)
	s_and_not1_b32 exec_lo, exec_lo, s40
	s_cbranch_execz .LBB68_24
.LBB68_14:                              ;   Parent Loop BB68_10 Depth=1
                                        ; =>  This Inner Loop Header: Depth=2
	s_and_b32 vcc_lo, exec_lo, s34
	s_cbranch_vccz .LBB68_18
; %bb.15:                               ;   in Loop: Header=BB68_14 Depth=2
	s_mov_b32 s42, 0
	s_mov_b32 s41, 0
                                        ; implicit-def: $vgpr1
	s_and_saveexec_b32 s26, s1
	s_delay_alu instid0(SALU_CYCLE_1)
	s_xor_b32 s26, exec_lo, s26
; %bb.16:                               ;   in Loop: Header=BB68_14 Depth=2
	v_add_nc_u32_e32 v3, s21, v10
	s_mov_b32 s41, exec_lo
	s_delay_alu instid0(VALU_DEP_1)
	v_mad_u64_u32 v[1:2], null, v3, s29, v[9:10]
; %bb.17:                               ;   in Loop: Header=BB68_14 Depth=2
	s_or_b32 exec_lo, exec_lo, s26
	s_mov_b64 s[26:27], 0
	s_and_b32 vcc_lo, exec_lo, s42
	s_cbranch_vccnz .LBB68_19
	s_branch .LBB68_22
.LBB68_18:                              ;   in Loop: Header=BB68_14 Depth=2
	s_mov_b32 s41, 0
                                        ; implicit-def: $vgpr1
                                        ; implicit-def: $sgpr26_sgpr27
	s_cbranch_execz .LBB68_22
.LBB68_19:                              ;   in Loop: Header=BB68_14 Depth=2
                                        ; implicit-def: $vgpr1
	s_and_saveexec_b32 s26, s1
; %bb.20:                               ;   in Loop: Header=BB68_14 Depth=2
	v_add_nc_u32_e32 v1, v25, v10
	s_or_b32 s41, s41, exec_lo
; %bb.21:                               ;   in Loop: Header=BB68_14 Depth=2
	s_or_b32 exec_lo, exec_lo, s26
	s_mov_b64 s[26:27], 0
.LBB68_22:                              ;   in Loop: Header=BB68_14 Depth=2
	s_delay_alu instid0(SALU_CYCLE_1)
	v_dual_mov_b32 v4, s26 :: v_dual_mov_b32 v5, s27
	v_dual_mov_b32 v6, s26 :: v_dual_mov_b32 v7, s27
	s_and_saveexec_b32 s26, s41
	s_cbranch_execz .LBB68_13
; %bb.23:                               ;   in Loop: Header=BB68_14 Depth=2
	v_ashrrev_i32_e32 v2, 31, v1
	s_delay_alu instid0(VALU_DEP_1) | instskip(NEXT) | instid1(VALU_DEP_1)
	v_lshlrev_b64 v[1:2], 4, v[1:2]
	v_add_co_u32 v1, vcc_lo, s18, v1
	s_delay_alu instid0(VALU_DEP_2)
	v_add_co_ci_u32_e32 v2, vcc_lo, s19, v2, vcc_lo
	global_load_b128 v[4:7], v[1:2], off
	s_branch .LBB68_13
.LBB68_24:                              ;   in Loop: Header=BB68_10 Depth=1
	s_or_b32 exec_lo, exec_lo, s39
; %bb.25:                               ;   in Loop: Header=BB68_10 Depth=1
	ds_load_b32 v1, v0 offset:50944
	s_waitcnt lgkmcnt(0)
	s_sub_i32 s26, s25, s17
	s_mov_b32 s27, 0
	s_cmp_le_i32 s26, s3
	s_cselect_b32 s25, -1, 0
	v_cmp_ge_i32_e32 vcc_lo, s24, v1
	s_and_b32 s25, s25, vcc_lo
	s_delay_alu instid0(SALU_CYCLE_1)
	s_and_not1_b32 vcc_lo, exec_lo, s25
	s_cbranch_vccnz .LBB68_37
; %bb.26:                               ;   in Loop: Header=BB68_10 Depth=1
	s_mov_b32 s25, 0
	s_mov_b32 s39, 0
.LBB68_27:                              ;   Parent Loop BB68_10 Depth=1
                                        ; =>  This Inner Loop Header: Depth=2
	s_ashr_i32 s27, s26, 31
	s_mov_b32 s43, -1
	s_lshl_b64 s[40:41], s[26:27], 2
                                        ; implicit-def: $sgpr42
	s_delay_alu instid0(SALU_CYCLE_1) | instskip(SKIP_2) | instid1(SALU_CYCLE_1)
	s_add_u32 s40, s14, s40
	s_addc_u32 s41, s15, s41
	s_lshl_b32 s27, s39, 2
	v_mov_b32_e32 v1, s27
	s_load_b32 s27, s[40:41], 0x0
                                        ; implicit-def: $sgpr41
	ds_load_b32 v1, v1 offset:50944
	s_waitcnt lgkmcnt(0)
	s_sub_i32 s44, s27, s17
                                        ; implicit-def: $sgpr27
	s_delay_alu instid0(SALU_CYCLE_1)
	v_cmp_ge_i32_e32 vcc_lo, s44, v1
	v_readfirstlane_b32 s40, v1
	s_cbranch_vccz .LBB68_33
; %bb.28:                               ;   in Loop: Header=BB68_27 Depth=2
	s_delay_alu instid0(VALU_DEP_1)
	s_cmp_le_i32 s44, s40
                                        ; implicit-def: $sgpr27
                                        ; implicit-def: $sgpr42
                                        ; implicit-def: $sgpr41
	s_cbranch_scc0 .LBB68_30
; %bb.29:                               ;   in Loop: Header=BB68_27 Depth=2
	s_add_i32 s27, s39, s31
	s_lshl_b32 s41, s25, 2
	s_mul_i32 s27, s27, s36
	s_mul_i32 s42, s26, s36
	s_delay_alu instid0(SALU_CYCLE_1)
	v_dual_mov_b32 v1, s27 :: v_dual_mov_b32 v2, s42
	v_add_nc_u32_e64 v3, 0xc400, s41
	s_add_i32 s41, s39, 1
	s_add_i32 s42, s26, 1
	s_add_i32 s27, s25, 1
	s_mov_b32 s43, 0
	ds_store_2addr_b32 v3, v2, v1 offset0:128 offset1:160
.LBB68_30:                              ;   in Loop: Header=BB68_27 Depth=2
	s_and_not1_b32 vcc_lo, exec_lo, s43
	s_cbranch_vccnz .LBB68_32
; %bb.31:                               ;   in Loop: Header=BB68_27 Depth=2
	s_add_i32 s41, s39, 1
	s_mov_b32 s27, s25
	s_mov_b32 s42, s26
.LBB68_32:                              ;   in Loop: Header=BB68_27 Depth=2
	s_mov_b32 s43, 0
.LBB68_33:                              ;   in Loop: Header=BB68_27 Depth=2
	s_delay_alu instid0(SALU_CYCLE_1)
	s_and_not1_b32 vcc_lo, exec_lo, s43
	s_cbranch_vccnz .LBB68_35
; %bb.34:                               ;   in Loop: Header=BB68_27 Depth=2
	s_add_i32 s42, s26, 1
	s_mov_b32 s41, s39
	s_mov_b32 s27, s25
.LBB68_35:                              ;   in Loop: Header=BB68_27 Depth=2
	s_cmp_le_i32 s42, s3
	s_cselect_b32 s25, -1, 0
	s_cmp_le_i32 s40, s24
	s_cselect_b32 s26, -1, 0
	s_delay_alu instid0(SALU_CYCLE_1) | instskip(NEXT) | instid1(SALU_CYCLE_1)
	s_and_b32 s25, s25, s26
	s_and_b32 vcc_lo, exec_lo, s25
	s_cbranch_vccz .LBB68_37
; %bb.36:                               ;   in Loop: Header=BB68_27 Depth=2
	s_mov_b32 s25, s27
	s_mov_b32 s26, s42
	;; [unrolled: 1-line block ×3, first 2 shown]
	s_branch .LBB68_27
.LBB68_37:                              ;   in Loop: Header=BB68_10 Depth=1
	s_add_u32 s22, s6, s22
	s_addc_u32 s23, s7, s23
	s_waitcnt lgkmcnt(0)
	buffer_gl0_inv
.LBB68_38:                              ;   Parent Loop BB68_10 Depth=1
                                        ; =>  This Inner Loop Header: Depth=2
	global_load_b32 v1, v0, s[22:23] glc
	s_waitcnt vmcnt(0)
	v_cmp_eq_u32_e32 vcc_lo, 0, v1
	s_cbranch_vccnz .LBB68_38
; %bb.39:                               ;   in Loop: Header=BB68_10 Depth=1
	s_cmp_lt_i32 s27, 2
	buffer_gl1_inv
	buffer_gl0_inv
	s_cbranch_scc1 .LBB68_55
; %bb.40:                               ;   in Loop: Header=BB68_10 Depth=1
	s_add_i32 s22, s27, -2
	s_mov_b32 s23, 0
	s_branch .LBB68_42
.LBB68_41:                              ;   in Loop: Header=BB68_42 Depth=2
	s_or_b32 exec_lo, exec_lo, s24
	s_add_i32 s24, s23, 1
	s_cmp_eq_u32 s23, s22
	s_mov_b32 s23, s24
	s_cbranch_scc1 .LBB68_55
.LBB68_42:                              ;   Parent Loop BB68_10 Depth=1
                                        ; =>  This Loop Header: Depth=2
                                        ;       Child Loop BB68_45 Depth 3
	s_and_saveexec_b32 s24, s0
	s_cbranch_execz .LBB68_41
; %bb.43:                               ;   in Loop: Header=BB68_42 Depth=2
	s_lshl_b32 s25, s23, 2
	v_mov_b32_e32 v33, v18
	v_add_nc_u32_e64 v1, 0xc400, s25
	s_mov_b32 s25, 0
	ds_load_2addr_b32 v[1:2], v1 offset0:128 offset1:160
	s_waitcnt lgkmcnt(0)
	v_add_nc_u32_e32 v29, v2, v21
	v_add_nc_u32_e32 v30, v9, v2
	;; [unrolled: 1-line block ×4, first 2 shown]
	s_branch .LBB68_45
.LBB68_44:                              ;   in Loop: Header=BB68_45 Depth=3
	v_lshlrev_b32_e32 v5, 4, v33
	v_add_nc_u32_e32 v33, 2, v33
	v_add_nc_u32_e32 v31, 2, v31
	;; [unrolled: 1-line block ×3, first 2 shown]
	s_delay_alu instid0(VALU_DEP_4) | instskip(NEXT) | instid1(VALU_DEP_4)
	v_mad_u32_u24 v10, 0x210, v9, v5
	v_cmp_le_i32_e32 vcc_lo, s29, v33
	ds_load_b128 v[5:8], v10
	s_or_b32 s25, vcc_lo, s25
	s_waitcnt lgkmcnt(0)
	v_add_f64 v[3:4], v[3:4], v[5:6]
	v_add_f64 v[5:6], v[1:2], v[7:8]
	ds_store_b128 v10, v[3:6]
	s_and_not1_b32 exec_lo, exec_lo, s25
	s_cbranch_execz .LBB68_41
.LBB68_45:                              ;   Parent Loop BB68_10 Depth=1
                                        ;     Parent Loop BB68_42 Depth=2
                                        ; =>    This Inner Loop Header: Depth=3
	v_mov_b32_e32 v14, 0
	s_delay_alu instid0(VALU_DEP_3) | instskip(SKIP_2) | instid1(VALU_DEP_2)
	v_dual_mov_b32 v15, 0 :: v_dual_mov_b32 v10, v31
	v_mov_b32_e32 v12, v30
	s_mov_b32 s26, 0
	v_dual_mov_b32 v17, v15 :: v_dual_mov_b32 v16, v14
	s_and_b32 vcc_lo, exec_lo, s34
	s_cbranch_vccz .LBB68_49
.LBB68_46:                              ;   in Loop: Header=BB68_45 Depth=3
	v_ashrrev_i32_e32 v11, 31, v10
	v_mov_b32_e32 v5, 0
	v_mov_b32_e32 v6, 0
	s_delay_alu instid0(VALU_DEP_3) | instskip(NEXT) | instid1(VALU_DEP_2)
	v_lshlrev_b64 v[1:2], 4, v[10:11]
	v_dual_mov_b32 v8, v6 :: v_dual_mov_b32 v7, v5
	s_delay_alu instid0(VALU_DEP_2) | instskip(NEXT) | instid1(VALU_DEP_3)
	v_add_co_u32 v1, vcc_lo, s18, v1
	v_add_co_ci_u32_e32 v2, vcc_lo, s19, v2, vcc_lo
	global_load_b128 v[1:4], v[1:2], off
	s_and_saveexec_b32 s27, s1
	s_cbranch_execz .LBB68_48
; %bb.47:                               ;   in Loop: Header=BB68_45 Depth=3
	v_ashrrev_i32_e32 v13, 31, v12
	s_delay_alu instid0(VALU_DEP_1) | instskip(NEXT) | instid1(VALU_DEP_1)
	v_lshlrev_b64 v[5:6], 4, v[12:13]
	v_add_co_u32 v5, vcc_lo, s18, v5
	s_delay_alu instid0(VALU_DEP_2)
	v_add_co_ci_u32_e32 v6, vcc_lo, s19, v6, vcc_lo
	global_load_b128 v[5:8], v[5:6], off
.LBB68_48:                              ;   in Loop: Header=BB68_45 Depth=3
	s_or_b32 exec_lo, exec_lo, s27
	s_waitcnt vmcnt(0)
	v_fma_f64 v[34:35], v[1:2], v[5:6], v[16:17]
	v_fma_f64 v[5:6], v[3:4], v[5:6], v[14:15]
	s_delay_alu instid0(VALU_DEP_2) | instskip(NEXT) | instid1(VALU_DEP_2)
	v_fma_f64 v[3:4], v[3:4], v[7:8], v[34:35]
	v_fma_f64 v[1:2], v[1:2], -v[7:8], v[5:6]
	s_branch .LBB68_53
.LBB68_49:                              ;   in Loop: Header=BB68_45 Depth=3
                                        ; implicit-def: $vgpr1_vgpr2
                                        ; implicit-def: $vgpr3_vgpr4
	s_cbranch_execz .LBB68_53
; %bb.50:                               ;   in Loop: Header=BB68_45 Depth=3
	v_add_nc_u32_e32 v1, s26, v32
	v_mov_b32_e32 v5, 0
	v_mov_b32_e32 v6, 0
	s_delay_alu instid0(VALU_DEP_3) | instskip(NEXT) | instid1(VALU_DEP_2)
	v_ashrrev_i32_e32 v2, 31, v1
	v_dual_mov_b32 v8, v6 :: v_dual_mov_b32 v7, v5
	s_delay_alu instid0(VALU_DEP_2) | instskip(NEXT) | instid1(VALU_DEP_1)
	v_lshlrev_b64 v[1:2], 4, v[1:2]
	v_add_co_u32 v1, vcc_lo, s18, v1
	s_delay_alu instid0(VALU_DEP_2)
	v_add_co_ci_u32_e32 v2, vcc_lo, s19, v2, vcc_lo
	global_load_b128 v[1:4], v[1:2], off
	s_and_saveexec_b32 s27, s1
	s_cbranch_execz .LBB68_52
; %bb.51:                               ;   in Loop: Header=BB68_45 Depth=3
	v_add_nc_u32_e32 v5, s26, v29
	s_delay_alu instid0(VALU_DEP_1) | instskip(NEXT) | instid1(VALU_DEP_1)
	v_ashrrev_i32_e32 v6, 31, v5
	v_lshlrev_b64 v[5:6], 4, v[5:6]
	s_delay_alu instid0(VALU_DEP_1) | instskip(NEXT) | instid1(VALU_DEP_2)
	v_add_co_u32 v5, vcc_lo, s18, v5
	v_add_co_ci_u32_e32 v6, vcc_lo, s19, v6, vcc_lo
	global_load_b128 v[5:8], v[5:6], off
.LBB68_52:                              ;   in Loop: Header=BB68_45 Depth=3
	s_or_b32 exec_lo, exec_lo, s27
	s_waitcnt vmcnt(0)
	v_fma_f64 v[16:17], v[1:2], v[5:6], v[16:17]
	v_fma_f64 v[5:6], v[3:4], v[5:6], v[14:15]
	s_delay_alu instid0(VALU_DEP_2) | instskip(NEXT) | instid1(VALU_DEP_2)
	v_fma_f64 v[3:4], v[3:4], v[7:8], v[16:17]
	v_fma_f64 v[1:2], v[1:2], -v[7:8], v[5:6]
.LBB68_53:                              ;   in Loop: Header=BB68_45 Depth=3
	v_add_nc_u32_e32 v12, s29, v12
	v_add_nc_u32_e32 v10, s29, v10
	s_add_i32 s26, s26, 1
	s_delay_alu instid0(SALU_CYCLE_1)
	s_cmp_eq_u32 s29, s26
	s_cbranch_scc1 .LBB68_44
; %bb.54:                               ;   in Loop: Header=BB68_45 Depth=3
	s_delay_alu instid0(VALU_DEP_3)
	v_dual_mov_b32 v15, v2 :: v_dual_mov_b32 v14, v1
	v_dual_mov_b32 v17, v4 :: v_dual_mov_b32 v16, v3
	s_and_b32 vcc_lo, exec_lo, s34
	s_cbranch_vccz .LBB68_49
	s_branch .LBB68_46
.LBB68_55:                              ;   in Loop: Header=BB68_10 Depth=1
	s_and_not1_b32 vcc_lo, exec_lo, s35
	s_waitcnt lgkmcnt(0)
	buffer_gl0_inv
	s_cbranch_vccnz .LBB68_70
; %bb.56:                               ;   in Loop: Header=BB68_10 Depth=1
	v_mov_b32_e32 v14, v26
	s_mul_i32 s24, s36, s3
	s_mov_b32 s25, 0
	s_mov_b32 s26, s24
	s_branch .LBB68_58
.LBB68_57:                              ;   in Loop: Header=BB68_58 Depth=2
	s_or_b32 exec_lo, exec_lo, s3
	v_add_nc_u32_e32 v14, 16, v14
	s_add_i32 s25, s25, 1
	s_add_i32 s26, s26, 1
	s_cmp_eq_u32 s25, s29
	s_waitcnt lgkmcnt(0)
	buffer_gl0_inv
	s_cbranch_scc1 .LBB68_70
.LBB68_58:                              ;   Parent Loop BB68_10 Depth=1
                                        ; =>  This Loop Header: Depth=2
                                        ;       Child Loop BB68_65 Depth 3
                                        ;       Child Loop BB68_69 Depth 3
	s_mul_i32 s27, s25, s29
	v_lshl_add_u32 v15, s25, 4, v19
	s_add_i32 s27, s27, s24
	s_delay_alu instid0(SALU_CYCLE_1) | instskip(SKIP_2) | instid1(SALU_CYCLE_1)
	s_add_i32 s22, s27, s25
	ds_load_b128 v[1:4], v15 offset:16896
	s_ashr_i32 s23, s22, 31
	s_lshl_b64 s[22:23], s[22:23], 4
	s_delay_alu instid0(SALU_CYCLE_1)
	s_add_u32 s22, s18, s22
	s_addc_u32 s23, s19, s23
	global_load_b128 v[5:8], v0, s[22:23]
	s_waitcnt vmcnt(0)
	v_cmp_neq_f64_e32 vcc_lo, 0, v[5:6]
	v_cmp_neq_f64_e64 s3, 0, v[7:8]
	s_delay_alu instid0(VALU_DEP_1) | instskip(SKIP_4) | instid1(SALU_CYCLE_1)
	s_or_b32 vcc_lo, vcc_lo, s3
	v_cndmask_b32_e32 v11, 0x3ff00000, v6, vcc_lo
	v_dual_cndmask_b32 v10, 0, v5 :: v_dual_cndmask_b32 v13, 0, v8
	v_cndmask_b32_e32 v12, 0, v7, vcc_lo
	s_or_b32 s3, vcc_lo, s2
	s_xor_b32 s22, s3, -1
	s_delay_alu instid0(SALU_CYCLE_1)
	s_and_saveexec_b32 s3, s22
	s_cbranch_execz .LBB68_62
; %bb.59:                               ;   in Loop: Header=BB68_58 Depth=2
	v_mbcnt_lo_u32_b32 v5, exec_lo, 0
	s_mov_b32 s22, exec_lo
	s_delay_alu instid0(VALU_DEP_1)
	v_cmpx_eq_u32_e32 0, v5
	s_cbranch_execz .LBB68_61
; %bb.60:                               ;   in Loop: Header=BB68_58 Depth=2
	v_mov_b32_e32 v5, s38
	global_atomic_min_i32 v0, v5, s[10:11]
.LBB68_61:                              ;   in Loop: Header=BB68_58 Depth=2
	s_or_b32 exec_lo, exec_lo, s22
	v_mov_b32_e32 v10, 0
	v_dual_mov_b32 v11, 0x3ff00000 :: v_dual_mov_b32 v12, 0
	v_mov_b32_e32 v13, 0
.LBB68_62:                              ;   in Loop: Header=BB68_58 Depth=2
	s_or_b32 exec_lo, exec_lo, s3
	ds_load_b128 v[5:8], v15
	s_cmp_eq_u32 s25, 0
	s_cbranch_scc1 .LBB68_67
; %bb.63:                               ;   in Loop: Header=BB68_58 Depth=2
	v_mov_b32_e32 v16, v24
	s_mov_b32 s3, 0
	s_mov_b32 s39, s26
	s_set_inst_prefetch_distance 0x1
	s_branch .LBB68_65
	.p2align	6
.LBB68_64:                              ;   in Loop: Header=BB68_65 Depth=3
	s_ashr_i32 s23, s22, 31
	ds_load_b128 v[33:36], v16
	s_lshl_b64 s[22:23], s[22:23], 4
	v_add_nc_u32_e32 v16, 16, v16
	s_add_u32 s22, s18, s22
	s_addc_u32 s23, s19, s23
	s_add_i32 s3, s3, 1
	global_load_b128 v[29:32], v0, s[22:23]
	s_add_i32 s39, s39, s29
	s_cmp_ge_u32 s3, s25
	s_waitcnt vmcnt(0) lgkmcnt(0)
	v_fma_f64 v[5:6], v[29:30], v[33:34], v[5:6]
	v_fma_f64 v[7:8], v[31:32], v[33:34], v[7:8]
	s_delay_alu instid0(VALU_DEP_2) | instskip(NEXT) | instid1(VALU_DEP_2)
	v_fma_f64 v[5:6], v[31:32], v[35:36], v[5:6]
	v_fma_f64 v[7:8], v[29:30], -v[35:36], v[7:8]
	s_cbranch_scc1 .LBB68_67
.LBB68_65:                              ;   Parent Loop BB68_10 Depth=1
                                        ;     Parent Loop BB68_58 Depth=2
                                        ; =>    This Inner Loop Header: Depth=3
	s_and_not1_b32 vcc_lo, exec_lo, s33
	s_mov_b32 s22, s39
	s_cbranch_vccnz .LBB68_64
; %bb.66:                               ;   in Loop: Header=BB68_65 Depth=3
	s_add_i32 s22, s3, s27
	s_branch .LBB68_64
.LBB68_67:                              ;   in Loop: Header=BB68_58 Depth=2
	s_set_inst_prefetch_distance 0x2
	v_mul_f64 v[16:17], v[12:13], v[12:13]
	s_waitcnt lgkmcnt(0)
	s_delay_alu instid0(VALU_DEP_2) | instskip(NEXT) | instid1(VALU_DEP_4)
	v_add_f64 v[3:4], v[3:4], -v[7:8]
	v_add_f64 v[1:2], v[1:2], -v[5:6]
	v_add_nc_u32_e32 v15, 0x4200, v15
	s_delay_alu instid0(VALU_DEP_4) | instskip(NEXT) | instid1(VALU_DEP_4)
	v_fma_f64 v[16:17], v[10:11], v[10:11], v[16:17]
	v_mul_f64 v[5:6], v[12:13], v[3:4]
	s_delay_alu instid0(VALU_DEP_4) | instskip(NEXT) | instid1(VALU_DEP_3)
	v_mul_f64 v[12:13], v[12:13], -v[1:2]
	v_div_scale_f64 v[29:30], null, v[16:17], v[16:17], 1.0
	v_div_scale_f64 v[35:36], vcc_lo, 1.0, v[16:17], 1.0
	s_delay_alu instid0(VALU_DEP_4) | instskip(NEXT) | instid1(VALU_DEP_4)
	v_fma_f64 v[1:2], v[1:2], v[10:11], v[5:6]
	v_fma_f64 v[3:4], v[3:4], v[10:11], v[12:13]
	s_delay_alu instid0(VALU_DEP_4) | instskip(SKIP_2) | instid1(VALU_DEP_1)
	v_rcp_f64_e32 v[31:32], v[29:30]
	s_waitcnt_depctr 0xfff
	v_fma_f64 v[33:34], -v[29:30], v[31:32], 1.0
	v_fma_f64 v[31:32], v[31:32], v[33:34], v[31:32]
	s_delay_alu instid0(VALU_DEP_1) | instskip(NEXT) | instid1(VALU_DEP_1)
	v_fma_f64 v[33:34], -v[29:30], v[31:32], 1.0
	v_fma_f64 v[31:32], v[31:32], v[33:34], v[31:32]
	s_delay_alu instid0(VALU_DEP_1) | instskip(NEXT) | instid1(VALU_DEP_1)
	v_mul_f64 v[33:34], v[35:36], v[31:32]
	v_fma_f64 v[7:8], -v[29:30], v[33:34], v[35:36]
	s_delay_alu instid0(VALU_DEP_1) | instskip(NEXT) | instid1(VALU_DEP_1)
	v_div_fmas_f64 v[7:8], v[7:8], v[31:32], v[33:34]
	v_div_fixup_f64 v[5:6], v[7:8], v[16:17], 1.0
	s_delay_alu instid0(VALU_DEP_1)
	v_mul_f64 v[1:2], v[5:6], v[1:2]
	v_mul_f64 v[3:4], v[5:6], v[3:4]
	ds_store_b128 v15, v[1:4]
	s_waitcnt lgkmcnt(0)
	s_waitcnt_vscnt null, 0x0
	buffer_gl0_inv
	s_and_saveexec_b32 s3, s0
	s_cbranch_execz .LBB68_57
; %bb.68:                               ;   in Loop: Header=BB68_58 Depth=2
	v_dual_mov_b32 v5, v27 :: v_dual_mov_b32 v6, v14
	v_mov_b32_e32 v7, v18
	s_mov_b32 s22, 0
	.p2align	6
.LBB68_69:                              ;   Parent Loop BB68_10 Depth=1
                                        ;     Parent Loop BB68_58 Depth=2
                                        ; =>    This Inner Loop Header: Depth=3
	ds_load_b128 v[10:13], v6
	ds_load_b128 v[29:32], v5
	v_add_nc_u32_e32 v7, 2, v7
	v_add_nc_u32_e32 v6, 0x420, v6
	s_delay_alu instid0(VALU_DEP_2) | instskip(SKIP_4) | instid1(VALU_DEP_2)
	v_cmp_le_i32_e32 vcc_lo, s29, v7
	s_or_b32 s22, vcc_lo, s22
	s_waitcnt lgkmcnt(0)
	v_fma_f64 v[15:16], v[1:2], v[10:11], v[29:30]
	v_fma_f64 v[29:30], v[3:4], v[10:11], v[31:32]
	;; [unrolled: 1-line block ×3, first 2 shown]
	s_delay_alu instid0(VALU_DEP_2)
	v_fma_f64 v[12:13], v[1:2], -v[12:13], v[29:30]
	ds_store_b128 v5, v[10:13]
	v_add_nc_u32_e32 v5, 32, v5
	s_and_not1_b32 exec_lo, exec_lo, s22
	s_cbranch_execnz .LBB68_69
	s_branch .LBB68_57
.LBB68_70:                              ;   in Loop: Header=BB68_10 Depth=1
	s_and_saveexec_b32 s3, s0
	s_cbranch_execz .LBB68_9
; %bb.71:                               ;   in Loop: Header=BB68_10 Depth=1
	v_dual_mov_b32 v3, v28 :: v_dual_mov_b32 v4, v18
	s_mov_b32 s22, 0
	s_set_inst_prefetch_distance 0x1
	s_branch .LBB68_74
	.p2align	6
.LBB68_72:                              ;   in Loop: Header=BB68_74 Depth=2
	ds_load_2addr_b64 v[5:8], v3 offset1:1
	v_ashrrev_i32_e32 v2, 31, v1
	s_delay_alu instid0(VALU_DEP_1) | instskip(NEXT) | instid1(VALU_DEP_1)
	v_lshlrev_b64 v[1:2], 4, v[1:2]
	v_add_co_u32 v1, vcc_lo, s18, v1
	s_delay_alu instid0(VALU_DEP_2)
	v_add_co_ci_u32_e32 v2, vcc_lo, s19, v2, vcc_lo
	s_waitcnt lgkmcnt(0)
	global_store_b128 v[1:2], v[5:8], off
.LBB68_73:                              ;   in Loop: Header=BB68_74 Depth=2
	s_or_b32 exec_lo, exec_lo, s23
	v_add_nc_u32_e32 v4, 2, v4
	v_add_nc_u32_e32 v3, 32, v3
	s_delay_alu instid0(VALU_DEP_2) | instskip(SKIP_1) | instid1(SALU_CYCLE_1)
	v_cmp_le_i32_e32 vcc_lo, s29, v4
	s_or_b32 s22, vcc_lo, s22
	s_and_not1_b32 exec_lo, exec_lo, s22
	s_cbranch_execz .LBB68_9
.LBB68_74:                              ;   Parent Loop BB68_10 Depth=1
                                        ; =>  This Inner Loop Header: Depth=2
	s_and_saveexec_b32 s23, s1
	s_cbranch_execz .LBB68_73
; %bb.75:                               ;   in Loop: Header=BB68_74 Depth=2
	s_and_b32 vcc_lo, exec_lo, s34
	s_cbranch_vccz .LBB68_77
; %bb.76:                               ;   in Loop: Header=BB68_74 Depth=2
	v_add_nc_u32_e32 v5, s21, v4
	s_delay_alu instid0(VALU_DEP_1)
	v_mad_u64_u32 v[1:2], null, v5, s29, v[9:10]
	s_cbranch_execnz .LBB68_72
	s_branch .LBB68_78
	.p2align	6
.LBB68_77:                              ;   in Loop: Header=BB68_74 Depth=2
                                        ; implicit-def: $vgpr1
.LBB68_78:                              ;   in Loop: Header=BB68_74 Depth=2
	v_add_nc_u32_e32 v1, v25, v4
	s_branch .LBB68_72
.LBB68_79:                              ;   in Loop: Header=BB68_10 Depth=1
                                        ; implicit-def: $sgpr20
                                        ; implicit-def: $vgpr25
	s_cbranch_execz .LBB68_10
.LBB68_80:
	v_cmp_gt_i32_e64 s0, s29, v18
	s_delay_alu instid0(VALU_DEP_1)
	s_and_saveexec_b32 s4, s0
	s_cbranch_execz .LBB68_93
; %bb.81:
	s_mul_i32 s5, s28, s29
	v_cmp_gt_i32_e64 s1, s29, v9
	v_add_nc_u32_e32 v0, s5, v9
	v_add3_u32 v7, v19, v20, 0x4200
	v_mov_b32_e32 v8, v18
	s_cmp_lg_u32 s30, 0
	s_mov_b32 s12, 0
	v_mul_lo_u32 v6, v0, s29
	s_cselect_b32 s13, -1, 0
	s_branch .LBB68_83
.LBB68_82:                              ;   in Loop: Header=BB68_83 Depth=1
	s_or_b32 exec_lo, exec_lo, s2
	v_add_nc_u32_e32 v8, 2, v8
	s_waitcnt vmcnt(0)
	ds_store_b128 v7, v[0:3]
	v_add_nc_u32_e32 v7, 32, v7
	v_cmp_le_i32_e32 vcc_lo, s29, v8
	s_or_b32 s12, vcc_lo, s12
	s_delay_alu instid0(SALU_CYCLE_1)
	s_and_not1_b32 exec_lo, exec_lo, s12
	s_cbranch_execz .LBB68_93
.LBB68_83:                              ; =>This Inner Loop Header: Depth=1
	s_and_b32 vcc_lo, exec_lo, s13
	s_cbranch_vccz .LBB68_87
; %bb.84:                               ;   in Loop: Header=BB68_83 Depth=1
	s_mov_b32 s15, 0
	s_mov_b32 s14, 0
                                        ; implicit-def: $vgpr4
	s_and_saveexec_b32 s2, s1
	s_delay_alu instid0(SALU_CYCLE_1)
	s_xor_b32 s2, exec_lo, s2
; %bb.85:                               ;   in Loop: Header=BB68_83 Depth=1
	v_add_nc_u32_e32 v0, s5, v8
	s_mov_b32 s14, exec_lo
	s_delay_alu instid0(VALU_DEP_1)
	v_mad_u64_u32 v[4:5], null, v0, s29, v[9:10]
; %bb.86:                               ;   in Loop: Header=BB68_83 Depth=1
	s_or_b32 exec_lo, exec_lo, s2
	s_mov_b64 s[2:3], 0
	s_and_b32 vcc_lo, exec_lo, s15
	s_cbranch_vccnz .LBB68_88
	s_branch .LBB68_91
.LBB68_87:                              ;   in Loop: Header=BB68_83 Depth=1
	s_mov_b32 s14, 0
                                        ; implicit-def: $vgpr4
                                        ; implicit-def: $sgpr2_sgpr3
	s_cbranch_execz .LBB68_91
.LBB68_88:                              ;   in Loop: Header=BB68_83 Depth=1
                                        ; implicit-def: $vgpr4
	s_and_saveexec_b32 s2, s1
; %bb.89:                               ;   in Loop: Header=BB68_83 Depth=1
	v_add_nc_u32_e32 v4, v6, v8
	s_or_b32 s14, s14, exec_lo
; %bb.90:                               ;   in Loop: Header=BB68_83 Depth=1
	s_or_b32 exec_lo, exec_lo, s2
	s_mov_b64 s[2:3], 0
.LBB68_91:                              ;   in Loop: Header=BB68_83 Depth=1
	s_delay_alu instid0(SALU_CYCLE_1)
	v_dual_mov_b32 v0, s2 :: v_dual_mov_b32 v1, s3
	v_dual_mov_b32 v2, s2 :: v_dual_mov_b32 v3, s3
	s_and_saveexec_b32 s2, s14
	s_cbranch_execz .LBB68_82
; %bb.92:                               ;   in Loop: Header=BB68_83 Depth=1
	v_ashrrev_i32_e32 v5, 31, v4
	s_delay_alu instid0(VALU_DEP_1) | instskip(NEXT) | instid1(VALU_DEP_1)
	v_lshlrev_b64 v[0:1], 4, v[4:5]
	v_add_co_u32 v0, vcc_lo, s18, v0
	s_delay_alu instid0(VALU_DEP_2)
	v_add_co_ci_u32_e32 v1, vcc_lo, s19, v1, vcc_lo
	global_load_b128 v[0:3], v[0:1], off
	s_branch .LBB68_82
.LBB68_93:
	s_or_b32 exec_lo, exec_lo, s4
; %bb.94:
	s_cmp_lt_i32 s29, 1
	s_waitcnt lgkmcnt(0)
	buffer_gl0_inv
	s_cbranch_scc1 .LBB68_113
; %bb.95:
	v_lshlrev_b32_e32 v0, 4, v9
	v_or_b32_e32 v1, v18, v9
	s_movk_i32 s1, 0x4200
	v_add3_u32 v10, v19, v20, 0x8400
	v_mad_u32_u24 v11, 0x210, v18, s1
	v_mad_u32_u24 v0, 0x210, v9, v0
	v_cmp_ne_u32_e64 s1, 0, v1
	s_mov_b32 s3, 0
	s_add_i32 s4, s16, s17
	v_mov_b32_e32 v2, 0
	v_add_nc_u32_e32 v12, 0x4200, v0
	v_add_nc_u32_e32 v13, 0x8400, v0
	s_branch .LBB68_97
.LBB68_96:                              ;   in Loop: Header=BB68_97 Depth=1
	s_or_b32 exec_lo, exec_lo, s2
	v_add_nc_u32_e32 v11, 16, v11
	s_add_i32 s3, s3, 1
	s_waitcnt lgkmcnt(0)
	s_waitcnt_vscnt null, 0x0
	buffer_gl0_inv
	s_cmp_eq_u32 s3, s29
	s_cbranch_scc1 .LBB68_113
.LBB68_97:                              ; =>This Loop Header: Depth=1
                                        ;     Child Loop BB68_112 Depth 2
	s_mov_b32 s5, exec_lo
	v_cmpx_eq_u32_e64 s3, v9
	s_cbranch_execz .LBB68_105
; %bb.98:                               ;   in Loop: Header=BB68_97 Depth=1
	ds_load_b128 v[3:6], v13
	ds_load_b128 v[14:17], v12
	s_waitcnt lgkmcnt(0)
	v_add_f64 v[0:1], v[14:15], -v[3:4]
	v_add_f64 v[7:8], v[16:17], -v[5:6]
                                        ; implicit-def: $vgpr5_vgpr6
	s_delay_alu instid0(VALU_DEP_2) | instskip(NEXT) | instid1(VALU_DEP_2)
	v_cmp_gt_f64_e32 vcc_lo, 0, v[0:1]
	v_cmp_gt_f64_e64 s2, 0, v[7:8]
	v_xor_b32_e32 v3, 0x80000000, v1
	v_xor_b32_e32 v4, 0x80000000, v8
	s_delay_alu instid0(VALU_DEP_2) | instskip(NEXT) | instid1(VALU_DEP_2)
	v_dual_cndmask_b32 v1, v1, v3 :: v_dual_cndmask_b32 v0, v0, v0
	v_cndmask_b32_e64 v4, v8, v4, s2
	v_cndmask_b32_e64 v3, v7, v7, s2
	s_mov_b32 s2, exec_lo
	s_delay_alu instid0(VALU_DEP_1)
	v_cmpx_ngt_f64_e32 v[0:1], v[3:4]
	s_xor_b32 s2, exec_lo, s2
	s_cbranch_execz .LBB68_102
; %bb.99:                               ;   in Loop: Header=BB68_97 Depth=1
	v_mov_b32_e32 v5, 0
	v_mov_b32_e32 v6, 0
	s_mov_b32 s12, exec_lo
	v_cmpx_neq_f64_e32 0, v[7:8]
	s_cbranch_execz .LBB68_101
; %bb.100:                              ;   in Loop: Header=BB68_97 Depth=1
	v_div_scale_f64 v[5:6], null, v[3:4], v[3:4], v[0:1]
	v_div_scale_f64 v[16:17], vcc_lo, v[0:1], v[3:4], v[0:1]
	s_delay_alu instid0(VALU_DEP_2) | instskip(SKIP_2) | instid1(VALU_DEP_1)
	v_rcp_f64_e32 v[7:8], v[5:6]
	s_waitcnt_depctr 0xfff
	v_fma_f64 v[14:15], -v[5:6], v[7:8], 1.0
	v_fma_f64 v[7:8], v[7:8], v[14:15], v[7:8]
	s_delay_alu instid0(VALU_DEP_1) | instskip(NEXT) | instid1(VALU_DEP_1)
	v_fma_f64 v[14:15], -v[5:6], v[7:8], 1.0
	v_fma_f64 v[7:8], v[7:8], v[14:15], v[7:8]
	s_delay_alu instid0(VALU_DEP_1) | instskip(NEXT) | instid1(VALU_DEP_1)
	v_mul_f64 v[14:15], v[16:17], v[7:8]
	v_fma_f64 v[5:6], -v[5:6], v[14:15], v[16:17]
	s_delay_alu instid0(VALU_DEP_1) | instskip(NEXT) | instid1(VALU_DEP_1)
	v_div_fmas_f64 v[5:6], v[5:6], v[7:8], v[14:15]
	v_div_fixup_f64 v[0:1], v[5:6], v[3:4], v[0:1]
	s_delay_alu instid0(VALU_DEP_1) | instskip(NEXT) | instid1(VALU_DEP_1)
	v_fma_f64 v[0:1], v[0:1], v[0:1], 1.0
	v_cmp_gt_f64_e32 vcc_lo, 0x10000000, v[0:1]
	v_cndmask_b32_e64 v5, 0, 1, vcc_lo
	s_delay_alu instid0(VALU_DEP_1) | instskip(NEXT) | instid1(VALU_DEP_1)
	v_lshlrev_b32_e32 v5, 8, v5
	v_ldexp_f64 v[0:1], v[0:1], v5
	s_delay_alu instid0(VALU_DEP_1) | instskip(SKIP_3) | instid1(VALU_DEP_1)
	v_rsq_f64_e32 v[5:6], v[0:1]
	s_waitcnt_depctr 0xfff
	v_mul_f64 v[7:8], v[0:1], v[5:6]
	v_mul_f64 v[5:6], v[5:6], 0.5
	v_fma_f64 v[14:15], -v[5:6], v[7:8], 0.5
	s_delay_alu instid0(VALU_DEP_1) | instskip(SKIP_1) | instid1(VALU_DEP_2)
	v_fma_f64 v[7:8], v[7:8], v[14:15], v[7:8]
	v_fma_f64 v[5:6], v[5:6], v[14:15], v[5:6]
	v_fma_f64 v[14:15], -v[7:8], v[7:8], v[0:1]
	s_delay_alu instid0(VALU_DEP_1) | instskip(NEXT) | instid1(VALU_DEP_1)
	v_fma_f64 v[7:8], v[14:15], v[5:6], v[7:8]
	v_fma_f64 v[14:15], -v[7:8], v[7:8], v[0:1]
	s_delay_alu instid0(VALU_DEP_1) | instskip(SKIP_2) | instid1(VALU_DEP_2)
	v_fma_f64 v[5:6], v[14:15], v[5:6], v[7:8]
	v_cndmask_b32_e64 v7, 0, 0xffffff80, vcc_lo
	v_cmp_class_f64_e64 vcc_lo, v[0:1], 0x260
	v_ldexp_f64 v[5:6], v[5:6], v7
	s_delay_alu instid0(VALU_DEP_1) | instskip(NEXT) | instid1(VALU_DEP_1)
	v_dual_cndmask_b32 v1, v6, v1 :: v_dual_cndmask_b32 v0, v5, v0
	v_mul_f64 v[5:6], v[3:4], v[0:1]
.LBB68_101:                             ;   in Loop: Header=BB68_97 Depth=1
	s_or_b32 exec_lo, exec_lo, s12
                                        ; implicit-def: $vgpr0_vgpr1
                                        ; implicit-def: $vgpr3_vgpr4
.LBB68_102:                             ;   in Loop: Header=BB68_97 Depth=1
	s_and_not1_saveexec_b32 s2, s2
	s_cbranch_execz .LBB68_104
; %bb.103:                              ;   in Loop: Header=BB68_97 Depth=1
	v_div_scale_f64 v[5:6], null, v[0:1], v[0:1], v[3:4]
	v_div_scale_f64 v[16:17], vcc_lo, v[3:4], v[0:1], v[3:4]
	s_delay_alu instid0(VALU_DEP_2) | instskip(SKIP_2) | instid1(VALU_DEP_1)
	v_rcp_f64_e32 v[7:8], v[5:6]
	s_waitcnt_depctr 0xfff
	v_fma_f64 v[14:15], -v[5:6], v[7:8], 1.0
	v_fma_f64 v[7:8], v[7:8], v[14:15], v[7:8]
	s_delay_alu instid0(VALU_DEP_1) | instskip(NEXT) | instid1(VALU_DEP_1)
	v_fma_f64 v[14:15], -v[5:6], v[7:8], 1.0
	v_fma_f64 v[7:8], v[7:8], v[14:15], v[7:8]
	s_delay_alu instid0(VALU_DEP_1) | instskip(NEXT) | instid1(VALU_DEP_1)
	v_mul_f64 v[14:15], v[16:17], v[7:8]
	v_fma_f64 v[5:6], -v[5:6], v[14:15], v[16:17]
	s_delay_alu instid0(VALU_DEP_1) | instskip(NEXT) | instid1(VALU_DEP_1)
	v_div_fmas_f64 v[5:6], v[5:6], v[7:8], v[14:15]
	v_div_fixup_f64 v[3:4], v[5:6], v[0:1], v[3:4]
	s_delay_alu instid0(VALU_DEP_1) | instskip(NEXT) | instid1(VALU_DEP_1)
	v_fma_f64 v[3:4], v[3:4], v[3:4], 1.0
	v_cmp_gt_f64_e32 vcc_lo, 0x10000000, v[3:4]
	v_cndmask_b32_e64 v5, 0, 1, vcc_lo
	s_delay_alu instid0(VALU_DEP_1) | instskip(NEXT) | instid1(VALU_DEP_1)
	v_lshlrev_b32_e32 v5, 8, v5
	v_ldexp_f64 v[3:4], v[3:4], v5
	s_delay_alu instid0(VALU_DEP_1) | instskip(SKIP_3) | instid1(VALU_DEP_1)
	v_rsq_f64_e32 v[5:6], v[3:4]
	s_waitcnt_depctr 0xfff
	v_mul_f64 v[7:8], v[3:4], v[5:6]
	v_mul_f64 v[5:6], v[5:6], 0.5
	v_fma_f64 v[14:15], -v[5:6], v[7:8], 0.5
	s_delay_alu instid0(VALU_DEP_1) | instskip(SKIP_1) | instid1(VALU_DEP_2)
	v_fma_f64 v[7:8], v[7:8], v[14:15], v[7:8]
	v_fma_f64 v[5:6], v[5:6], v[14:15], v[5:6]
	v_fma_f64 v[14:15], -v[7:8], v[7:8], v[3:4]
	s_delay_alu instid0(VALU_DEP_1) | instskip(NEXT) | instid1(VALU_DEP_1)
	v_fma_f64 v[7:8], v[14:15], v[5:6], v[7:8]
	v_fma_f64 v[14:15], -v[7:8], v[7:8], v[3:4]
	s_delay_alu instid0(VALU_DEP_1) | instskip(SKIP_2) | instid1(VALU_DEP_2)
	v_fma_f64 v[5:6], v[14:15], v[5:6], v[7:8]
	v_cndmask_b32_e64 v7, 0, 0xffffff80, vcc_lo
	v_cmp_class_f64_e64 vcc_lo, v[3:4], 0x260
	v_ldexp_f64 v[5:6], v[5:6], v7
	s_delay_alu instid0(VALU_DEP_1) | instskip(NEXT) | instid1(VALU_DEP_1)
	v_dual_cndmask_b32 v4, v6, v4 :: v_dual_cndmask_b32 v3, v5, v3
	v_mul_f64 v[5:6], v[0:1], v[3:4]
.LBB68_104:                             ;   in Loop: Header=BB68_97 Depth=1
	s_or_b32 exec_lo, exec_lo, s2
	s_delay_alu instid0(VALU_DEP_1) | instskip(SKIP_1) | instid1(VALU_DEP_1)
	v_cmp_gt_f64_e32 vcc_lo, 0x10000000, v[5:6]
	v_cndmask_b32_e64 v0, 0, 1, vcc_lo
	v_lshlrev_b32_e32 v0, 8, v0
	s_delay_alu instid0(VALU_DEP_1) | instskip(NEXT) | instid1(VALU_DEP_1)
	v_ldexp_f64 v[0:1], v[5:6], v0
	v_rsq_f64_e32 v[3:4], v[0:1]
	s_waitcnt_depctr 0xfff
	v_mul_f64 v[5:6], v[0:1], v[3:4]
	v_mul_f64 v[3:4], v[3:4], 0.5
	s_delay_alu instid0(VALU_DEP_1) | instskip(NEXT) | instid1(VALU_DEP_1)
	v_fma_f64 v[7:8], -v[3:4], v[5:6], 0.5
	v_fma_f64 v[5:6], v[5:6], v[7:8], v[5:6]
	v_fma_f64 v[3:4], v[3:4], v[7:8], v[3:4]
	s_delay_alu instid0(VALU_DEP_2) | instskip(NEXT) | instid1(VALU_DEP_1)
	v_fma_f64 v[7:8], -v[5:6], v[5:6], v[0:1]
	v_fma_f64 v[5:6], v[7:8], v[3:4], v[5:6]
	s_delay_alu instid0(VALU_DEP_1) | instskip(NEXT) | instid1(VALU_DEP_1)
	v_fma_f64 v[7:8], -v[5:6], v[5:6], v[0:1]
	v_fma_f64 v[3:4], v[7:8], v[3:4], v[5:6]
	v_cndmask_b32_e64 v5, 0, 0xffffff80, vcc_lo
	v_cmp_class_f64_e64 vcc_lo, v[0:1], 0x260
	s_delay_alu instid0(VALU_DEP_2) | instskip(NEXT) | instid1(VALU_DEP_1)
	v_ldexp_f64 v[3:4], v[3:4], v5
	v_dual_cndmask_b32 v1, v4, v1 :: v_dual_cndmask_b32 v0, v3, v0
	v_mov_b32_e32 v3, v2
	ds_store_b128 v12, v[0:3]
.LBB68_105:                             ;   in Loop: Header=BB68_97 Depth=1
	s_or_b32 exec_lo, exec_lo, s5
	s_lshl_b32 s5, s3, 4
	s_mul_i32 s2, s3, 0x210
	s_waitcnt lgkmcnt(0)
	buffer_gl0_inv
	s_add_i32 s2, s2, s5
	v_mad_u32_u24 v14, 0x210, v9, s5
	v_mov_b32_e32 v0, s2
	ds_load_b128 v[3:6], v14 offset:16896
	ds_load_b128 v[21:24], v0 offset:16896
	s_waitcnt lgkmcnt(0)
	v_cmp_neq_f64_e32 vcc_lo, 0, v[21:22]
	v_cmp_neq_f64_e64 s2, 0, v[23:24]
	s_delay_alu instid0(VALU_DEP_1) | instskip(SKIP_4) | instid1(SALU_CYCLE_1)
	s_or_b32 vcc_lo, vcc_lo, s2
	v_dual_cndmask_b32 v1, 0, v24 :: v_dual_cndmask_b32 v0, 0, v23
	v_cndmask_b32_e32 v7, 0, v21, vcc_lo
	v_cndmask_b32_e32 v8, 0x3ff00000, v22, vcc_lo
	s_or_b32 s2, vcc_lo, s1
	s_xor_b32 s5, s2, -1
	s_delay_alu instid0(SALU_CYCLE_1)
	s_and_saveexec_b32 s2, s5
	s_cbranch_execz .LBB68_109
; %bb.106:                              ;   in Loop: Header=BB68_97 Depth=1
	v_mbcnt_lo_u32_b32 v0, exec_lo, 0
	s_mov_b32 s5, exec_lo
	s_delay_alu instid0(VALU_DEP_1)
	v_cmpx_eq_u32_e32 0, v0
	s_cbranch_execz .LBB68_108
; %bb.107:                              ;   in Loop: Header=BB68_97 Depth=1
	v_mov_b32_e32 v0, s4
	global_atomic_min_i32 v2, v0, s[10:11]
.LBB68_108:                             ;   in Loop: Header=BB68_97 Depth=1
	s_or_b32 exec_lo, exec_lo, s5
	v_dual_mov_b32 v0, 0 :: v_dual_mov_b32 v7, 0
	v_dual_mov_b32 v1, 0 :: v_dual_mov_b32 v8, 0x3ff00000
.LBB68_109:                             ;   in Loop: Header=BB68_97 Depth=1
	s_or_b32 exec_lo, exec_lo, s2
	s_delay_alu instid0(SALU_CYCLE_1)
	s_mov_b32 s2, exec_lo
	v_cmpx_lt_u32_e64 s3, v9
	s_cbranch_execz .LBB68_96
; %bb.110:                              ;   in Loop: Header=BB68_97 Depth=1
	v_mul_f64 v[15:16], v[0:1], v[0:1]
	v_lshl_add_u32 v17, s3, 4, v19
	s_delay_alu instid0(VALU_DEP_2) | instskip(NEXT) | instid1(VALU_DEP_1)
	v_fma_f64 v[15:16], v[7:8], v[7:8], v[15:16]
	v_div_scale_f64 v[25:26], null, v[15:16], v[15:16], 1.0
	v_div_scale_f64 v[27:28], vcc_lo, 1.0, v[15:16], 1.0
	s_delay_alu instid0(VALU_DEP_2) | instskip(SKIP_2) | instid1(VALU_DEP_1)
	v_rcp_f64_e32 v[21:22], v[25:26]
	s_waitcnt_depctr 0xfff
	v_fma_f64 v[23:24], -v[25:26], v[21:22], 1.0
	v_fma_f64 v[21:22], v[21:22], v[23:24], v[21:22]
	s_delay_alu instid0(VALU_DEP_1) | instskip(NEXT) | instid1(VALU_DEP_1)
	v_fma_f64 v[23:24], -v[25:26], v[21:22], 1.0
	v_fma_f64 v[29:30], v[21:22], v[23:24], v[21:22]
	ds_load_b128 v[21:24], v17 offset:33792
	s_waitcnt lgkmcnt(0)
	v_add_f64 v[5:6], v[5:6], -v[23:24]
	v_add_f64 v[3:4], v[3:4], -v[21:22]
	v_mul_f64 v[31:32], v[27:28], v[29:30]
	s_delay_alu instid0(VALU_DEP_3) | instskip(NEXT) | instid1(VALU_DEP_3)
	v_mul_f64 v[21:22], v[0:1], v[5:6]
	v_mul_f64 v[0:1], v[0:1], -v[3:4]
	s_delay_alu instid0(VALU_DEP_3) | instskip(NEXT) | instid1(VALU_DEP_3)
	v_fma_f64 v[23:24], -v[25:26], v[31:32], v[27:28]
	v_fma_f64 v[3:4], v[3:4], v[7:8], v[21:22]
	s_delay_alu instid0(VALU_DEP_3) | instskip(NEXT) | instid1(VALU_DEP_3)
	v_fma_f64 v[0:1], v[5:6], v[7:8], v[0:1]
	v_div_fmas_f64 v[23:24], v[23:24], v[29:30], v[31:32]
	s_delay_alu instid0(VALU_DEP_1) | instskip(NEXT) | instid1(VALU_DEP_1)
	v_div_fixup_f64 v[15:16], v[23:24], v[15:16], 1.0
	v_mul_f64 v[3:4], v[15:16], v[3:4]
	s_delay_alu instid0(VALU_DEP_4)
	v_mul_f64 v[5:6], v[15:16], v[0:1]
	v_add_nc_u32_e32 v0, 0x4200, v14
	ds_store_b128 v0, v[3:6]
	s_waitcnt lgkmcnt(0)
	s_waitcnt_vscnt null, 0x0
	buffer_gl0_inv
	s_and_b32 exec_lo, exec_lo, s0
	s_cbranch_execz .LBB68_96
; %bb.111:                              ;   in Loop: Header=BB68_97 Depth=1
	v_dual_mov_b32 v0, v10 :: v_dual_mov_b32 v1, v11
	v_mov_b32_e32 v7, v18
	s_mov_b32 s5, 0
	.p2align	6
.LBB68_112:                             ;   Parent Loop BB68_97 Depth=1
                                        ; =>  This Inner Loop Header: Depth=2
	ds_load_b128 v[14:17], v1
	ds_load_b128 v[21:24], v0
	v_add_nc_u32_e32 v7, 2, v7
	v_add_nc_u32_e32 v1, 0x420, v1
	s_delay_alu instid0(VALU_DEP_2) | instskip(SKIP_4) | instid1(VALU_DEP_2)
	v_cmp_le_i32_e32 vcc_lo, s29, v7
	s_or_b32 s5, vcc_lo, s5
	s_waitcnt lgkmcnt(0)
	v_fma_f64 v[21:22], v[3:4], v[14:15], v[21:22]
	v_fma_f64 v[23:24], v[5:6], v[14:15], v[23:24]
	;; [unrolled: 1-line block ×3, first 2 shown]
	s_delay_alu instid0(VALU_DEP_2)
	v_fma_f64 v[16:17], v[3:4], -v[16:17], v[23:24]
	ds_store_b128 v0, v[14:17]
	v_add_nc_u32_e32 v0, 32, v0
	s_and_not1_b32 exec_lo, exec_lo, s5
	s_cbranch_execnz .LBB68_112
	s_branch .LBB68_96
.LBB68_113:
	s_and_saveexec_b32 s1, s0
	s_cbranch_execz .LBB68_122
; %bb.114:
	s_mul_i32 s28, s28, s29
	v_cmp_gt_i32_e64 s0, s29, v9
	v_add_nc_u32_e32 v0, s28, v9
	v_add3_u32 v3, v19, v20, 0x4200
	v_mov_b32_e32 v4, v18
	s_cmp_lg_u32 s30, 0
	s_mov_b32 s2, 0
	v_mul_lo_u32 v2, v0, s29
	s_cselect_b32 s3, -1, 0
	s_set_inst_prefetch_distance 0x1
	s_branch .LBB68_117
	.p2align	6
.LBB68_115:                             ;   in Loop: Header=BB68_117 Depth=1
	ds_load_2addr_b64 v[5:8], v3 offset1:1
	v_ashrrev_i32_e32 v1, 31, v0
	s_delay_alu instid0(VALU_DEP_1) | instskip(NEXT) | instid1(VALU_DEP_1)
	v_lshlrev_b64 v[0:1], 4, v[0:1]
	v_add_co_u32 v0, vcc_lo, s18, v0
	s_delay_alu instid0(VALU_DEP_2)
	v_add_co_ci_u32_e32 v1, vcc_lo, s19, v1, vcc_lo
	s_waitcnt lgkmcnt(0)
	global_store_b128 v[0:1], v[5:8], off
.LBB68_116:                             ;   in Loop: Header=BB68_117 Depth=1
	s_or_b32 exec_lo, exec_lo, s4
	v_add_nc_u32_e32 v4, 2, v4
	v_add_nc_u32_e32 v3, 32, v3
	s_delay_alu instid0(VALU_DEP_2) | instskip(SKIP_1) | instid1(SALU_CYCLE_1)
	v_cmp_le_i32_e32 vcc_lo, s29, v4
	s_or_b32 s2, vcc_lo, s2
	s_and_not1_b32 exec_lo, exec_lo, s2
	s_cbranch_execz .LBB68_122
.LBB68_117:                             ; =>This Inner Loop Header: Depth=1
	s_and_saveexec_b32 s4, s0
	s_cbranch_execz .LBB68_116
; %bb.118:                              ;   in Loop: Header=BB68_117 Depth=1
	s_and_b32 vcc_lo, exec_lo, s3
	s_cbranch_vccz .LBB68_120
; %bb.119:                              ;   in Loop: Header=BB68_117 Depth=1
	v_add_nc_u32_e32 v5, s28, v4
	s_delay_alu instid0(VALU_DEP_1)
	v_mad_u64_u32 v[0:1], null, v5, s29, v[9:10]
	s_cbranch_execnz .LBB68_115
	s_branch .LBB68_121
.LBB68_120:                             ;   in Loop: Header=BB68_117 Depth=1
                                        ; implicit-def: $vgpr0
.LBB68_121:                             ;   in Loop: Header=BB68_117 Depth=1
	v_add_nc_u32_e32 v0, v2, v4
	s_branch .LBB68_115
.LBB68_122:
	s_set_inst_prefetch_distance 0x2
	s_or_b32 exec_lo, exec_lo, s1
	v_or_b32_e32 v0, v18, v9
	s_delay_alu instid0(VALU_DEP_1)
	v_cmp_eq_u32_e64 s3, 0, v0
.LBB68_123:
	s_delay_alu instid0(VALU_DEP_1)
	s_and_saveexec_b32 s0, s3
	s_cbranch_execnz .LBB68_131
.LBB68_124:
	s_nop 0
	s_sendmsg sendmsg(MSG_DEALLOC_VGPRS)
	s_endpgm
.LBB68_125:
	s_cbranch_execz .LBB68_123
; %bb.126:
	v_or_b32_e32 v0, v18, v9
	s_mov_b32 s0, exec_lo
	s_delay_alu instid0(VALU_DEP_1)
	v_cmpx_eq_u32_e32 0, v0
	s_cbranch_execz .LBB68_130
; %bb.127:
	v_mbcnt_lo_u32_b32 v0, exec_lo, 0
	s_mov_b32 s1, exec_lo
	s_delay_alu instid0(VALU_DEP_1)
	v_cmpx_eq_u32_e32 0, v0
	s_cbranch_execz .LBB68_129
; %bb.128:
	s_add_i32 s2, s16, s17
	s_delay_alu instid0(SALU_CYCLE_1)
	v_dual_mov_b32 v0, 0 :: v_dual_mov_b32 v1, s2
	global_atomic_min_i32 v0, v1, s[10:11]
.LBB68_129:
	s_or_b32 exec_lo, exec_lo, s1
	s_delay_alu instid0(SALU_CYCLE_1)
	s_or_b32 s3, s3, exec_lo
.LBB68_130:
	s_or_b32 exec_lo, exec_lo, s0
	s_and_saveexec_b32 s0, s3
	s_cbranch_execz .LBB68_124
.LBB68_131:
	v_dual_mov_b32 v0, 0 :: v_dual_mov_b32 v1, 1
	s_add_u32 s0, s6, s8
	s_addc_u32 s1, s7, s9
	s_waitcnt_vscnt null, 0x0
	global_store_b32 v0, v1, s[0:1]
	s_nop 0
	s_sendmsg sendmsg(MSG_DEALLOC_VGPRS)
	s_endpgm
	.section	.rodata,"a",@progbits
	.p2align	6, 0x0
	.amdhsa_kernel _ZN9rocsparseL19bsric0_17_32_kernelILi64ELi32ELi32E21rocsparse_complex_numIdEEEv20rocsparse_direction_iiPKiS5_PT2_S5_PiS5_S8_21rocsparse_index_base_
		.amdhsa_group_segment_fixed_size 51072
		.amdhsa_private_segment_fixed_size 0
		.amdhsa_kernarg_size 76
		.amdhsa_user_sgpr_count 15
		.amdhsa_user_sgpr_dispatch_ptr 0
		.amdhsa_user_sgpr_queue_ptr 0
		.amdhsa_user_sgpr_kernarg_segment_ptr 1
		.amdhsa_user_sgpr_dispatch_id 0
		.amdhsa_user_sgpr_private_segment_size 0
		.amdhsa_wavefront_size32 1
		.amdhsa_uses_dynamic_stack 0
		.amdhsa_enable_private_segment 0
		.amdhsa_system_sgpr_workgroup_id_x 1
		.amdhsa_system_sgpr_workgroup_id_y 0
		.amdhsa_system_sgpr_workgroup_id_z 0
		.amdhsa_system_sgpr_workgroup_info 0
		.amdhsa_system_vgpr_workitem_id 1
		.amdhsa_next_free_vgpr 37
		.amdhsa_next_free_sgpr 45
		.amdhsa_reserve_vcc 1
		.amdhsa_float_round_mode_32 0
		.amdhsa_float_round_mode_16_64 0
		.amdhsa_float_denorm_mode_32 3
		.amdhsa_float_denorm_mode_16_64 3
		.amdhsa_dx10_clamp 1
		.amdhsa_ieee_mode 1
		.amdhsa_fp16_overflow 0
		.amdhsa_workgroup_processor_mode 1
		.amdhsa_memory_ordered 1
		.amdhsa_forward_progress 0
		.amdhsa_shared_vgpr_count 0
		.amdhsa_exception_fp_ieee_invalid_op 0
		.amdhsa_exception_fp_denorm_src 0
		.amdhsa_exception_fp_ieee_div_zero 0
		.amdhsa_exception_fp_ieee_overflow 0
		.amdhsa_exception_fp_ieee_underflow 0
		.amdhsa_exception_fp_ieee_inexact 0
		.amdhsa_exception_int_div_zero 0
	.end_amdhsa_kernel
	.section	.text._ZN9rocsparseL19bsric0_17_32_kernelILi64ELi32ELi32E21rocsparse_complex_numIdEEEv20rocsparse_direction_iiPKiS5_PT2_S5_PiS5_S8_21rocsparse_index_base_,"axG",@progbits,_ZN9rocsparseL19bsric0_17_32_kernelILi64ELi32ELi32E21rocsparse_complex_numIdEEEv20rocsparse_direction_iiPKiS5_PT2_S5_PiS5_S8_21rocsparse_index_base_,comdat
.Lfunc_end68:
	.size	_ZN9rocsparseL19bsric0_17_32_kernelILi64ELi32ELi32E21rocsparse_complex_numIdEEEv20rocsparse_direction_iiPKiS5_PT2_S5_PiS5_S8_21rocsparse_index_base_, .Lfunc_end68-_ZN9rocsparseL19bsric0_17_32_kernelILi64ELi32ELi32E21rocsparse_complex_numIdEEEv20rocsparse_direction_iiPKiS5_PT2_S5_PiS5_S8_21rocsparse_index_base_
                                        ; -- End function
	.section	.AMDGPU.csdata,"",@progbits
; Kernel info:
; codeLenInByte = 5284
; NumSgprs: 47
; NumVgprs: 37
; ScratchSize: 0
; MemoryBound: 1
; FloatMode: 240
; IeeeMode: 1
; LDSByteSize: 51072 bytes/workgroup (compile time only)
; SGPRBlocks: 5
; VGPRBlocks: 4
; NumSGPRsForWavesPerEU: 47
; NumVGPRsForWavesPerEU: 37
; Occupancy: 1
; WaveLimiterHint : 1
; COMPUTE_PGM_RSRC2:SCRATCH_EN: 0
; COMPUTE_PGM_RSRC2:USER_SGPR: 15
; COMPUTE_PGM_RSRC2:TRAP_HANDLER: 0
; COMPUTE_PGM_RSRC2:TGID_X_EN: 1
; COMPUTE_PGM_RSRC2:TGID_Y_EN: 0
; COMPUTE_PGM_RSRC2:TGID_Z_EN: 0
; COMPUTE_PGM_RSRC2:TIDIG_COMP_CNT: 1
	.section	.text._ZN9rocsparseL23bsric0_binsearch_kernelILj64ELj64ELb0E21rocsparse_complex_numIdEEEv20rocsparse_direction_iiPKiS5_PT2_S5_PiS5_S8_21rocsparse_index_base_,"axG",@progbits,_ZN9rocsparseL23bsric0_binsearch_kernelILj64ELj64ELb0E21rocsparse_complex_numIdEEEv20rocsparse_direction_iiPKiS5_PT2_S5_PiS5_S8_21rocsparse_index_base_,comdat
	.globl	_ZN9rocsparseL23bsric0_binsearch_kernelILj64ELj64ELb0E21rocsparse_complex_numIdEEEv20rocsparse_direction_iiPKiS5_PT2_S5_PiS5_S8_21rocsparse_index_base_ ; -- Begin function _ZN9rocsparseL23bsric0_binsearch_kernelILj64ELj64ELb0E21rocsparse_complex_numIdEEEv20rocsparse_direction_iiPKiS5_PT2_S5_PiS5_S8_21rocsparse_index_base_
	.p2align	8
	.type	_ZN9rocsparseL23bsric0_binsearch_kernelILj64ELj64ELb0E21rocsparse_complex_numIdEEEv20rocsparse_direction_iiPKiS5_PT2_S5_PiS5_S8_21rocsparse_index_base_,@function
_ZN9rocsparseL23bsric0_binsearch_kernelILj64ELj64ELb0E21rocsparse_complex_numIdEEEv20rocsparse_direction_iiPKiS5_PT2_S5_PiS5_S8_21rocsparse_index_base_: ; @_ZN9rocsparseL23bsric0_binsearch_kernelILj64ELj64ELb0E21rocsparse_complex_numIdEEEv20rocsparse_direction_iiPKiS5_PT2_S5_PiS5_S8_21rocsparse_index_base_
; %bb.0:
	s_mov_b32 s2, s15
	s_load_b256 s[8:15], s[0:1], 0x28
	s_ashr_i32 s3, s2, 31
	s_delay_alu instid0(SALU_CYCLE_1)
	s_lshl_b64 s[2:3], s[2:3], 2
	s_waitcnt lgkmcnt(0)
	s_add_u32 s2, s12, s2
	s_addc_u32 s3, s13, s3
	s_load_b32 s12, s[2:3], 0x0
	s_waitcnt lgkmcnt(0)
	s_ashr_i32 s13, s12, 31
	s_delay_alu instid0(SALU_CYCLE_1) | instskip(SKIP_1) | instid1(SALU_CYCLE_1)
	v_dual_mov_b32 v1, s12 :: v_dual_mov_b32 v2, s13
	s_lshl_b64 s[2:3], s[12:13], 2
	s_add_u32 s2, s8, s2
	s_addc_u32 s3, s9, s3
	s_load_b32 s25, s[2:3], 0x0
	s_load_b32 s23, s[0:1], 0x48
	s_mov_b32 s2, 0
	s_waitcnt lgkmcnt(0)
	s_cmp_lg_u32 s25, -1
	s_cselect_b32 s3, -1, 0
	s_delay_alu instid0(SALU_CYCLE_1) | instskip(NEXT) | instid1(SALU_CYCLE_1)
	s_and_saveexec_b32 s4, s3
	s_xor_b32 s24, exec_lo, s4
	s_cbranch_execnz .LBB69_4
; %bb.1:
	s_and_not1_saveexec_b32 s0, s24
	s_cbranch_execnz .LBB69_77
.LBB69_2:
	s_or_b32 exec_lo, exec_lo, s0
	s_and_saveexec_b32 s0, s2
	s_cbranch_execnz .LBB69_84
.LBB69_3:
	s_nop 0
	s_sendmsg sendmsg(MSG_DEALLOC_VGPRS)
	s_endpgm
.LBB69_4:
	s_load_b32 s26, s[0:1], 0x8
	s_mov_b32 s27, exec_lo
	s_waitcnt lgkmcnt(0)
	v_cmpx_gt_i32_e64 s26, v0
	s_cbranch_execz .LBB69_76
; %bb.5:
	s_clause 0x1
	s_load_b128 s[16:19], s[0:1], 0x10
	s_load_b32 s5, s[0:1], 0x0
	v_lshlrev_b64 v[2:3], 2, s[12:13]
	s_load_b64 s[20:21], s[0:1], 0x20
	s_mul_i32 s28, s26, s26
	v_add_nc_u32_e32 v33, s23, v1
	v_mul_lo_u32 v35, s25, s28
	v_cmp_ne_u32_e64 s0, 0, v0
	s_mov_b32 s29, 0
	v_mov_b32_e32 v37, v0
	s_waitcnt lgkmcnt(0)
	v_add_co_u32 v2, vcc_lo, s16, v2
	v_add_co_ci_u32_e32 v3, vcc_lo, s17, v3, vcc_lo
	s_cmp_eq_u32 s5, 0
	s_cselect_b32 s1, -1, 0
	global_load_b64 v[2:3], v[2:3], off
	s_cmp_lg_u32 s5, 0
	s_cselect_b32 s30, -1, 0
	s_waitcnt vmcnt(0)
	v_subrev_nc_u32_e32 v31, s23, v2
	v_xad_u32 v32, s23, -1, v3
	v_mov_b32_e32 v3, 0
	s_delay_alu instid0(VALU_DEP_3) | instskip(NEXT) | instid1(VALU_DEP_3)
	v_mul_lo_u32 v34, s28, v31
	v_add_nc_u32_e32 v2, v32, v31
	v_cmp_gt_i32_e64 s2, s25, v31
	v_cmp_le_i32_e64 s3, s25, v31
	v_cmp_lt_i32_e64 s4, v31, v32
	s_delay_alu instid0(VALU_DEP_4) | instskip(SKIP_1) | instid1(VALU_DEP_2)
	v_ashrrev_i32_e32 v8, 1, v2
	v_add_nc_u32_e32 v36, v34, v0
	v_ashrrev_i32_e32 v9, 31, v8
	s_delay_alu instid0(VALU_DEP_1) | instskip(NEXT) | instid1(VALU_DEP_1)
	v_lshlrev_b64 v[1:2], 2, v[8:9]
	v_add_co_u32 v9, vcc_lo, s18, v1
	s_delay_alu instid0(VALU_DEP_2)
	v_add_co_ci_u32_e32 v10, vcc_lo, s19, v2, vcc_lo
	s_branch .LBB69_7
.LBB69_6:                               ;   in Loop: Header=BB69_7 Depth=1
	v_add_nc_u32_e32 v37, 64, v37
	v_add_nc_u32_e32 v36, 64, v36
	s_delay_alu instid0(VALU_DEP_2) | instskip(SKIP_1) | instid1(SALU_CYCLE_1)
	v_cmp_le_i32_e32 vcc_lo, s26, v37
	s_or_b32 s29, vcc_lo, s29
	s_and_not1_b32 exec_lo, exec_lo, s29
	s_cbranch_execz .LBB69_76
.LBB69_7:                               ; =>This Loop Header: Depth=1
                                        ;     Child Loop BB69_13 Depth 2
                                        ;       Child Loop BB69_16 Depth 3
                                        ;       Child Loop BB69_20 Depth 3
                                        ;         Child Loop BB69_22 Depth 4
                                        ;         Child Loop BB69_29 Depth 4
                                        ;           Child Loop BB69_31 Depth 5
                                        ;           Child Loop BB69_37 Depth 5
                                        ;     Child Loop BB69_44 Depth 2
                                        ;       Child Loop BB69_54 Depth 3
                                        ;       Child Loop BB69_62 Depth 3
                                        ;         Child Loop BB69_64 Depth 4
                                        ;       Child Loop BB69_72 Depth 3
	v_mul_lo_u32 v38, v37, s26
                                        ; implicit-def: $sgpr6_sgpr7
	s_and_saveexec_b32 s5, s3
	s_delay_alu instid0(SALU_CYCLE_1)
	s_xor_b32 s5, exec_lo, s5
; %bb.8:                                ;   in Loop: Header=BB69_7 Depth=1
	v_mul_lo_u32 v38, v37, s26
	s_mov_b64 s[6:7], 0
; %bb.9:                                ;   in Loop: Header=BB69_7 Depth=1
	s_or_saveexec_b32 s31, s5
	v_dual_mov_b32 v12, s7 :: v_dual_mov_b32 v11, s6
	v_dual_mov_b32 v14, s7 :: v_dual_mov_b32 v13, s6
	s_xor_b32 exec_lo, exec_lo, s31
	s_cbranch_execz .LBB69_41
; %bb.10:                               ;   in Loop: Header=BB69_7 Depth=1
	v_mov_b32_e32 v11, 0
	v_dual_mov_b32 v12, 0 :: v_dual_mov_b32 v1, v31
	s_mov_b32 s7, 0
                                        ; implicit-def: $sgpr33
	s_delay_alu instid0(VALU_DEP_1)
	v_dual_mov_b32 v14, v12 :: v_dual_mov_b32 v13, v11
	s_branch .LBB69_13
.LBB69_11:                              ;   in Loop: Header=BB69_13 Depth=2
	v_add_nc_u32_e32 v1, 1, v1
	s_and_not1_b32 s5, s33, exec_lo
	s_delay_alu instid0(VALU_DEP_1) | instskip(SKIP_1) | instid1(SALU_CYCLE_1)
	v_cmp_le_i32_e32 vcc_lo, s25, v1
	s_and_b32 s6, vcc_lo, exec_lo
	s_or_b32 s33, s5, s6
.LBB69_12:                              ;   in Loop: Header=BB69_13 Depth=2
	s_or_b32 exec_lo, exec_lo, s34
	s_delay_alu instid0(SALU_CYCLE_1) | instskip(NEXT) | instid1(SALU_CYCLE_1)
	s_and_b32 s5, exec_lo, s33
	s_or_b32 s7, s5, s7
	s_delay_alu instid0(SALU_CYCLE_1)
	s_and_not1_b32 exec_lo, exec_lo, s7
	s_cbranch_execz .LBB69_40
.LBB69_13:                              ;   Parent Loop BB69_7 Depth=1
                                        ; =>  This Loop Header: Depth=2
                                        ;       Child Loop BB69_16 Depth 3
                                        ;       Child Loop BB69_20 Depth 3
                                        ;         Child Loop BB69_22 Depth 4
                                        ;         Child Loop BB69_29 Depth 4
                                        ;           Child Loop BB69_31 Depth 5
                                        ;           Child Loop BB69_37 Depth 5
	s_delay_alu instid0(VALU_DEP_2) | instskip(SKIP_2) | instid1(VALU_DEP_1)
	v_ashrrev_i32_e32 v2, 31, v1
	s_or_b32 s33, s33, exec_lo
	s_mov_b32 s34, exec_lo
	v_lshlrev_b64 v[4:5], 2, v[1:2]
	s_delay_alu instid0(VALU_DEP_1) | instskip(NEXT) | instid1(VALU_DEP_2)
	v_add_co_u32 v4, vcc_lo, s18, v4
	v_add_co_ci_u32_e32 v5, vcc_lo, s19, v5, vcc_lo
	global_load_b32 v2, v[4:5], off
	s_waitcnt vmcnt(0)
	v_subrev_nc_u32_e32 v4, s23, v2
	s_delay_alu instid0(VALU_DEP_1) | instskip(NEXT) | instid1(VALU_DEP_1)
	v_ashrrev_i32_e32 v5, 31, v4
	v_lshlrev_b64 v[5:6], 2, v[4:5]
	s_delay_alu instid0(VALU_DEP_1) | instskip(NEXT) | instid1(VALU_DEP_2)
	v_add_co_u32 v15, vcc_lo, s8, v5
	v_add_co_ci_u32_e32 v16, vcc_lo, s9, v6, vcc_lo
	global_load_b32 v39, v[15:16], off
	s_waitcnt vmcnt(0)
	v_cmpx_ne_u32_e32 -1, v39
	s_cbranch_execz .LBB69_12
; %bb.14:                               ;   in Loop: Header=BB69_13 Depth=2
	v_add_co_u32 v15, vcc_lo, s16, v5
	v_add_co_ci_u32_e32 v16, vcc_lo, s17, v6, vcc_lo
	v_add_co_u32 v5, vcc_lo, s10, v5
	v_add_co_ci_u32_e32 v6, vcc_lo, s11, v6, vcc_lo
	s_mov_b32 s5, exec_lo
	global_load_b32 v7, v[15:16], off
	global_load_b32 v15, v[5:6], off glc
	s_waitcnt vmcnt(0)
	v_cmpx_eq_u32_e32 0, v15
	s_cbranch_execz .LBB69_17
; %bb.15:                               ;   in Loop: Header=BB69_13 Depth=2
	s_mov_b32 s6, 0
.LBB69_16:                              ;   Parent Loop BB69_7 Depth=1
                                        ;     Parent Loop BB69_13 Depth=2
                                        ; =>    This Inner Loop Header: Depth=3
	global_load_b32 v15, v[5:6], off glc
	s_waitcnt vmcnt(0)
	v_cmp_ne_u32_e32 vcc_lo, 0, v15
	s_or_b32 s6, vcc_lo, s6
	s_delay_alu instid0(SALU_CYCLE_1)
	s_and_not1_b32 exec_lo, exec_lo, s6
	s_cbranch_execnz .LBB69_16
.LBB69_17:                              ;   in Loop: Header=BB69_13 Depth=2
	s_or_b32 exec_lo, exec_lo, s5
	v_mul_lo_u32 v5, v1, s28
	v_subrev_nc_u32_e32 v40, s23, v7
	v_mul_lo_u32 v41, v4, s26
	v_mul_lo_u32 v42, v39, s28
	s_mov_b32 s35, 0
	buffer_gl1_inv
	buffer_gl0_inv
	v_mul_lo_u32 v43, s28, v40
	v_cmp_le_i32_e64 s5, v40, v39
	v_add_nc_u32_e32 v44, v5, v37
	v_add_nc_u32_e32 v45, v5, v38
	s_branch .LBB69_20
.LBB69_18:                              ;   in Loop: Header=BB69_20 Depth=3
	s_or_b32 exec_lo, exec_lo, s36
.LBB69_19:                              ;   in Loop: Header=BB69_20 Depth=3
	s_delay_alu instid0(SALU_CYCLE_1)
	s_or_b32 exec_lo, exec_lo, s6
	v_mul_f64 v[25:26], v[17:18], v[17:18]
	s_waitcnt vmcnt(0)
	v_add_f64 v[6:7], v[6:7], -v[21:22]
	v_add_f64 v[4:5], v[4:5], -v[23:24]
	v_add_nc_u32_e32 v43, 1, v43
	s_add_i32 s35, s35, 1
	s_delay_alu instid0(SALU_CYCLE_1) | instskip(NEXT) | instid1(VALU_DEP_4)
	s_cmp_eq_u32 s35, s26
	v_fma_f64 v[25:26], v[15:16], v[15:16], v[25:26]
	s_delay_alu instid0(VALU_DEP_4) | instskip(NEXT) | instid1(VALU_DEP_4)
	v_mul_f64 v[23:24], v[17:18], v[6:7]
	v_mul_f64 v[17:18], v[17:18], -v[4:5]
	s_delay_alu instid0(VALU_DEP_3) | instskip(SKIP_1) | instid1(VALU_DEP_4)
	v_div_scale_f64 v[27:28], null, v[25:26], v[25:26], 1.0
	v_div_scale_f64 v[48:49], vcc_lo, 1.0, v[25:26], 1.0
	v_fma_f64 v[4:5], v[4:5], v[15:16], v[23:24]
	s_delay_alu instid0(VALU_DEP_4) | instskip(NEXT) | instid1(VALU_DEP_4)
	v_fma_f64 v[6:7], v[6:7], v[15:16], v[17:18]
	v_rcp_f64_e32 v[29:30], v[27:28]
	s_waitcnt_depctr 0xfff
	v_fma_f64 v[46:47], -v[27:28], v[29:30], 1.0
	s_delay_alu instid0(VALU_DEP_1) | instskip(NEXT) | instid1(VALU_DEP_1)
	v_fma_f64 v[29:30], v[29:30], v[46:47], v[29:30]
	v_fma_f64 v[46:47], -v[27:28], v[29:30], 1.0
	s_delay_alu instid0(VALU_DEP_1) | instskip(NEXT) | instid1(VALU_DEP_1)
	v_fma_f64 v[29:30], v[29:30], v[46:47], v[29:30]
	v_mul_f64 v[46:47], v[48:49], v[29:30]
	s_delay_alu instid0(VALU_DEP_1) | instskip(NEXT) | instid1(VALU_DEP_1)
	v_fma_f64 v[21:22], -v[27:28], v[46:47], v[48:49]
	v_div_fmas_f64 v[21:22], v[21:22], v[29:30], v[46:47]
	s_delay_alu instid0(VALU_DEP_1) | instskip(NEXT) | instid1(VALU_DEP_1)
	v_div_fixup_f64 v[21:22], v[21:22], v[25:26], 1.0
	v_mul_f64 v[4:5], v[21:22], v[4:5]
	v_mul_f64 v[6:7], v[21:22], v[6:7]
	s_delay_alu instid0(VALU_DEP_2) | instskip(NEXT) | instid1(VALU_DEP_2)
	v_fma_f64 v[13:14], v[4:5], v[4:5], v[13:14]
	v_fma_f64 v[11:12], v[6:7], v[4:5], v[11:12]
	global_store_b128 v[19:20], v[4:7], off
	v_fma_f64 v[13:14], v[6:7], v[6:7], v[13:14]
	v_fma_f64 v[11:12], v[4:5], -v[6:7], v[11:12]
	s_cbranch_scc1 .LBB69_11
.LBB69_20:                              ;   Parent Loop BB69_7 Depth=1
                                        ;     Parent Loop BB69_13 Depth=2
                                        ; =>    This Loop Header: Depth=3
                                        ;         Child Loop BB69_22 Depth 4
                                        ;         Child Loop BB69_29 Depth 4
                                        ;           Child Loop BB69_31 Depth 5
                                        ;           Child Loop BB69_37 Depth 5
	s_mul_i32 s22, s35, s26
	s_delay_alu instid0(SALU_CYCLE_1) | instskip(NEXT) | instid1(VALU_DEP_1)
	v_add3_u32 v4, s22, s35, v42
	v_ashrrev_i32_e32 v5, 31, v4
	s_delay_alu instid0(VALU_DEP_1) | instskip(NEXT) | instid1(VALU_DEP_1)
	v_lshlrev_b64 v[4:5], 4, v[4:5]
	v_add_co_u32 v4, vcc_lo, s20, v4
	s_delay_alu instid0(VALU_DEP_2) | instskip(SKIP_4) | instid1(VALU_DEP_1)
	v_add_co_ci_u32_e32 v5, vcc_lo, s21, v5, vcc_lo
	global_load_b128 v[4:7], v[4:5], off
	s_waitcnt vmcnt(0)
	v_cmp_neq_f64_e32 vcc_lo, 0, v[4:5]
	v_cmp_neq_f64_e64 s6, 0, v[6:7]
	s_or_b32 vcc_lo, vcc_lo, s6
	v_cndmask_b32_e32 v16, 0x3ff00000, v5, vcc_lo
	v_dual_cndmask_b32 v15, 0, v4 :: v_dual_cndmask_b32 v18, 0, v7
	v_cndmask_b32_e32 v17, 0, v6, vcc_lo
	s_or_b32 s6, vcc_lo, s0
	s_delay_alu instid0(SALU_CYCLE_1) | instskip(NEXT) | instid1(SALU_CYCLE_1)
	s_xor_b32 s36, s6, -1
	s_and_saveexec_b32 s6, s36
	s_cbranch_execz .LBB69_26
; %bb.21:                               ;   in Loop: Header=BB69_20 Depth=3
	s_mov_b32 s37, exec_lo
	s_brev_b32 s36, -2
.LBB69_22:                              ;   Parent Loop BB69_7 Depth=1
                                        ;     Parent Loop BB69_13 Depth=2
                                        ;       Parent Loop BB69_20 Depth=3
                                        ; =>      This Inner Loop Header: Depth=4
	s_ctz_i32_b32 s38, s37
	s_delay_alu instid0(SALU_CYCLE_1) | instskip(SKIP_1) | instid1(SALU_CYCLE_1)
	v_readlane_b32 s39, v2, s38
	s_lshl_b32 s38, 1, s38
	s_and_not1_b32 s37, s37, s38
	s_delay_alu instid0(VALU_DEP_1)
	s_min_i32 s36, s36, s39
	s_cmp_lg_u32 s37, 0
	s_cbranch_scc1 .LBB69_22
; %bb.23:                               ;   in Loop: Header=BB69_20 Depth=3
	v_mbcnt_lo_u32_b32 v4, exec_lo, 0
	s_mov_b32 s37, exec_lo
	s_delay_alu instid0(VALU_DEP_1)
	v_cmpx_eq_u32_e32 0, v4
	s_xor_b32 s37, exec_lo, s37
	s_cbranch_execz .LBB69_25
; %bb.24:                               ;   in Loop: Header=BB69_20 Depth=3
	v_mov_b32_e32 v4, s36
	global_atomic_min_i32 v3, v4, s[14:15]
.LBB69_25:                              ;   in Loop: Header=BB69_20 Depth=3
	s_or_b32 exec_lo, exec_lo, s37
	v_mov_b32_e32 v17, 0
	v_dual_mov_b32 v18, 0 :: v_dual_mov_b32 v15, 0
	v_mov_b32_e32 v16, 0x3ff00000
.LBB69_26:                              ;   in Loop: Header=BB69_20 Depth=3
	s_or_b32 exec_lo, exec_lo, s6
	v_dual_mov_b32 v21, 0 :: v_dual_add_nc_u32 v4, s35, v45
	v_dual_mov_b32 v22, 0 :: v_dual_add_nc_u32 v5, s22, v44
	s_delay_alu instid0(VALU_DEP_1) | instskip(NEXT) | instid1(VALU_DEP_2)
	v_cndmask_b32_e64 v4, v5, v4, s1
	v_dual_mov_b32 v24, v22 :: v_dual_mov_b32 v23, v21
	s_delay_alu instid0(VALU_DEP_2) | instskip(NEXT) | instid1(VALU_DEP_1)
	v_ashrrev_i32_e32 v5, 31, v4
	v_lshlrev_b64 v[4:5], 4, v[4:5]
	s_delay_alu instid0(VALU_DEP_1) | instskip(NEXT) | instid1(VALU_DEP_2)
	v_add_co_u32 v19, vcc_lo, s20, v4
	v_add_co_ci_u32_e32 v20, vcc_lo, s21, v5, vcc_lo
	global_load_b128 v[4:7], v[19:20], off
	s_and_saveexec_b32 s6, s5
	s_cbranch_execz .LBB69_19
; %bb.27:                               ;   in Loop: Header=BB69_20 Depth=3
	global_load_b32 v46, v[9:10], off
	v_dual_mov_b32 v21, 0 :: v_dual_mov_b32 v48, v43
	v_dual_mov_b32 v22, 0 :: v_dual_add_nc_u32 v47, s35, v41
	v_mov_b32_e32 v25, v40
	s_mov_b32 s36, 0
	s_delay_alu instid0(VALU_DEP_2)
	v_dual_mov_b32 v24, v22 :: v_dual_mov_b32 v23, v21
	s_branch .LBB69_29
.LBB69_28:                              ;   in Loop: Header=BB69_29 Depth=4
	s_set_inst_prefetch_distance 0x2
	s_or_b32 exec_lo, exec_lo, s37
	v_add_nc_u32_e32 v26, 1, v25
	v_cmp_ge_i32_e32 vcc_lo, v25, v39
	s_delay_alu instid0(VALU_DEP_2) | instskip(SKIP_1) | instid1(SALU_CYCLE_1)
	v_dual_mov_b32 v25, v26 :: v_dual_add_nc_u32 v48, s28, v48
	s_or_b32 s36, vcc_lo, s36
	s_and_not1_b32 exec_lo, exec_lo, s36
	s_cbranch_execz .LBB69_18
.LBB69_29:                              ;   Parent Loop BB69_7 Depth=1
                                        ;     Parent Loop BB69_13 Depth=2
                                        ;       Parent Loop BB69_20 Depth=3
                                        ; =>      This Loop Header: Depth=4
                                        ;           Child Loop BB69_31 Depth 5
                                        ;           Child Loop BB69_37 Depth 5
	s_delay_alu instid0(VALU_DEP_1) | instskip(NEXT) | instid1(VALU_DEP_1)
	v_ashrrev_i32_e32 v26, 31, v25
	v_lshlrev_b64 v[26:27], 2, v[25:26]
	s_delay_alu instid0(VALU_DEP_1) | instskip(NEXT) | instid1(VALU_DEP_2)
	v_add_co_u32 v26, vcc_lo, s18, v26
	v_add_co_ci_u32_e32 v27, vcc_lo, s19, v27, vcc_lo
	global_load_b32 v28, v[26:27], off
	s_waitcnt vmcnt(1)
	v_dual_mov_b32 v27, v46 :: v_dual_mov_b32 v26, v8
	s_and_saveexec_b32 s37, s4
	s_cbranch_execz .LBB69_33
; %bb.30:                               ;   in Loop: Header=BB69_29 Depth=4
	v_dual_mov_b32 v27, v46 :: v_dual_mov_b32 v26, v8
	v_dual_mov_b32 v29, v31 :: v_dual_mov_b32 v30, v32
	s_mov_b32 s38, 0
	.p2align	6
.LBB69_31:                              ;   Parent Loop BB69_7 Depth=1
                                        ;     Parent Loop BB69_13 Depth=2
                                        ;       Parent Loop BB69_20 Depth=3
                                        ;         Parent Loop BB69_29 Depth=4
                                        ; =>        This Inner Loop Header: Depth=5
	s_delay_alu instid0(VALU_DEP_2) | instskip(SKIP_2) | instid1(VALU_DEP_2)
	v_add_nc_u32_e32 v49, 1, v26
	s_waitcnt vmcnt(0)
	v_cmp_lt_i32_e32 vcc_lo, v27, v28
	v_dual_cndmask_b32 v30, v26, v30 :: v_dual_cndmask_b32 v29, v29, v49
	s_delay_alu instid0(VALU_DEP_1) | instskip(NEXT) | instid1(VALU_DEP_1)
	v_add_nc_u32_e32 v26, v30, v29
	v_ashrrev_i32_e32 v26, 1, v26
	s_delay_alu instid0(VALU_DEP_1) | instskip(NEXT) | instid1(VALU_DEP_1)
	v_ashrrev_i32_e32 v27, 31, v26
	v_lshlrev_b64 v[49:50], 2, v[26:27]
	s_delay_alu instid0(VALU_DEP_1) | instskip(NEXT) | instid1(VALU_DEP_2)
	v_add_co_u32 v49, vcc_lo, s18, v49
	v_add_co_ci_u32_e32 v50, vcc_lo, s19, v50, vcc_lo
	v_cmp_ge_i32_e32 vcc_lo, v29, v30
	global_load_b32 v27, v[49:50], off
	s_or_b32 s38, vcc_lo, s38
	s_delay_alu instid0(SALU_CYCLE_1)
	s_and_not1_b32 exec_lo, exec_lo, s38
	s_cbranch_execnz .LBB69_31
; %bb.32:                               ;   in Loop: Header=BB69_29 Depth=4
	s_or_b32 exec_lo, exec_lo, s38
.LBB69_33:                              ;   in Loop: Header=BB69_29 Depth=4
	s_delay_alu instid0(SALU_CYCLE_1) | instskip(NEXT) | instid1(SALU_CYCLE_1)
	s_or_b32 exec_lo, exec_lo, s37
	s_mov_b32 s37, exec_lo
	s_waitcnt vmcnt(0)
	v_cmpx_eq_u32_e64 v27, v28
	s_cbranch_execz .LBB69_28
; %bb.34:                               ;   in Loop: Header=BB69_29 Depth=4
	v_mul_lo_u32 v29, v26, s28
	v_subrev_nc_u32_e32 v28, s23, v28
	v_mad_u64_u32 v[26:27], null, v25, s28, s[22:23]
	s_mov_b32 s38, 0
	v_mov_b32_e32 v52, v48
	s_delay_alu instid0(VALU_DEP_3)
	v_mul_lo_u32 v49, v28, s26
	v_add_nc_u32_e32 v50, v29, v38
	v_add_nc_u32_e32 v51, v37, v29
	s_set_inst_prefetch_distance 0x1
	s_branch .LBB69_37
	.p2align	6
.LBB69_35:                              ;   in Loop: Header=BB69_37 Depth=5
	s_delay_alu instid0(VALU_DEP_1) | instskip(NEXT) | instid1(VALU_DEP_2)
	v_ashrrev_i32_e32 v30, 31, v29
	v_ashrrev_i32_e32 v28, 31, v27
	s_delay_alu instid0(VALU_DEP_2) | instskip(NEXT) | instid1(VALU_DEP_2)
	v_lshlrev_b64 v[29:30], 4, v[29:30]
	v_lshlrev_b64 v[27:28], 4, v[27:28]
	s_delay_alu instid0(VALU_DEP_2) | instskip(NEXT) | instid1(VALU_DEP_3)
	v_add_co_u32 v29, vcc_lo, s20, v29
	v_add_co_ci_u32_e32 v30, vcc_lo, s21, v30, vcc_lo
	s_delay_alu instid0(VALU_DEP_3) | instskip(NEXT) | instid1(VALU_DEP_4)
	v_add_co_u32 v53, vcc_lo, s20, v27
	v_add_co_ci_u32_e32 v54, vcc_lo, s21, v28, vcc_lo
	s_clause 0x1
	global_load_b128 v[27:30], v[29:30], off
	global_load_b128 v[53:56], v[53:54], off
	s_waitcnt vmcnt(0)
	v_fma_f64 v[23:24], v[27:28], v[53:54], v[23:24]
	v_fma_f64 v[21:22], v[29:30], v[53:54], v[21:22]
	s_delay_alu instid0(VALU_DEP_2) | instskip(NEXT) | instid1(VALU_DEP_2)
	v_fma_f64 v[23:24], v[29:30], v[55:56], v[23:24]
	v_fma_f64 v[21:22], v[27:28], -v[55:56], v[21:22]
.LBB69_36:                              ;   in Loop: Header=BB69_37 Depth=5
	s_or_b32 exec_lo, exec_lo, s39
	v_add_nc_u32_e32 v51, s26, v51
	v_add_nc_u32_e32 v52, s26, v52
	s_add_i32 s38, s38, 1
	s_delay_alu instid0(SALU_CYCLE_1)
	s_cmp_lg_u32 s26, s38
	s_cbranch_scc0 .LBB69_28
.LBB69_37:                              ;   Parent Loop BB69_7 Depth=1
                                        ;     Parent Loop BB69_13 Depth=2
                                        ;       Parent Loop BB69_20 Depth=3
                                        ;         Parent Loop BB69_29 Depth=4
                                        ; =>        This Inner Loop Header: Depth=5
	s_delay_alu instid0(VALU_DEP_3) | instskip(SKIP_1) | instid1(VALU_DEP_1)
	v_add_nc_u32_e32 v27, s38, v49
	s_mov_b32 s39, exec_lo
	v_cmpx_lt_i32_e64 v27, v47
	s_cbranch_execz .LBB69_36
; %bb.38:                               ;   in Loop: Header=BB69_37 Depth=5
	v_mov_b32_e32 v27, v51
	v_mov_b32_e32 v29, v52
	s_and_not1_b32 vcc_lo, exec_lo, s1
	s_cbranch_vccnz .LBB69_35
; %bb.39:                               ;   in Loop: Header=BB69_37 Depth=5
	v_add_nc_u32_e32 v29, s38, v26
	v_add_nc_u32_e32 v27, s38, v50
	s_branch .LBB69_35
.LBB69_40:                              ;   in Loop: Header=BB69_7 Depth=1
	s_or_b32 exec_lo, exec_lo, s7
.LBB69_41:                              ;   in Loop: Header=BB69_7 Depth=1
	s_delay_alu instid0(SALU_CYCLE_1)
	s_or_b32 exec_lo, exec_lo, s31
	v_add_nc_u32_e32 v27, v38, v35
	v_mov_b32_e32 v28, v34
	s_mov_b32 s6, 0
	s_branch .LBB69_44
.LBB69_42:                              ;   in Loop: Header=BB69_44 Depth=2
	s_set_inst_prefetch_distance 0x2
	v_mul_f64 v[23:24], v[15:16], v[15:16]
	s_waitcnt vmcnt(0)
	s_delay_alu instid0(VALU_DEP_2) | instskip(NEXT) | instid1(VALU_DEP_4)
	v_add_f64 v[6:7], v[6:7], -v[21:22]
	v_add_f64 v[4:5], v[4:5], -v[19:20]
	s_delay_alu instid0(VALU_DEP_3) | instskip(NEXT) | instid1(VALU_DEP_3)
	v_fma_f64 v[23:24], v[1:2], v[1:2], v[23:24]
	v_mul_f64 v[19:20], v[15:16], v[6:7]
	s_delay_alu instid0(VALU_DEP_3) | instskip(NEXT) | instid1(VALU_DEP_3)
	v_mul_f64 v[15:16], v[15:16], -v[4:5]
	v_div_scale_f64 v[25:26], null, v[23:24], v[23:24], 1.0
	v_div_scale_f64 v[41:42], vcc_lo, 1.0, v[23:24], 1.0
	s_delay_alu instid0(VALU_DEP_4) | instskip(NEXT) | instid1(VALU_DEP_4)
	v_fma_f64 v[4:5], v[4:5], v[1:2], v[19:20]
	v_fma_f64 v[1:2], v[6:7], v[1:2], v[15:16]
	s_delay_alu instid0(VALU_DEP_4) | instskip(SKIP_2) | instid1(VALU_DEP_1)
	v_rcp_f64_e32 v[29:30], v[25:26]
	s_waitcnt_depctr 0xfff
	v_fma_f64 v[39:40], -v[25:26], v[29:30], 1.0
	v_fma_f64 v[29:30], v[29:30], v[39:40], v[29:30]
	s_delay_alu instid0(VALU_DEP_1) | instskip(NEXT) | instid1(VALU_DEP_1)
	v_fma_f64 v[39:40], -v[25:26], v[29:30], 1.0
	v_fma_f64 v[29:30], v[29:30], v[39:40], v[29:30]
	s_delay_alu instid0(VALU_DEP_1) | instskip(NEXT) | instid1(VALU_DEP_1)
	v_mul_f64 v[39:40], v[41:42], v[29:30]
	v_fma_f64 v[21:22], -v[25:26], v[39:40], v[41:42]
	s_delay_alu instid0(VALU_DEP_1) | instskip(NEXT) | instid1(VALU_DEP_1)
	v_div_fmas_f64 v[21:22], v[21:22], v[29:30], v[39:40]
	v_div_fixup_f64 v[19:20], v[21:22], v[23:24], 1.0
	s_delay_alu instid0(VALU_DEP_1) | instskip(SKIP_1) | instid1(VALU_DEP_2)
	v_mul_f64 v[4:5], v[19:20], v[4:5]
	v_mul_f64 v[6:7], v[19:20], v[1:2]
	v_fma_f64 v[1:2], v[4:5], v[4:5], v[13:14]
	s_delay_alu instid0(VALU_DEP_2)
	v_fma_f64 v[11:12], v[6:7], v[4:5], v[11:12]
	global_store_b128 v[17:18], v[4:7], off
	v_fma_f64 v[13:14], v[6:7], v[6:7], v[1:2]
	v_fma_f64 v[11:12], v[4:5], -v[6:7], v[11:12]
.LBB69_43:                              ;   in Loop: Header=BB69_44 Depth=2
	s_or_b32 exec_lo, exec_lo, s5
	v_add_nc_u32_e32 v28, 1, v28
	s_add_i32 s6, s6, 1
	s_waitcnt_vscnt null, 0x0
	buffer_gl1_inv
	buffer_gl0_inv
	s_cmp_eq_u32 s6, s26
	s_cbranch_scc1 .LBB69_6
.LBB69_44:                              ;   Parent Loop BB69_7 Depth=1
                                        ; =>  This Loop Header: Depth=2
                                        ;       Child Loop BB69_54 Depth 3
                                        ;       Child Loop BB69_62 Depth 3
                                        ;         Child Loop BB69_64 Depth 4
                                        ;       Child Loop BB69_72 Depth 3
	s_mul_i32 s7, s6, s26
	s_mov_b32 s22, exec_lo
	v_add_nc_u32_e32 v29, s7, v35
	s_delay_alu instid0(VALU_DEP_1) | instskip(NEXT) | instid1(VALU_DEP_1)
	v_add_nc_u32_e32 v1, s6, v29
	v_ashrrev_i32_e32 v2, 31, v1
	s_delay_alu instid0(VALU_DEP_1)
	v_lshlrev_b64 v[5:6], 4, v[1:2]
	v_cmpx_eq_u32_e64 s6, v37
	s_cbranch_execz .LBB69_52
; %bb.45:                               ;   in Loop: Header=BB69_44 Depth=2
	s_delay_alu instid0(VALU_DEP_2) | instskip(NEXT) | instid1(VALU_DEP_3)
	v_add_co_u32 v15, vcc_lo, s20, v5
	v_add_co_ci_u32_e32 v16, vcc_lo, s21, v6, vcc_lo
	global_load_b128 v[17:20], v[15:16], off
	s_waitcnt vmcnt(0)
	v_add_f64 v[1:2], v[17:18], -v[13:14]
	v_add_f64 v[21:22], v[19:20], -v[11:12]
                                        ; implicit-def: $vgpr19_vgpr20
	s_delay_alu instid0(VALU_DEP_2) | instskip(NEXT) | instid1(VALU_DEP_2)
	v_cmp_gt_f64_e32 vcc_lo, 0, v[1:2]
	v_cmp_gt_f64_e64 s5, 0, v[21:22]
	v_xor_b32_e32 v4, 0x80000000, v2
	v_xor_b32_e32 v7, 0x80000000, v22
	s_delay_alu instid0(VALU_DEP_2) | instskip(NEXT) | instid1(VALU_DEP_2)
	v_dual_cndmask_b32 v2, v2, v4 :: v_dual_cndmask_b32 v1, v1, v1
	v_cndmask_b32_e64 v18, v22, v7, s5
	v_cndmask_b32_e64 v17, v21, v21, s5
	s_mov_b32 s5, exec_lo
	s_delay_alu instid0(VALU_DEP_1)
	v_cmpx_ngt_f64_e32 v[1:2], v[17:18]
	s_xor_b32 s5, exec_lo, s5
	s_cbranch_execz .LBB69_49
; %bb.46:                               ;   in Loop: Header=BB69_44 Depth=2
	v_mov_b32_e32 v19, 0
	v_mov_b32_e32 v20, 0
	s_mov_b32 s31, exec_lo
	v_cmpx_neq_f64_e32 0, v[21:22]
	s_cbranch_execz .LBB69_48
; %bb.47:                               ;   in Loop: Header=BB69_44 Depth=2
	v_div_scale_f64 v[19:20], null, v[17:18], v[17:18], v[1:2]
	v_div_scale_f64 v[25:26], vcc_lo, v[1:2], v[17:18], v[1:2]
	s_delay_alu instid0(VALU_DEP_2) | instskip(SKIP_2) | instid1(VALU_DEP_1)
	v_rcp_f64_e32 v[21:22], v[19:20]
	s_waitcnt_depctr 0xfff
	v_fma_f64 v[23:24], -v[19:20], v[21:22], 1.0
	v_fma_f64 v[21:22], v[21:22], v[23:24], v[21:22]
	s_delay_alu instid0(VALU_DEP_1) | instskip(NEXT) | instid1(VALU_DEP_1)
	v_fma_f64 v[23:24], -v[19:20], v[21:22], 1.0
	v_fma_f64 v[21:22], v[21:22], v[23:24], v[21:22]
	s_delay_alu instid0(VALU_DEP_1) | instskip(NEXT) | instid1(VALU_DEP_1)
	v_mul_f64 v[23:24], v[25:26], v[21:22]
	v_fma_f64 v[19:20], -v[19:20], v[23:24], v[25:26]
	s_delay_alu instid0(VALU_DEP_1) | instskip(NEXT) | instid1(VALU_DEP_1)
	v_div_fmas_f64 v[19:20], v[19:20], v[21:22], v[23:24]
	v_div_fixup_f64 v[1:2], v[19:20], v[17:18], v[1:2]
	s_delay_alu instid0(VALU_DEP_1) | instskip(NEXT) | instid1(VALU_DEP_1)
	v_fma_f64 v[1:2], v[1:2], v[1:2], 1.0
	v_cmp_gt_f64_e32 vcc_lo, 0x10000000, v[1:2]
	v_cndmask_b32_e64 v4, 0, 1, vcc_lo
	s_delay_alu instid0(VALU_DEP_1) | instskip(NEXT) | instid1(VALU_DEP_1)
	v_lshlrev_b32_e32 v4, 8, v4
	v_ldexp_f64 v[1:2], v[1:2], v4
	v_cndmask_b32_e64 v4, 0, 0xffffff80, vcc_lo
	s_delay_alu instid0(VALU_DEP_2) | instskip(SKIP_4) | instid1(VALU_DEP_1)
	v_rsq_f64_e32 v[19:20], v[1:2]
	v_cmp_class_f64_e64 vcc_lo, v[1:2], 0x260
	s_waitcnt_depctr 0xfff
	v_mul_f64 v[21:22], v[1:2], v[19:20]
	v_mul_f64 v[19:20], v[19:20], 0.5
	v_fma_f64 v[23:24], -v[19:20], v[21:22], 0.5
	s_delay_alu instid0(VALU_DEP_1) | instskip(SKIP_1) | instid1(VALU_DEP_2)
	v_fma_f64 v[21:22], v[21:22], v[23:24], v[21:22]
	v_fma_f64 v[19:20], v[19:20], v[23:24], v[19:20]
	v_fma_f64 v[23:24], -v[21:22], v[21:22], v[1:2]
	s_delay_alu instid0(VALU_DEP_1) | instskip(NEXT) | instid1(VALU_DEP_1)
	v_fma_f64 v[21:22], v[23:24], v[19:20], v[21:22]
	v_fma_f64 v[23:24], -v[21:22], v[21:22], v[1:2]
	s_delay_alu instid0(VALU_DEP_1) | instskip(NEXT) | instid1(VALU_DEP_1)
	v_fma_f64 v[19:20], v[23:24], v[19:20], v[21:22]
	v_ldexp_f64 v[19:20], v[19:20], v4
	s_delay_alu instid0(VALU_DEP_1) | instskip(NEXT) | instid1(VALU_DEP_1)
	v_dual_cndmask_b32 v1, v19, v1 :: v_dual_cndmask_b32 v2, v20, v2
	v_mul_f64 v[19:20], v[17:18], v[1:2]
.LBB69_48:                              ;   in Loop: Header=BB69_44 Depth=2
	s_or_b32 exec_lo, exec_lo, s31
                                        ; implicit-def: $vgpr1_vgpr2
                                        ; implicit-def: $vgpr17_vgpr18
.LBB69_49:                              ;   in Loop: Header=BB69_44 Depth=2
	s_and_not1_saveexec_b32 s5, s5
	s_cbranch_execz .LBB69_51
; %bb.50:                               ;   in Loop: Header=BB69_44 Depth=2
	v_div_scale_f64 v[19:20], null, v[1:2], v[1:2], v[17:18]
	v_div_scale_f64 v[25:26], vcc_lo, v[17:18], v[1:2], v[17:18]
	s_delay_alu instid0(VALU_DEP_2) | instskip(SKIP_2) | instid1(VALU_DEP_1)
	v_rcp_f64_e32 v[21:22], v[19:20]
	s_waitcnt_depctr 0xfff
	v_fma_f64 v[23:24], -v[19:20], v[21:22], 1.0
	v_fma_f64 v[21:22], v[21:22], v[23:24], v[21:22]
	s_delay_alu instid0(VALU_DEP_1) | instskip(NEXT) | instid1(VALU_DEP_1)
	v_fma_f64 v[23:24], -v[19:20], v[21:22], 1.0
	v_fma_f64 v[21:22], v[21:22], v[23:24], v[21:22]
	s_delay_alu instid0(VALU_DEP_1) | instskip(NEXT) | instid1(VALU_DEP_1)
	v_mul_f64 v[23:24], v[25:26], v[21:22]
	v_fma_f64 v[19:20], -v[19:20], v[23:24], v[25:26]
	s_delay_alu instid0(VALU_DEP_1) | instskip(NEXT) | instid1(VALU_DEP_1)
	v_div_fmas_f64 v[19:20], v[19:20], v[21:22], v[23:24]
	v_div_fixup_f64 v[17:18], v[19:20], v[1:2], v[17:18]
	s_delay_alu instid0(VALU_DEP_1) | instskip(NEXT) | instid1(VALU_DEP_1)
	v_fma_f64 v[17:18], v[17:18], v[17:18], 1.0
	v_cmp_gt_f64_e32 vcc_lo, 0x10000000, v[17:18]
	v_cndmask_b32_e64 v4, 0, 1, vcc_lo
	s_delay_alu instid0(VALU_DEP_1) | instskip(NEXT) | instid1(VALU_DEP_1)
	v_lshlrev_b32_e32 v4, 8, v4
	v_ldexp_f64 v[17:18], v[17:18], v4
	v_cndmask_b32_e64 v4, 0, 0xffffff80, vcc_lo
	s_delay_alu instid0(VALU_DEP_2) | instskip(SKIP_4) | instid1(VALU_DEP_1)
	v_rsq_f64_e32 v[19:20], v[17:18]
	v_cmp_class_f64_e64 vcc_lo, v[17:18], 0x260
	s_waitcnt_depctr 0xfff
	v_mul_f64 v[21:22], v[17:18], v[19:20]
	v_mul_f64 v[19:20], v[19:20], 0.5
	v_fma_f64 v[23:24], -v[19:20], v[21:22], 0.5
	s_delay_alu instid0(VALU_DEP_1) | instskip(SKIP_1) | instid1(VALU_DEP_2)
	v_fma_f64 v[21:22], v[21:22], v[23:24], v[21:22]
	v_fma_f64 v[19:20], v[19:20], v[23:24], v[19:20]
	v_fma_f64 v[23:24], -v[21:22], v[21:22], v[17:18]
	s_delay_alu instid0(VALU_DEP_1) | instskip(NEXT) | instid1(VALU_DEP_1)
	v_fma_f64 v[21:22], v[23:24], v[19:20], v[21:22]
	v_fma_f64 v[23:24], -v[21:22], v[21:22], v[17:18]
	s_delay_alu instid0(VALU_DEP_1) | instskip(NEXT) | instid1(VALU_DEP_1)
	v_fma_f64 v[19:20], v[23:24], v[19:20], v[21:22]
	v_ldexp_f64 v[19:20], v[19:20], v4
	s_delay_alu instid0(VALU_DEP_1) | instskip(NEXT) | instid1(VALU_DEP_1)
	v_dual_cndmask_b32 v17, v19, v17 :: v_dual_cndmask_b32 v18, v20, v18
	v_mul_f64 v[19:20], v[1:2], v[17:18]
.LBB69_51:                              ;   in Loop: Header=BB69_44 Depth=2
	s_or_b32 exec_lo, exec_lo, s5
	s_delay_alu instid0(VALU_DEP_1) | instskip(SKIP_2) | instid1(VALU_DEP_2)
	v_cmp_gt_f64_e32 vcc_lo, 0x10000000, v[19:20]
	v_cndmask_b32_e64 v1, 0, 1, vcc_lo
	v_cndmask_b32_e64 v4, 0, 0xffffff80, vcc_lo
	v_lshlrev_b32_e32 v1, 8, v1
	s_delay_alu instid0(VALU_DEP_1) | instskip(NEXT) | instid1(VALU_DEP_1)
	v_ldexp_f64 v[1:2], v[19:20], v1
	v_rsq_f64_e32 v[17:18], v[1:2]
	v_cmp_class_f64_e64 vcc_lo, v[1:2], 0x260
	s_waitcnt_depctr 0xfff
	v_mul_f64 v[19:20], v[1:2], v[17:18]
	v_mul_f64 v[17:18], v[17:18], 0.5
	s_delay_alu instid0(VALU_DEP_1) | instskip(NEXT) | instid1(VALU_DEP_1)
	v_fma_f64 v[21:22], -v[17:18], v[19:20], 0.5
	v_fma_f64 v[19:20], v[19:20], v[21:22], v[19:20]
	v_fma_f64 v[17:18], v[17:18], v[21:22], v[17:18]
	s_delay_alu instid0(VALU_DEP_2) | instskip(NEXT) | instid1(VALU_DEP_1)
	v_fma_f64 v[21:22], -v[19:20], v[19:20], v[1:2]
	v_fma_f64 v[19:20], v[21:22], v[17:18], v[19:20]
	s_delay_alu instid0(VALU_DEP_1) | instskip(NEXT) | instid1(VALU_DEP_1)
	v_fma_f64 v[21:22], -v[19:20], v[19:20], v[1:2]
	v_fma_f64 v[17:18], v[21:22], v[17:18], v[19:20]
	s_delay_alu instid0(VALU_DEP_1) | instskip(SKIP_1) | instid1(VALU_DEP_2)
	v_ldexp_f64 v[17:18], v[17:18], v4
	v_mov_b32_e32 v4, v3
	v_dual_cndmask_b32 v2, v18, v2 :: v_dual_cndmask_b32 v1, v17, v1
	global_store_b128 v[15:16], v[1:4], off
.LBB69_52:                              ;   in Loop: Header=BB69_44 Depth=2
	s_or_b32 exec_lo, exec_lo, s22
	s_delay_alu instid0(VALU_DEP_2) | instskip(NEXT) | instid1(VALU_DEP_3)
	v_add_co_u32 v1, vcc_lo, s20, v5
	v_add_co_ci_u32_e32 v2, vcc_lo, s21, v6, vcc_lo
	s_waitcnt_vscnt null, 0x0
	buffer_gl1_inv
	buffer_gl0_inv
	global_load_b128 v[4:7], v[1:2], off
	s_waitcnt vmcnt(0)
	v_cmp_neq_f64_e32 vcc_lo, 0, v[4:5]
	v_cmp_neq_f64_e64 s5, 0, v[6:7]
	s_delay_alu instid0(VALU_DEP_1) | instskip(SKIP_4) | instid1(SALU_CYCLE_1)
	s_or_b32 vcc_lo, vcc_lo, s5
	v_dual_cndmask_b32 v16, 0, v7 :: v_dual_cndmask_b32 v15, 0, v6
	v_cndmask_b32_e32 v2, 0x3ff00000, v5, vcc_lo
	v_cndmask_b32_e32 v1, 0, v4, vcc_lo
	s_or_b32 s5, vcc_lo, s0
	s_xor_b32 s22, s5, -1
	s_delay_alu instid0(SALU_CYCLE_1)
	s_and_saveexec_b32 s5, s22
	s_cbranch_execz .LBB69_58
; %bb.53:                               ;   in Loop: Header=BB69_44 Depth=2
	s_mov_b32 s31, exec_lo
	s_brev_b32 s22, -2
.LBB69_54:                              ;   Parent Loop BB69_7 Depth=1
                                        ;     Parent Loop BB69_44 Depth=2
                                        ; =>    This Inner Loop Header: Depth=3
	s_ctz_i32_b32 s33, s31
	s_delay_alu instid0(SALU_CYCLE_1) | instskip(SKIP_1) | instid1(SALU_CYCLE_1)
	v_readlane_b32 s34, v33, s33
	s_lshl_b32 s33, 1, s33
	s_and_not1_b32 s31, s31, s33
	s_delay_alu instid0(VALU_DEP_1)
	s_min_i32 s22, s22, s34
	s_cmp_lg_u32 s31, 0
	s_cbranch_scc1 .LBB69_54
; %bb.55:                               ;   in Loop: Header=BB69_44 Depth=2
	v_mbcnt_lo_u32_b32 v1, exec_lo, 0
	s_mov_b32 s31, exec_lo
	s_delay_alu instid0(VALU_DEP_1)
	v_cmpx_eq_u32_e32 0, v1
	s_xor_b32 s31, exec_lo, s31
	s_cbranch_execz .LBB69_57
; %bb.56:                               ;   in Loop: Header=BB69_44 Depth=2
	v_mov_b32_e32 v1, s22
	global_atomic_min_i32 v3, v1, s[14:15]
.LBB69_57:                              ;   in Loop: Header=BB69_44 Depth=2
	s_or_b32 exec_lo, exec_lo, s31
	v_mov_b32_e32 v1, 0
	v_dual_mov_b32 v2, 0x3ff00000 :: v_dual_mov_b32 v15, 0
	v_mov_b32_e32 v16, 0
.LBB69_58:                              ;   in Loop: Header=BB69_44 Depth=2
	s_or_b32 exec_lo, exec_lo, s5
	s_delay_alu instid0(SALU_CYCLE_1)
	s_mov_b32 s5, exec_lo
	v_cmpx_lt_i32_e64 s6, v37
	s_cbranch_execz .LBB69_43
; %bb.59:                               ;   in Loop: Header=BB69_44 Depth=2
	v_dual_mov_b32 v19, 0 :: v_dual_add_nc_u32 v4, s6, v27
	v_dual_mov_b32 v20, 0 :: v_dual_add_nc_u32 v5, v29, v37
	s_delay_alu instid0(VALU_DEP_1) | instskip(NEXT) | instid1(VALU_DEP_2)
	v_cndmask_b32_e64 v4, v5, v4, s1
	v_dual_mov_b32 v22, v20 :: v_dual_mov_b32 v21, v19
	s_delay_alu instid0(VALU_DEP_2) | instskip(NEXT) | instid1(VALU_DEP_1)
	v_ashrrev_i32_e32 v5, 31, v4
	v_lshlrev_b64 v[4:5], 4, v[4:5]
	s_delay_alu instid0(VALU_DEP_1) | instskip(NEXT) | instid1(VALU_DEP_2)
	v_add_co_u32 v17, vcc_lo, s20, v4
	v_add_co_ci_u32_e32 v18, vcc_lo, s21, v5, vcc_lo
	global_load_b128 v[4:7], v[17:18], off
	s_and_saveexec_b32 s22, s2
	s_cbranch_execz .LBB69_69
; %bb.60:                               ;   in Loop: Header=BB69_44 Depth=2
	v_dual_mov_b32 v19, 0 :: v_dual_mov_b32 v30, v28
	v_dual_mov_b32 v20, 0 :: v_dual_mov_b32 v39, v36
	v_mov_b32_e32 v40, v31
	s_mov_b32 s31, 0
	s_delay_alu instid0(VALU_DEP_2)
	v_dual_mov_b32 v22, v20 :: v_dual_mov_b32 v21, v19
	s_branch .LBB69_62
.LBB69_61:                              ;   in Loop: Header=BB69_62 Depth=3
	s_set_inst_prefetch_distance 0x2
	v_add_nc_u32_e32 v40, 1, v40
	v_add_nc_u32_e32 v39, s28, v39
	;; [unrolled: 1-line block ×3, first 2 shown]
	s_delay_alu instid0(VALU_DEP_3) | instskip(SKIP_1) | instid1(SALU_CYCLE_1)
	v_cmp_le_i32_e32 vcc_lo, s25, v40
	s_or_b32 s31, vcc_lo, s31
	s_and_not1_b32 exec_lo, exec_lo, s31
	s_cbranch_execz .LBB69_68
.LBB69_62:                              ;   Parent Loop BB69_7 Depth=1
                                        ;     Parent Loop BB69_44 Depth=2
                                        ; =>    This Loop Header: Depth=3
                                        ;         Child Loop BB69_64 Depth 4
	s_delay_alu instid0(VALU_DEP_2) | instskip(SKIP_3) | instid1(VALU_DEP_1)
	v_mul_lo_u32 v23, v40, s28
	s_mov_b32 s33, s26
	s_mov_b32 s34, 0
	;; [unrolled: 1-line block ×3, first 2 shown]
	v_add_nc_u32_e32 v41, s7, v23
	v_add_nc_u32_e32 v42, v23, v38
	s_set_inst_prefetch_distance 0x1
	s_branch .LBB69_64
	.p2align	6
.LBB69_63:                              ;   in Loop: Header=BB69_64 Depth=4
	s_delay_alu instid0(VALU_DEP_1) | instskip(NEXT) | instid1(VALU_DEP_3)
	v_ashrrev_i32_e32 v26, 31, v25
	v_ashrrev_i32_e32 v24, 31, v23
	s_add_i32 s33, s33, -1
	s_add_i32 s35, s35, 1
	s_add_i32 s34, s34, s26
	v_lshlrev_b64 v[25:26], 4, v[25:26]
	v_lshlrev_b64 v[23:24], 4, v[23:24]
	s_cmp_eq_u32 s33, 0
	s_delay_alu instid0(VALU_DEP_2) | instskip(NEXT) | instid1(VALU_DEP_3)
	v_add_co_u32 v25, vcc_lo, s20, v25
	v_add_co_ci_u32_e32 v26, vcc_lo, s21, v26, vcc_lo
	s_delay_alu instid0(VALU_DEP_3) | instskip(NEXT) | instid1(VALU_DEP_4)
	v_add_co_u32 v43, vcc_lo, s20, v23
	v_add_co_ci_u32_e32 v44, vcc_lo, s21, v24, vcc_lo
	s_clause 0x1
	global_load_b128 v[23:26], v[25:26], off
	global_load_b128 v[43:46], v[43:44], off
	s_waitcnt vmcnt(0)
	v_fma_f64 v[19:20], v[43:44], v[23:24], v[19:20]
	v_fma_f64 v[21:22], v[45:46], v[23:24], v[21:22]
	s_delay_alu instid0(VALU_DEP_2) | instskip(NEXT) | instid1(VALU_DEP_2)
	v_fma_f64 v[19:20], v[45:46], v[25:26], v[19:20]
	v_fma_f64 v[21:22], v[43:44], -v[25:26], v[21:22]
	s_cbranch_scc1 .LBB69_61
.LBB69_64:                              ;   Parent Loop BB69_7 Depth=1
                                        ;     Parent Loop BB69_44 Depth=2
                                        ;       Parent Loop BB69_62 Depth=3
                                        ; =>      This Inner Loop Header: Depth=4
	s_and_b32 vcc_lo, exec_lo, s30
	s_cbranch_vccz .LBB69_66
; %bb.65:                               ;   in Loop: Header=BB69_64 Depth=4
	v_add_nc_u32_e32 v23, s34, v30
	v_add_nc_u32_e32 v25, s34, v39
	s_cbranch_execnz .LBB69_63
	s_branch .LBB69_67
.LBB69_66:                              ;   in Loop: Header=BB69_64 Depth=4
                                        ; implicit-def: $vgpr25
                                        ; implicit-def: $vgpr23
.LBB69_67:                              ;   in Loop: Header=BB69_64 Depth=4
	v_add_nc_u32_e32 v23, s35, v41
	v_add_nc_u32_e32 v25, s35, v42
	s_branch .LBB69_63
.LBB69_68:                              ;   in Loop: Header=BB69_44 Depth=2
	s_or_b32 exec_lo, exec_lo, s31
.LBB69_69:                              ;   in Loop: Header=BB69_44 Depth=2
	s_delay_alu instid0(SALU_CYCLE_1)
	s_or_b32 exec_lo, exec_lo, s22
	s_cmp_eq_u32 s6, 0
	s_cbranch_scc1 .LBB69_42
; %bb.70:                               ;   in Loop: Header=BB69_44 Depth=2
	v_mov_b32_e32 v30, v35
	s_mov_b32 s7, 0
	s_set_inst_prefetch_distance 0x1
	s_branch .LBB69_72
	.p2align	6
.LBB69_71:                              ;   in Loop: Header=BB69_72 Depth=3
	s_delay_alu instid0(VALU_DEP_1) | instskip(NEXT) | instid1(VALU_DEP_3)
	v_ashrrev_i32_e32 v26, 31, v25
	v_ashrrev_i32_e32 v24, 31, v23
	v_add_nc_u32_e32 v30, s26, v30
	s_add_i32 s7, s7, 1
	s_delay_alu instid0(SALU_CYCLE_1) | instskip(SKIP_2) | instid1(VALU_DEP_2)
	s_cmp_ge_u32 s7, s6
	v_lshlrev_b64 v[25:26], 4, v[25:26]
	v_lshlrev_b64 v[23:24], 4, v[23:24]
	v_add_co_u32 v25, vcc_lo, s20, v25
	s_delay_alu instid0(VALU_DEP_3) | instskip(NEXT) | instid1(VALU_DEP_3)
	v_add_co_ci_u32_e32 v26, vcc_lo, s21, v26, vcc_lo
	v_add_co_u32 v39, vcc_lo, s20, v23
	s_delay_alu instid0(VALU_DEP_4)
	v_add_co_ci_u32_e32 v40, vcc_lo, s21, v24, vcc_lo
	s_clause 0x1
	global_load_b128 v[23:26], v[25:26], off
	global_load_b128 v[39:42], v[39:40], off
	s_waitcnt vmcnt(0)
	v_fma_f64 v[19:20], v[39:40], v[23:24], v[19:20]
	v_fma_f64 v[21:22], v[41:42], v[23:24], v[21:22]
	s_delay_alu instid0(VALU_DEP_2) | instskip(NEXT) | instid1(VALU_DEP_2)
	v_fma_f64 v[19:20], v[41:42], v[25:26], v[19:20]
	v_fma_f64 v[21:22], v[39:40], -v[25:26], v[21:22]
	s_cbranch_scc1 .LBB69_42
.LBB69_72:                              ;   Parent Loop BB69_7 Depth=1
                                        ;     Parent Loop BB69_44 Depth=2
                                        ; =>    This Inner Loop Header: Depth=3
	s_and_b32 vcc_lo, exec_lo, s30
	s_cbranch_vccz .LBB69_74
; %bb.73:                               ;   in Loop: Header=BB69_72 Depth=3
	v_add_nc_u32_e32 v23, s6, v30
	v_add_nc_u32_e32 v25, v37, v30
	s_cbranch_execnz .LBB69_71
	s_branch .LBB69_75
.LBB69_74:                              ;   in Loop: Header=BB69_72 Depth=3
                                        ; implicit-def: $vgpr25
                                        ; implicit-def: $vgpr23
.LBB69_75:                              ;   in Loop: Header=BB69_72 Depth=3
	v_add_nc_u32_e32 v23, s7, v29
	v_add_nc_u32_e32 v25, s7, v27
	s_branch .LBB69_71
.LBB69_76:
	s_or_b32 exec_lo, exec_lo, s27
	v_cmp_eq_u32_e32 vcc_lo, 63, v0
                                        ; implicit-def: $vgpr0
                                        ; implicit-def: $vgpr1_vgpr2
	s_and_b32 s2, vcc_lo, exec_lo
	s_and_not1_saveexec_b32 s0, s24
	s_cbranch_execz .LBB69_2
.LBB69_77:
	s_mov_b32 s3, s2
	s_mov_b32 s1, exec_lo
	v_cmpx_eq_u32_e32 63, v0
	s_cbranch_execz .LBB69_83
; %bb.78:
	v_add_nc_u32_e32 v0, s23, v1
	s_mov_b32 s4, exec_lo
	s_brev_b32 s3, -2
.LBB69_79:                              ; =>This Inner Loop Header: Depth=1
	s_ctz_i32_b32 s5, s4
	s_delay_alu instid0(VALU_DEP_1) | instid1(SALU_CYCLE_1)
	v_readlane_b32 s6, v0, s5
	s_lshl_b32 s5, 1, s5
	s_delay_alu instid0(SALU_CYCLE_1) | instskip(NEXT) | instid1(VALU_DEP_1)
	s_and_not1_b32 s4, s4, s5
	s_min_i32 s3, s3, s6
	s_cmp_lg_u32 s4, 0
	s_cbranch_scc1 .LBB69_79
; %bb.80:
	v_mbcnt_lo_u32_b32 v0, exec_lo, 0
	s_mov_b32 s4, exec_lo
	s_delay_alu instid0(VALU_DEP_1)
	v_cmpx_eq_u32_e32 0, v0
	s_xor_b32 s4, exec_lo, s4
	s_cbranch_execz .LBB69_82
; %bb.81:
	v_dual_mov_b32 v0, 0 :: v_dual_mov_b32 v1, s3
	global_atomic_min_i32 v0, v1, s[14:15]
.LBB69_82:
	s_or_b32 exec_lo, exec_lo, s4
	s_delay_alu instid0(SALU_CYCLE_1)
	s_or_b32 s3, s2, exec_lo
.LBB69_83:
	s_or_b32 exec_lo, exec_lo, s1
	s_delay_alu instid0(SALU_CYCLE_1) | instskip(SKIP_1) | instid1(SALU_CYCLE_1)
	s_and_not1_b32 s1, s2, exec_lo
	s_and_b32 s2, s3, exec_lo
	s_or_b32 s2, s1, s2
	s_or_b32 exec_lo, exec_lo, s0
	s_and_saveexec_b32 s0, s2
	s_cbranch_execz .LBB69_3
.LBB69_84:
	v_lshlrev_b64 v[0:1], 2, s[12:13]
	v_mov_b32_e32 v2, 1
	s_delay_alu instid0(VALU_DEP_2) | instskip(NEXT) | instid1(VALU_DEP_3)
	v_add_co_u32 v0, vcc_lo, s10, v0
	v_add_co_ci_u32_e32 v1, vcc_lo, s11, v1, vcc_lo
	s_waitcnt_vscnt null, 0x0
	global_store_b32 v[0:1], v2, off
	s_nop 0
	s_sendmsg sendmsg(MSG_DEALLOC_VGPRS)
	s_endpgm
	.section	.rodata,"a",@progbits
	.p2align	6, 0x0
	.amdhsa_kernel _ZN9rocsparseL23bsric0_binsearch_kernelILj64ELj64ELb0E21rocsparse_complex_numIdEEEv20rocsparse_direction_iiPKiS5_PT2_S5_PiS5_S8_21rocsparse_index_base_
		.amdhsa_group_segment_fixed_size 0
		.amdhsa_private_segment_fixed_size 0
		.amdhsa_kernarg_size 76
		.amdhsa_user_sgpr_count 15
		.amdhsa_user_sgpr_dispatch_ptr 0
		.amdhsa_user_sgpr_queue_ptr 0
		.amdhsa_user_sgpr_kernarg_segment_ptr 1
		.amdhsa_user_sgpr_dispatch_id 0
		.amdhsa_user_sgpr_private_segment_size 0
		.amdhsa_wavefront_size32 1
		.amdhsa_uses_dynamic_stack 0
		.amdhsa_enable_private_segment 0
		.amdhsa_system_sgpr_workgroup_id_x 1
		.amdhsa_system_sgpr_workgroup_id_y 0
		.amdhsa_system_sgpr_workgroup_id_z 0
		.amdhsa_system_sgpr_workgroup_info 0
		.amdhsa_system_vgpr_workitem_id 0
		.amdhsa_next_free_vgpr 57
		.amdhsa_next_free_sgpr 40
		.amdhsa_reserve_vcc 1
		.amdhsa_float_round_mode_32 0
		.amdhsa_float_round_mode_16_64 0
		.amdhsa_float_denorm_mode_32 3
		.amdhsa_float_denorm_mode_16_64 3
		.amdhsa_dx10_clamp 1
		.amdhsa_ieee_mode 1
		.amdhsa_fp16_overflow 0
		.amdhsa_workgroup_processor_mode 1
		.amdhsa_memory_ordered 1
		.amdhsa_forward_progress 0
		.amdhsa_shared_vgpr_count 0
		.amdhsa_exception_fp_ieee_invalid_op 0
		.amdhsa_exception_fp_denorm_src 0
		.amdhsa_exception_fp_ieee_div_zero 0
		.amdhsa_exception_fp_ieee_overflow 0
		.amdhsa_exception_fp_ieee_underflow 0
		.amdhsa_exception_fp_ieee_inexact 0
		.amdhsa_exception_int_div_zero 0
	.end_amdhsa_kernel
	.section	.text._ZN9rocsparseL23bsric0_binsearch_kernelILj64ELj64ELb0E21rocsparse_complex_numIdEEEv20rocsparse_direction_iiPKiS5_PT2_S5_PiS5_S8_21rocsparse_index_base_,"axG",@progbits,_ZN9rocsparseL23bsric0_binsearch_kernelILj64ELj64ELb0E21rocsparse_complex_numIdEEEv20rocsparse_direction_iiPKiS5_PT2_S5_PiS5_S8_21rocsparse_index_base_,comdat
.Lfunc_end69:
	.size	_ZN9rocsparseL23bsric0_binsearch_kernelILj64ELj64ELb0E21rocsparse_complex_numIdEEEv20rocsparse_direction_iiPKiS5_PT2_S5_PiS5_S8_21rocsparse_index_base_, .Lfunc_end69-_ZN9rocsparseL23bsric0_binsearch_kernelILj64ELj64ELb0E21rocsparse_complex_numIdEEEv20rocsparse_direction_iiPKiS5_PT2_S5_PiS5_S8_21rocsparse_index_base_
                                        ; -- End function
	.section	.AMDGPU.csdata,"",@progbits
; Kernel info:
; codeLenInByte = 4372
; NumSgprs: 42
; NumVgprs: 57
; ScratchSize: 0
; MemoryBound: 0
; FloatMode: 240
; IeeeMode: 1
; LDSByteSize: 0 bytes/workgroup (compile time only)
; SGPRBlocks: 5
; VGPRBlocks: 7
; NumSGPRsForWavesPerEU: 42
; NumVGPRsForWavesPerEU: 57
; Occupancy: 16
; WaveLimiterHint : 1
; COMPUTE_PGM_RSRC2:SCRATCH_EN: 0
; COMPUTE_PGM_RSRC2:USER_SGPR: 15
; COMPUTE_PGM_RSRC2:TRAP_HANDLER: 0
; COMPUTE_PGM_RSRC2:TGID_X_EN: 1
; COMPUTE_PGM_RSRC2:TGID_Y_EN: 0
; COMPUTE_PGM_RSRC2:TGID_Z_EN: 0
; COMPUTE_PGM_RSRC2:TIDIG_COMP_CNT: 0
	.section	.text._ZN9rocsparseL17bsric0_2_8_kernelILi64ELi64ELi8E21rocsparse_complex_numIdEEEv20rocsparse_direction_iiPKiS5_PT2_S5_PiS5_S8_21rocsparse_index_base_,"axG",@progbits,_ZN9rocsparseL17bsric0_2_8_kernelILi64ELi64ELi8E21rocsparse_complex_numIdEEEv20rocsparse_direction_iiPKiS5_PT2_S5_PiS5_S8_21rocsparse_index_base_,comdat
	.globl	_ZN9rocsparseL17bsric0_2_8_kernelILi64ELi64ELi8E21rocsparse_complex_numIdEEEv20rocsparse_direction_iiPKiS5_PT2_S5_PiS5_S8_21rocsparse_index_base_ ; -- Begin function _ZN9rocsparseL17bsric0_2_8_kernelILi64ELi64ELi8E21rocsparse_complex_numIdEEEv20rocsparse_direction_iiPKiS5_PT2_S5_PiS5_S8_21rocsparse_index_base_
	.p2align	8
	.type	_ZN9rocsparseL17bsric0_2_8_kernelILi64ELi64ELi8E21rocsparse_complex_numIdEEEv20rocsparse_direction_iiPKiS5_PT2_S5_PiS5_S8_21rocsparse_index_base_,@function
_ZN9rocsparseL17bsric0_2_8_kernelILi64ELi64ELi8E21rocsparse_complex_numIdEEEv20rocsparse_direction_iiPKiS5_PT2_S5_PiS5_S8_21rocsparse_index_base_: ; @_ZN9rocsparseL17bsric0_2_8_kernelILi64ELi64ELi8E21rocsparse_complex_numIdEEEv20rocsparse_direction_iiPKiS5_PT2_S5_PiS5_S8_21rocsparse_index_base_
; %bb.0:
	s_load_b256 s[4:11], s[0:1], 0x28
	s_mov_b32 s2, s15
	s_mov_b32 s3, 0
	v_and_b32_e32 v19, 0x3ff, v0
	s_lshl_b64 s[12:13], s[2:3], 2
	v_bfe_u32 v20, v0, 10, 10
	s_waitcnt lgkmcnt(0)
	s_add_u32 s8, s8, s12
	s_addc_u32 s9, s9, s13
	s_load_b32 s16, s[8:9], 0x0
	s_waitcnt lgkmcnt(0)
	s_ashr_i32 s17, s16, 31
	s_delay_alu instid0(SALU_CYCLE_1) | instskip(NEXT) | instid1(SALU_CYCLE_1)
	s_lshl_b64 s[8:9], s[16:17], 2
	s_add_u32 s12, s4, s8
	s_addc_u32 s13, s5, s9
	s_load_b32 s28, s[12:13], 0x0
	s_load_b32 s17, s[0:1], 0x48
	s_waitcnt lgkmcnt(0)
	s_cmp_lg_u32 s28, -1
	s_cbranch_scc0 .LBB70_82
; %bb.1:
	s_clause 0x1
	s_load_b128 s[12:15], s[0:1], 0x10
	s_load_b64 s[18:19], s[0:1], 0x20
	v_lshlrev_b32_e32 v0, 3, v20
	s_waitcnt lgkmcnt(0)
	s_add_u32 s2, s12, s8
	s_addc_u32 s3, s13, s9
	s_load_b32 s2, s[2:3], 0x0
	s_mov_b32 s3, exec_lo
	s_waitcnt lgkmcnt(0)
	s_sub_i32 s30, s2, s17
	s_delay_alu instid0(SALU_CYCLE_1) | instskip(NEXT) | instid1(VALU_DEP_1)
	v_add3_u32 v0, v0, v19, s30
	v_cmpx_ge_i32_e64 s28, v0
	s_cbranch_execz .LBB70_4
; %bb.2:
	v_ashrrev_i32_e32 v1, 31, v0
	v_lshlrev_b32_e32 v3, 5, v20
	v_lshlrev_b32_e32 v4, 2, v19
	s_mov_b32 s20, 0
	s_delay_alu instid0(VALU_DEP_3) | instskip(NEXT) | instid1(VALU_DEP_2)
	v_lshlrev_b64 v[1:2], 2, v[0:1]
	v_add3_u32 v3, v3, v4, 0x1400
	s_delay_alu instid0(VALU_DEP_2) | instskip(NEXT) | instid1(VALU_DEP_3)
	v_add_co_u32 v1, vcc_lo, s14, v1
	v_add_co_ci_u32_e32 v2, vcc_lo, s15, v2, vcc_lo
	.p2align	6
.LBB70_3:                               ; =>This Inner Loop Header: Depth=1
	global_load_b32 v4, v[1:2], off
	v_add_nc_u32_e32 v0, 64, v0
	v_add_co_u32 v1, vcc_lo, 0x100, v1
	v_add_co_ci_u32_e32 v2, vcc_lo, 0, v2, vcc_lo
	s_delay_alu instid0(VALU_DEP_3) | instskip(NEXT) | instid1(VALU_DEP_1)
	v_cmp_lt_i32_e64 s2, s28, v0
	s_or_b32 s20, s2, s20
	s_waitcnt vmcnt(0)
	v_subrev_nc_u32_e32 v4, s17, v4
	ds_store_b32 v3, v4
	v_add_nc_u32_e32 v3, 0x100, v3
	s_and_not1_b32 exec_lo, exec_lo, s20
	s_cbranch_execnz .LBB70_3
.LBB70_4:
	s_or_b32 exec_lo, exec_lo, s3
	s_clause 0x1
	s_load_b32 s31, s[0:1], 0x0
	s_load_b32 s29, s[0:1], 0x8
	v_mov_b32_e32 v0, 0
	v_lshlrev_b32_e32 v4, 4, v19
	s_cmp_ge_i32 s30, s28
	s_delay_alu instid0(VALU_DEP_2) | instskip(NEXT) | instid1(VALU_DEP_2)
	v_mov_b32_e32 v1, v0
	v_mad_u32_u24 v21, 0x90, v20, v4
	v_mov_b32_e32 v2, v0
	s_delay_alu instid0(VALU_DEP_2)
	v_dual_mov_b32 v3, v0 :: v_dual_add_nc_u32 v22, 0xd80, v21
	ds_store_b128 v21, v[0:3] offset:3456
	s_waitcnt lgkmcnt(0)
	buffer_gl0_inv
	s_cbranch_scc1 .LBB70_58
; %bb.5:
	s_movk_i32 s2, 0x900
	v_cmp_gt_i32_e64 s0, s29, v19
	v_cmp_gt_i32_e64 s1, s29, v20
	v_mad_u32_u24 v23, 0x90, v20, s2
	v_or_b32_e32 v1, v19, v20
	s_cmp_eq_u32 s31, 0
	v_mul_lo_u32 v25, v19, s29
	v_mul_lo_u32 v26, v20, s29
	s_cselect_b32 vcc_lo, -1, 0
	s_cmp_lg_u32 s31, 0
	v_dual_cndmask_b32 v9, v20, v19 :: v_dual_add_nc_u32 v24, v23, v4
	s_cselect_b32 s33, -1, 0
	s_and_b32 s34, s0, s1
	v_dual_cndmask_b32 v10, v19, v20 :: v_dual_add_nc_u32 v27, 0x480, v21
	v_cmp_ne_u32_e64 s2, 0, v1
	s_cmp_gt_i32 s29, 0
	s_mul_i32 s36, s29, s29
	s_cselect_b32 s35, -1, 0
	s_mov_b32 s20, s30
	s_branch .LBB70_8
.LBB70_6:                               ;   in Loop: Header=BB70_8 Depth=1
	s_or_b32 exec_lo, exec_lo, s3
	s_add_i32 s20, s20, 1
	s_waitcnt_vscnt null, 0x0
	buffer_gl1_inv
	buffer_gl0_inv
	s_cmp_ge_i32 s20, s28
	s_cselect_b32 s25, -1, 0
.LBB70_7:                               ;   in Loop: Header=BB70_8 Depth=1
	s_delay_alu instid0(SALU_CYCLE_1)
	s_and_b32 vcc_lo, exec_lo, s25
	s_cbranch_vccnz .LBB70_58
.LBB70_8:                               ; =>This Loop Header: Depth=1
                                        ;     Child Loop BB70_13 Depth 2
                                        ;     Child Loop BB70_24 Depth 2
	;; [unrolled: 1-line block ×3, first 2 shown]
                                        ;       Child Loop BB70_55 Depth 3
	s_ashr_i32 s21, s20, 31
	s_delay_alu instid0(SALU_CYCLE_1) | instskip(NEXT) | instid1(SALU_CYCLE_1)
	s_lshl_b64 s[22:23], s[20:21], 2
	s_add_u32 s22, s14, s22
	s_addc_u32 s23, s15, s23
	s_load_b32 s21, s[22:23], 0x0
	s_waitcnt lgkmcnt(0)
	s_sub_i32 s24, s21, s17
	s_delay_alu instid0(SALU_CYCLE_1) | instskip(NEXT) | instid1(SALU_CYCLE_1)
	s_ashr_i32 s25, s24, 31
	s_lshl_b64 s[22:23], s[24:25], 2
	s_mov_b32 s25, -1
	s_add_u32 s26, s4, s22
	s_addc_u32 s27, s5, s23
	s_load_b32 s3, s[26:27], 0x0
	s_waitcnt lgkmcnt(0)
	s_cmp_eq_u32 s3, -1
	s_cbranch_scc1 .LBB70_7
; %bb.9:                                ;   in Loop: Header=BB70_8 Depth=1
	v_mov_b32_e32 v1, 0
	v_mov_b32_e32 v2, 0
	s_add_u32 s26, s12, s22
	s_addc_u32 s27, s13, s23
	s_delay_alu instid0(VALU_DEP_1)
	v_dual_mov_b32 v4, v2 :: v_dual_mov_b32 v3, v1
	s_and_saveexec_b32 s25, s34
	s_cbranch_execz .LBB70_11
; %bb.10:                               ;   in Loop: Header=BB70_8 Depth=1
	v_mad_u64_u32 v[1:2], null, s20, s29, v[10:11]
	s_delay_alu instid0(VALU_DEP_1) | instskip(NEXT) | instid1(VALU_DEP_1)
	v_mad_u64_u32 v[2:3], null, v1, s29, v[9:10]
	v_ashrrev_i32_e32 v3, 31, v2
	s_delay_alu instid0(VALU_DEP_1) | instskip(NEXT) | instid1(VALU_DEP_1)
	v_lshlrev_b64 v[1:2], 4, v[2:3]
	v_add_co_u32 v1, vcc_lo, s18, v1
	s_delay_alu instid0(VALU_DEP_2)
	v_add_co_ci_u32_e32 v2, vcc_lo, s19, v2, vcc_lo
	global_load_b128 v[1:4], v[1:2], off
.LBB70_11:                              ;   in Loop: Header=BB70_8 Depth=1
	s_or_b32 exec_lo, exec_lo, s25
	s_load_b32 s25, s[26:27], 0x0
	ds_load_b32 v5, v0 offset:5120
	s_waitcnt vmcnt(0)
	ds_store_b128 v24, v[1:4]
	s_waitcnt lgkmcnt(0)
	s_sub_i32 s26, s25, s17
	v_cmp_ge_i32_e32 vcc_lo, s24, v5
	s_cmp_le_i32 s26, s3
	s_cselect_b32 s25, -1, 0
	s_delay_alu instid0(SALU_CYCLE_1) | instskip(NEXT) | instid1(SALU_CYCLE_1)
	s_and_b32 s25, s25, vcc_lo
	s_and_not1_b32 vcc_lo, exec_lo, s25
	s_mov_b32 s25, 0
	s_cbranch_vccnz .LBB70_23
; %bb.12:                               ;   in Loop: Header=BB70_8 Depth=1
	s_mov_b32 s37, 0
	s_mov_b32 s38, 0
.LBB70_13:                              ;   Parent Loop BB70_8 Depth=1
                                        ; =>  This Inner Loop Header: Depth=2
	s_ashr_i32 s27, s26, 31
                                        ; implicit-def: $sgpr39
	s_delay_alu instid0(SALU_CYCLE_1) | instskip(NEXT) | instid1(SALU_CYCLE_1)
	s_lshl_b64 s[40:41], s[26:27], 2
	s_add_u32 s40, s14, s40
	s_addc_u32 s41, s15, s41
	s_lshl_b32 s25, s38, 2
	s_delay_alu instid0(SALU_CYCLE_1)
	v_mov_b32_e32 v1, s25
	s_load_b32 s25, s[40:41], 0x0
	s_mov_b32 s41, -1
                                        ; implicit-def: $sgpr40
	ds_load_b32 v1, v1 offset:5120
	s_waitcnt lgkmcnt(0)
	s_sub_i32 s42, s25, s17
                                        ; implicit-def: $sgpr25
	s_delay_alu instid0(SALU_CYCLE_1)
	v_cmp_ge_i32_e32 vcc_lo, s42, v1
	v_readfirstlane_b32 s27, v1
	s_cbranch_vccz .LBB70_19
; %bb.14:                               ;   in Loop: Header=BB70_13 Depth=2
	s_delay_alu instid0(VALU_DEP_1)
	s_cmp_le_i32 s42, s27
                                        ; implicit-def: $sgpr25
                                        ; implicit-def: $sgpr40
                                        ; implicit-def: $sgpr39
	s_cbranch_scc0 .LBB70_16
; %bb.15:                               ;   in Loop: Header=BB70_13 Depth=2
	s_add_i32 s25, s38, s30
	s_lshl_b32 s39, s37, 2
	s_mul_i32 s25, s25, s36
	s_delay_alu instid0(SALU_CYCLE_1)
	v_dual_mov_b32 v1, s39 :: v_dual_mov_b32 v2, s25
	s_mul_i32 s39, s26, s36
	s_add_i32 s40, s26, 1
	v_mov_b32_e32 v3, s39
	s_add_i32 s39, s38, 1
	s_add_i32 s25, s37, 1
	s_mov_b32 s41, 0
	ds_store_2addr_stride64_b32 v1, v3, v2 offset0:18 offset1:19
.LBB70_16:                              ;   in Loop: Header=BB70_13 Depth=2
	s_and_not1_b32 vcc_lo, exec_lo, s41
	s_cbranch_vccnz .LBB70_18
; %bb.17:                               ;   in Loop: Header=BB70_13 Depth=2
	s_add_i32 s39, s38, 1
	s_mov_b32 s25, s37
	s_mov_b32 s40, s26
.LBB70_18:                              ;   in Loop: Header=BB70_13 Depth=2
	s_mov_b32 s41, 0
.LBB70_19:                              ;   in Loop: Header=BB70_13 Depth=2
	s_delay_alu instid0(SALU_CYCLE_1)
	s_and_not1_b32 vcc_lo, exec_lo, s41
	s_cbranch_vccnz .LBB70_21
; %bb.20:                               ;   in Loop: Header=BB70_13 Depth=2
	s_add_i32 s40, s26, 1
	s_mov_b32 s39, s38
	s_mov_b32 s25, s37
.LBB70_21:                              ;   in Loop: Header=BB70_13 Depth=2
	s_cmp_le_i32 s40, s3
	s_cselect_b32 s26, -1, 0
	s_cmp_le_i32 s27, s24
	s_cselect_b32 s27, -1, 0
	s_delay_alu instid0(SALU_CYCLE_1) | instskip(NEXT) | instid1(SALU_CYCLE_1)
	s_and_b32 s26, s26, s27
	s_and_b32 vcc_lo, exec_lo, s26
	s_cbranch_vccz .LBB70_23
; %bb.22:                               ;   in Loop: Header=BB70_13 Depth=2
	s_mov_b32 s37, s25
	s_mov_b32 s26, s40
	;; [unrolled: 1-line block ×3, first 2 shown]
	s_branch .LBB70_13
.LBB70_23:                              ;   in Loop: Header=BB70_8 Depth=1
	s_add_u32 s22, s6, s22
	s_addc_u32 s23, s7, s23
	s_waitcnt lgkmcnt(0)
	buffer_gl0_inv
.LBB70_24:                              ;   Parent Loop BB70_8 Depth=1
                                        ; =>  This Inner Loop Header: Depth=2
	global_load_b32 v1, v0, s[22:23] glc
	s_waitcnt vmcnt(0)
	v_cmp_eq_u32_e32 vcc_lo, 0, v1
	s_cbranch_vccnz .LBB70_24
; %bb.25:                               ;   in Loop: Header=BB70_8 Depth=1
	v_mov_b32_e32 v3, 0
	v_mov_b32_e32 v4, 0
	buffer_gl1_inv
	buffer_gl0_inv
	v_dual_mov_b32 v6, v4 :: v_dual_mov_b32 v5, v3
	v_dual_mov_b32 v8, v4 :: v_dual_mov_b32 v7, v3
	s_and_saveexec_b32 s22, s34
	s_cbranch_execz .LBB70_27
; %bb.26:                               ;   in Loop: Header=BB70_8 Depth=1
	v_mad_u64_u32 v[1:2], null, s3, s29, v[10:11]
	s_delay_alu instid0(VALU_DEP_1) | instskip(NEXT) | instid1(VALU_DEP_1)
	v_mad_u64_u32 v[5:6], null, v1, s29, v[9:10]
	v_ashrrev_i32_e32 v6, 31, v5
	s_delay_alu instid0(VALU_DEP_1) | instskip(NEXT) | instid1(VALU_DEP_1)
	v_lshlrev_b64 v[1:2], 4, v[5:6]
	v_add_co_u32 v1, vcc_lo, s18, v1
	s_delay_alu instid0(VALU_DEP_2)
	v_add_co_ci_u32_e32 v2, vcc_lo, s19, v2, vcc_lo
	global_load_b128 v[5:8], v[1:2], off
.LBB70_27:                              ;   in Loop: Header=BB70_8 Depth=1
	s_or_b32 exec_lo, exec_lo, s22
	v_dual_mov_b32 v1, v3 :: v_dual_mov_b32 v2, v4
	s_cmp_lt_i32 s25, 2
	s_waitcnt vmcnt(0)
	ds_store_b128 v21, v[5:8]
	s_waitcnt lgkmcnt(0)
	buffer_gl0_inv
	s_cbranch_scc1 .LBB70_46
; %bb.28:                               ;   in Loop: Header=BB70_8 Depth=1
	v_mov_b32_e32 v11, 0
	v_mov_b32_e32 v12, 0
	s_add_i32 s3, s25, -2
	s_mov_b32 s22, 0
	s_delay_alu instid0(VALU_DEP_1)
	v_dual_mov_b32 v16, v12 :: v_dual_mov_b32 v15, v11
	s_and_not1_b32 vcc_lo, exec_lo, s35
	s_cbranch_vccnz .LBB70_43
.LBB70_29:                              ;   in Loop: Header=BB70_8 Depth=1
	s_lshl_b32 s23, s22, 2
	s_delay_alu instid0(SALU_CYCLE_1)
	v_mov_b32_e32 v1, s23
	s_mov_b32 s23, 0
	ds_load_2addr_stride64_b32 v[1:2], v1 offset0:18 offset1:19
	s_waitcnt lgkmcnt(0)
	v_add_nc_u32_e32 v28, v1, v25
	v_add_nc_u32_e32 v29, v2, v26
	;; [unrolled: 1-line block ×4, first 2 shown]
	s_and_b32 vcc_lo, exec_lo, s33
	s_cbranch_vccz .LBB70_35
.LBB70_30:                              ;   in Loop: Header=BB70_8 Depth=1
	v_mov_b32_e32 v1, 0
	v_mov_b32_e32 v2, 0
	s_delay_alu instid0(VALU_DEP_1)
	v_dual_mov_b32 v6, v2 :: v_dual_mov_b32 v5, v1
	v_dual_mov_b32 v8, v2 :: v_dual_mov_b32 v7, v1
	s_and_saveexec_b32 s24, s0
	s_cbranch_execz .LBB70_32
; %bb.31:                               ;   in Loop: Header=BB70_8 Depth=1
	v_ashrrev_i32_e32 v18, 31, v17
	s_delay_alu instid0(VALU_DEP_1) | instskip(NEXT) | instid1(VALU_DEP_1)
	v_lshlrev_b64 v[3:4], 4, v[17:18]
	v_add_co_u32 v3, vcc_lo, s18, v3
	s_delay_alu instid0(VALU_DEP_2)
	v_add_co_ci_u32_e32 v4, vcc_lo, s19, v4, vcc_lo
	global_load_b128 v[5:8], v[3:4], off
.LBB70_32:                              ;   in Loop: Header=BB70_8 Depth=1
	s_or_b32 exec_lo, exec_lo, s24
	v_dual_mov_b32 v4, v2 :: v_dual_mov_b32 v3, v1
	s_and_saveexec_b32 s24, s1
	s_cbranch_execz .LBB70_34
; %bb.33:                               ;   in Loop: Header=BB70_8 Depth=1
	v_ashrrev_i32_e32 v14, 31, v13
	s_delay_alu instid0(VALU_DEP_1) | instskip(NEXT) | instid1(VALU_DEP_1)
	v_lshlrev_b64 v[1:2], 4, v[13:14]
	v_add_co_u32 v1, vcc_lo, s18, v1
	s_delay_alu instid0(VALU_DEP_2)
	v_add_co_ci_u32_e32 v2, vcc_lo, s19, v2, vcc_lo
	global_load_b128 v[1:4], v[1:2], off
.LBB70_34:                              ;   in Loop: Header=BB70_8 Depth=1
	s_or_b32 exec_lo, exec_lo, s24
	s_waitcnt vmcnt(0)
	v_fma_f64 v[30:31], v[5:6], v[1:2], v[15:16]
	v_fma_f64 v[32:33], v[7:8], v[1:2], v[11:12]
	s_delay_alu instid0(VALU_DEP_2) | instskip(NEXT) | instid1(VALU_DEP_2)
	v_fma_f64 v[1:2], v[7:8], v[3:4], v[30:31]
	v_fma_f64 v[3:4], v[5:6], -v[3:4], v[32:33]
	s_branch .LBB70_41
.LBB70_35:                              ;   in Loop: Header=BB70_8 Depth=1
                                        ; implicit-def: $vgpr3_vgpr4
	s_cbranch_execz .LBB70_41
; %bb.36:                               ;   in Loop: Header=BB70_8 Depth=1
	v_mov_b32_e32 v1, 0
	v_mov_b32_e32 v2, 0
	s_delay_alu instid0(VALU_DEP_1)
	v_dual_mov_b32 v6, v2 :: v_dual_mov_b32 v5, v1
	v_dual_mov_b32 v8, v2 :: v_dual_mov_b32 v7, v1
	s_and_saveexec_b32 s24, s0
	s_cbranch_execz .LBB70_38
; %bb.37:                               ;   in Loop: Header=BB70_8 Depth=1
	v_add_nc_u32_e32 v3, s23, v28
	s_delay_alu instid0(VALU_DEP_1) | instskip(NEXT) | instid1(VALU_DEP_1)
	v_ashrrev_i32_e32 v4, 31, v3
	v_lshlrev_b64 v[3:4], 4, v[3:4]
	s_delay_alu instid0(VALU_DEP_1) | instskip(NEXT) | instid1(VALU_DEP_2)
	v_add_co_u32 v3, vcc_lo, s18, v3
	v_add_co_ci_u32_e32 v4, vcc_lo, s19, v4, vcc_lo
	global_load_b128 v[5:8], v[3:4], off
.LBB70_38:                              ;   in Loop: Header=BB70_8 Depth=1
	s_or_b32 exec_lo, exec_lo, s24
	v_dual_mov_b32 v4, v2 :: v_dual_mov_b32 v3, v1
	s_and_saveexec_b32 s24, s1
	s_cbranch_execz .LBB70_40
; %bb.39:                               ;   in Loop: Header=BB70_8 Depth=1
	v_add_nc_u32_e32 v1, s23, v29
	s_delay_alu instid0(VALU_DEP_1) | instskip(NEXT) | instid1(VALU_DEP_1)
	v_ashrrev_i32_e32 v2, 31, v1
	v_lshlrev_b64 v[1:2], 4, v[1:2]
	s_delay_alu instid0(VALU_DEP_1) | instskip(NEXT) | instid1(VALU_DEP_2)
	v_add_co_u32 v1, vcc_lo, s18, v1
	v_add_co_ci_u32_e32 v2, vcc_lo, s19, v2, vcc_lo
	global_load_b128 v[1:4], v[1:2], off
.LBB70_40:                              ;   in Loop: Header=BB70_8 Depth=1
	s_or_b32 exec_lo, exec_lo, s24
	s_waitcnt vmcnt(0)
	v_fma_f64 v[14:15], v[5:6], v[1:2], v[15:16]
	v_fma_f64 v[11:12], v[7:8], v[1:2], v[11:12]
	s_delay_alu instid0(VALU_DEP_2) | instskip(NEXT) | instid1(VALU_DEP_2)
	v_fma_f64 v[1:2], v[7:8], v[3:4], v[14:15]
	v_fma_f64 v[3:4], v[5:6], -v[3:4], v[11:12]
.LBB70_41:                              ;   in Loop: Header=BB70_8 Depth=1
	v_add_nc_u32_e32 v13, s29, v13
	v_add_nc_u32_e32 v17, s29, v17
	s_add_i32 s23, s23, 1
	s_delay_alu instid0(SALU_CYCLE_1)
	s_cmp_eq_u32 s29, s23
	s_cbranch_scc1 .LBB70_44
; %bb.42:                               ;   in Loop: Header=BB70_8 Depth=1
	s_delay_alu instid0(VALU_DEP_3)
	v_dual_mov_b32 v12, v4 :: v_dual_mov_b32 v11, v3
	v_dual_mov_b32 v16, v2 :: v_dual_mov_b32 v15, v1
	s_and_b32 vcc_lo, exec_lo, s33
	s_cbranch_vccz .LBB70_35
	s_branch .LBB70_30
.LBB70_43:                              ;   in Loop: Header=BB70_8 Depth=1
	v_dual_mov_b32 v3, v11 :: v_dual_mov_b32 v4, v12
	s_delay_alu instid0(VALU_DEP_2)
	v_dual_mov_b32 v1, v15 :: v_dual_mov_b32 v2, v16
.LBB70_44:                              ;   in Loop: Header=BB70_8 Depth=1
	s_add_i32 s23, s22, 1
	s_cmp_eq_u32 s22, s3
	s_cbranch_scc1 .LBB70_46
; %bb.45:                               ;   in Loop: Header=BB70_8 Depth=1
	s_delay_alu instid0(VALU_DEP_2) | instskip(NEXT) | instid1(VALU_DEP_2)
	v_dual_mov_b32 v12, v4 :: v_dual_mov_b32 v11, v3
	v_dual_mov_b32 v16, v2 :: v_dual_mov_b32 v15, v1
	s_mov_b32 s22, s23
	s_and_not1_b32 vcc_lo, exec_lo, s35
	s_cbranch_vccz .LBB70_29
	s_branch .LBB70_43
.LBB70_46:                              ;   in Loop: Header=BB70_8 Depth=1
	s_and_not1_b32 vcc_lo, exec_lo, s35
	ds_store_b128 v27, v[1:4]
	s_waitcnt lgkmcnt(0)
	buffer_gl0_inv
	s_cbranch_vccnz .LBB70_56
; %bb.47:                               ;   in Loop: Header=BB70_8 Depth=1
	s_mov_b32 s22, 0
	s_mov_b32 s23, 0
	s_branch .LBB70_49
.LBB70_48:                              ;   in Loop: Header=BB70_49 Depth=2
	v_mul_f64 v[16:17], v[11:12], v[11:12]
	s_waitcnt lgkmcnt(0)
	s_delay_alu instid0(VALU_DEP_2) | instskip(NEXT) | instid1(VALU_DEP_4)
	v_add_f64 v[3:4], v[3:4], -v[7:8]
	v_add_f64 v[1:2], v[1:2], -v[5:6]
	v_add_nc_u32_e32 v15, 0x900, v15
	s_addk_i32 s22, 0x90
	s_delay_alu instid0(VALU_DEP_4) | instskip(NEXT) | instid1(VALU_DEP_4)
	v_fma_f64 v[16:17], v[13:14], v[13:14], v[16:17]
	v_mul_f64 v[5:6], v[11:12], v[3:4]
	s_delay_alu instid0(VALU_DEP_4) | instskip(NEXT) | instid1(VALU_DEP_3)
	v_mul_f64 v[11:12], v[11:12], -v[1:2]
	v_div_scale_f64 v[28:29], null, v[16:17], v[16:17], 1.0
	v_div_scale_f64 v[34:35], vcc_lo, 1.0, v[16:17], 1.0
	s_delay_alu instid0(VALU_DEP_4) | instskip(NEXT) | instid1(VALU_DEP_4)
	v_fma_f64 v[1:2], v[1:2], v[13:14], v[5:6]
	v_fma_f64 v[3:4], v[3:4], v[13:14], v[11:12]
	s_delay_alu instid0(VALU_DEP_4) | instskip(SKIP_2) | instid1(VALU_DEP_1)
	v_rcp_f64_e32 v[30:31], v[28:29]
	s_waitcnt_depctr 0xfff
	v_fma_f64 v[32:33], -v[28:29], v[30:31], 1.0
	v_fma_f64 v[30:31], v[30:31], v[32:33], v[30:31]
	s_delay_alu instid0(VALU_DEP_1) | instskip(NEXT) | instid1(VALU_DEP_1)
	v_fma_f64 v[32:33], -v[28:29], v[30:31], 1.0
	v_fma_f64 v[30:31], v[30:31], v[32:33], v[30:31]
	s_delay_alu instid0(VALU_DEP_1) | instskip(NEXT) | instid1(VALU_DEP_1)
	v_mul_f64 v[32:33], v[34:35], v[30:31]
	v_fma_f64 v[7:8], -v[28:29], v[32:33], v[34:35]
	s_delay_alu instid0(VALU_DEP_1) | instskip(NEXT) | instid1(VALU_DEP_1)
	v_div_fmas_f64 v[7:8], v[7:8], v[30:31], v[32:33]
	v_div_fixup_f64 v[5:6], v[7:8], v[16:17], 1.0
	s_delay_alu instid0(VALU_DEP_1) | instskip(SKIP_2) | instid1(VALU_DEP_1)
	v_mul_f64 v[1:2], v[5:6], v[1:2]
	v_mul_f64 v[3:4], v[5:6], v[3:4]
	v_mul_u32_u24_e32 v5, 0x90, v19
	v_lshl_add_u32 v5, s23, 4, v5
	s_add_i32 s23, s23, 1
	s_delay_alu instid0(SALU_CYCLE_1)
	s_cmp_eq_u32 s23, s29
	ds_store_b128 v15, v[1:4]
	s_waitcnt lgkmcnt(0)
	s_waitcnt_vscnt null, 0x0
	buffer_gl0_inv
	ds_load_b128 v[5:8], v5 offset:2304
	ds_load_b128 v[11:14], v22
	s_waitcnt lgkmcnt(0)
	v_fma_f64 v[11:12], v[1:2], v[5:6], v[11:12]
	v_fma_f64 v[5:6], v[3:4], v[5:6], v[13:14]
	s_delay_alu instid0(VALU_DEP_2) | instskip(NEXT) | instid1(VALU_DEP_2)
	v_fma_f64 v[3:4], v[3:4], v[7:8], v[11:12]
	v_fma_f64 v[5:6], v[1:2], -v[7:8], v[5:6]
	ds_store_b128 v22, v[3:6]
	s_waitcnt lgkmcnt(0)
	buffer_gl0_inv
	s_cbranch_scc1 .LBB70_56
.LBB70_49:                              ;   Parent Loop BB70_8 Depth=1
                                        ; =>  This Loop Header: Depth=2
                                        ;       Child Loop BB70_55 Depth 3
	s_lshl_b32 s24, s23, 4
	s_mul_i32 s3, s23, 0x90
	v_mad_u32_u24 v15, 0x90, v20, s24
	s_add_i32 s3, s24, s3
	s_delay_alu instid0(SALU_CYCLE_1)
	v_mov_b32_e32 v1, s3
	ds_load_b128 v[5:8], v1
	ds_load_b128 v[1:4], v15 offset:2304
	s_waitcnt lgkmcnt(1)
	v_cmp_neq_f64_e32 vcc_lo, 0, v[5:6]
	v_cmp_neq_f64_e64 s3, 0, v[7:8]
	s_delay_alu instid0(VALU_DEP_1) | instskip(SKIP_4) | instid1(SALU_CYCLE_1)
	s_or_b32 vcc_lo, vcc_lo, s3
	v_dual_cndmask_b32 v12, 0, v8 :: v_dual_cndmask_b32 v11, 0, v7
	v_cndmask_b32_e32 v14, 0x3ff00000, v6, vcc_lo
	v_cndmask_b32_e32 v13, 0, v5, vcc_lo
	s_or_b32 s3, vcc_lo, s2
	s_xor_b32 s24, s3, -1
	s_delay_alu instid0(SALU_CYCLE_1)
	s_and_saveexec_b32 s3, s24
	s_cbranch_execz .LBB70_53
; %bb.50:                               ;   in Loop: Header=BB70_49 Depth=2
	v_mbcnt_lo_u32_b32 v5, exec_lo, 0
	s_mov_b32 s24, exec_lo
	s_delay_alu instid0(VALU_DEP_1)
	v_cmpx_eq_u32_e32 0, v5
	s_cbranch_execz .LBB70_52
; %bb.51:                               ;   in Loop: Header=BB70_49 Depth=2
	v_mov_b32_e32 v5, s21
	global_atomic_min_i32 v0, v5, s[10:11]
.LBB70_52:                              ;   in Loop: Header=BB70_49 Depth=2
	s_or_b32 exec_lo, exec_lo, s24
	v_mov_b32_e32 v11, 0
	v_dual_mov_b32 v12, 0 :: v_dual_mov_b32 v13, 0
	v_mov_b32_e32 v14, 0x3ff00000
.LBB70_53:                              ;   in Loop: Header=BB70_49 Depth=2
	s_or_b32 exec_lo, exec_lo, s3
	v_mul_u32_u24_e32 v5, 0x90, v20
	s_cmp_eq_u32 s23, 0
	s_delay_alu instid0(VALU_DEP_1)
	v_lshl_add_u32 v5, s23, 4, v5
	ds_load_b128 v[5:8], v5 offset:1152
	s_cbranch_scc1 .LBB70_48
; %bb.54:                               ;   in Loop: Header=BB70_49 Depth=2
	v_mov_b32_e32 v16, v23
	s_mov_b32 s3, 0
	s_mov_b32 s24, s22
	.p2align	6
.LBB70_55:                              ;   Parent Loop BB70_8 Depth=1
                                        ;     Parent Loop BB70_49 Depth=2
                                        ; =>    This Inner Loop Header: Depth=3
	s_delay_alu instid0(SALU_CYCLE_1)
	v_mov_b32_e32 v17, s24
	s_add_i32 s3, s3, 1
	s_add_i32 s24, s24, 16
	s_cmp_ge_u32 s3, s23
	ds_load_b128 v[28:31], v16
	ds_load_b128 v[32:35], v17
	v_add_nc_u32_e32 v16, 16, v16
	s_waitcnt lgkmcnt(0)
	v_fma_f64 v[5:6], v[32:33], v[28:29], v[5:6]
	v_fma_f64 v[7:8], v[34:35], v[28:29], v[7:8]
	s_delay_alu instid0(VALU_DEP_2) | instskip(NEXT) | instid1(VALU_DEP_2)
	v_fma_f64 v[5:6], v[34:35], v[30:31], v[5:6]
	v_fma_f64 v[7:8], v[32:33], -v[30:31], v[7:8]
	s_cbranch_scc0 .LBB70_55
	s_branch .LBB70_48
.LBB70_56:                              ;   in Loop: Header=BB70_8 Depth=1
	s_and_saveexec_b32 s3, s34
	s_cbranch_execz .LBB70_6
; %bb.57:                               ;   in Loop: Header=BB70_8 Depth=1
	v_mad_u64_u32 v[1:2], null, s20, s29, v[10:11]
	s_delay_alu instid0(VALU_DEP_1) | instskip(SKIP_2) | instid1(VALU_DEP_1)
	v_mad_u64_u32 v[5:6], null, v1, s29, v[9:10]
	ds_load_2addr_b64 v[1:4], v24 offset1:1
	v_ashrrev_i32_e32 v6, 31, v5
	v_lshlrev_b64 v[5:6], 4, v[5:6]
	s_delay_alu instid0(VALU_DEP_1) | instskip(NEXT) | instid1(VALU_DEP_2)
	v_add_co_u32 v5, vcc_lo, s18, v5
	v_add_co_ci_u32_e32 v6, vcc_lo, s19, v6, vcc_lo
	s_waitcnt lgkmcnt(0)
	global_store_b128 v[5:6], v[1:4], off
	s_branch .LBB70_6
.LBB70_58:
	s_cmp_eq_u32 s31, 0
	v_max_i32_e32 v2, v19, v20
	s_cselect_b32 vcc_lo, -1, 0
	v_dual_mov_b32 v0, 0 :: v_dual_cndmask_b32 v5, v19, v20
	v_dual_mov_b32 v1, 0 :: v_dual_cndmask_b32 v4, v20, v19
	s_delay_alu instid0(VALU_DEP_3) | instskip(NEXT) | instid1(VALU_DEP_2)
	v_cmp_gt_i32_e64 s0, s29, v2
	v_dual_mov_b32 v3, v1 :: v_dual_mov_b32 v2, v0
	s_delay_alu instid0(VALU_DEP_2)
	s_and_saveexec_b32 s1, s0
	s_cbranch_execz .LBB70_60
; %bb.59:
	v_mad_u64_u32 v[0:1], null, s28, s29, v[5:6]
	s_delay_alu instid0(VALU_DEP_1) | instskip(NEXT) | instid1(VALU_DEP_1)
	v_mad_u64_u32 v[1:2], null, v0, s29, v[4:5]
	v_ashrrev_i32_e32 v2, 31, v1
	s_delay_alu instid0(VALU_DEP_1) | instskip(NEXT) | instid1(VALU_DEP_1)
	v_lshlrev_b64 v[0:1], 4, v[1:2]
	v_add_co_u32 v0, vcc_lo, s18, v0
	s_delay_alu instid0(VALU_DEP_2)
	v_add_co_ci_u32_e32 v1, vcc_lo, s19, v1, vcc_lo
	global_load_b128 v[0:3], v[0:1], off
.LBB70_60:
	s_or_b32 exec_lo, exec_lo, s1
	s_movk_i32 s3, 0x900
	s_cmp_lt_i32 s29, 1
	s_waitcnt vmcnt(0)
	ds_store_b128 v21, v[0:3] offset:2304
	s_waitcnt lgkmcnt(0)
	buffer_gl0_inv
	s_cbranch_scc1 .LBB70_77
; %bb.61:
	v_or_b32_e32 v0, v19, v20
	v_lshlrev_b32_e32 v1, 4, v20
	v_mad_u32_u24 v12, 0x90, v20, s3
	v_mul_u32_u24_e32 v2, 0x90, v20
	v_mad_u32_u24 v15, 0x90, v19, s3
	v_cmp_ne_u32_e64 s1, 0, v0
	s_mov_b32 s4, 0
	s_add_i32 s5, s16, s17
	v_add3_u32 v14, v2, v1, 0xd80
	v_dual_mov_b32 v2, 0 :: v_dual_add_nc_u32 v13, v12, v1
	s_branch .LBB70_63
.LBB70_62:                              ;   in Loop: Header=BB70_63 Depth=1
	s_or_b32 exec_lo, exec_lo, s2
	v_add_nc_u32_e32 v12, 16, v12
	v_add_nc_u32_e32 v15, 16, v15
	s_add_i32 s4, s4, 1
	s_addk_i32 s3, 0xa0
	s_cmp_eq_u32 s29, s4
	s_waitcnt lgkmcnt(0)
	s_waitcnt_vscnt null, 0x0
	buffer_gl0_inv
	s_cbranch_scc1 .LBB70_77
.LBB70_63:                              ; =>This Inner Loop Header: Depth=1
	s_mov_b32 s12, exec_lo
	v_cmpx_eq_u32_e64 s4, v20
	s_cbranch_execz .LBB70_71
; %bb.64:                               ;   in Loop: Header=BB70_63 Depth=1
	ds_load_b128 v[6:9], v14
	ds_load_b128 v[23:26], v13
	s_waitcnt lgkmcnt(0)
	v_add_f64 v[0:1], v[23:24], -v[6:7]
	v_add_f64 v[10:11], v[25:26], -v[8:9]
                                        ; implicit-def: $vgpr8_vgpr9
	s_delay_alu instid0(VALU_DEP_2) | instskip(NEXT) | instid1(VALU_DEP_2)
	v_cmp_gt_f64_e32 vcc_lo, 0, v[0:1]
	v_cmp_gt_f64_e64 s2, 0, v[10:11]
	v_xor_b32_e32 v3, 0x80000000, v1
	v_xor_b32_e32 v6, 0x80000000, v11
	s_delay_alu instid0(VALU_DEP_2) | instskip(NEXT) | instid1(VALU_DEP_2)
	v_dual_cndmask_b32 v1, v1, v3 :: v_dual_cndmask_b32 v0, v0, v0
	v_cndmask_b32_e64 v7, v11, v6, s2
	v_cndmask_b32_e64 v6, v10, v10, s2
	s_mov_b32 s2, exec_lo
	s_delay_alu instid0(VALU_DEP_1)
	v_cmpx_ngt_f64_e32 v[0:1], v[6:7]
	s_xor_b32 s2, exec_lo, s2
	s_cbranch_execz .LBB70_68
; %bb.65:                               ;   in Loop: Header=BB70_63 Depth=1
	v_mov_b32_e32 v8, 0
	v_mov_b32_e32 v9, 0
	s_mov_b32 s13, exec_lo
	v_cmpx_neq_f64_e32 0, v[10:11]
	s_cbranch_execz .LBB70_67
; %bb.66:                               ;   in Loop: Header=BB70_63 Depth=1
	v_div_scale_f64 v[8:9], null, v[6:7], v[6:7], v[0:1]
	v_div_scale_f64 v[23:24], vcc_lo, v[0:1], v[6:7], v[0:1]
	s_delay_alu instid0(VALU_DEP_2) | instskip(SKIP_2) | instid1(VALU_DEP_1)
	v_rcp_f64_e32 v[10:11], v[8:9]
	s_waitcnt_depctr 0xfff
	v_fma_f64 v[16:17], -v[8:9], v[10:11], 1.0
	v_fma_f64 v[10:11], v[10:11], v[16:17], v[10:11]
	s_delay_alu instid0(VALU_DEP_1) | instskip(NEXT) | instid1(VALU_DEP_1)
	v_fma_f64 v[16:17], -v[8:9], v[10:11], 1.0
	v_fma_f64 v[10:11], v[10:11], v[16:17], v[10:11]
	s_delay_alu instid0(VALU_DEP_1) | instskip(NEXT) | instid1(VALU_DEP_1)
	v_mul_f64 v[16:17], v[23:24], v[10:11]
	v_fma_f64 v[8:9], -v[8:9], v[16:17], v[23:24]
	s_delay_alu instid0(VALU_DEP_1) | instskip(NEXT) | instid1(VALU_DEP_1)
	v_div_fmas_f64 v[8:9], v[8:9], v[10:11], v[16:17]
	v_div_fixup_f64 v[0:1], v[8:9], v[6:7], v[0:1]
	s_delay_alu instid0(VALU_DEP_1) | instskip(NEXT) | instid1(VALU_DEP_1)
	v_fma_f64 v[0:1], v[0:1], v[0:1], 1.0
	v_cmp_gt_f64_e32 vcc_lo, 0x10000000, v[0:1]
	v_cndmask_b32_e64 v3, 0, 1, vcc_lo
	s_delay_alu instid0(VALU_DEP_1) | instskip(NEXT) | instid1(VALU_DEP_1)
	v_lshlrev_b32_e32 v3, 8, v3
	v_ldexp_f64 v[0:1], v[0:1], v3
	v_cndmask_b32_e64 v3, 0, 0xffffff80, vcc_lo
	s_delay_alu instid0(VALU_DEP_2) | instskip(SKIP_4) | instid1(VALU_DEP_1)
	v_rsq_f64_e32 v[8:9], v[0:1]
	v_cmp_class_f64_e64 vcc_lo, v[0:1], 0x260
	s_waitcnt_depctr 0xfff
	v_mul_f64 v[10:11], v[0:1], v[8:9]
	v_mul_f64 v[8:9], v[8:9], 0.5
	v_fma_f64 v[16:17], -v[8:9], v[10:11], 0.5
	s_delay_alu instid0(VALU_DEP_1) | instskip(SKIP_1) | instid1(VALU_DEP_2)
	v_fma_f64 v[10:11], v[10:11], v[16:17], v[10:11]
	v_fma_f64 v[8:9], v[8:9], v[16:17], v[8:9]
	v_fma_f64 v[16:17], -v[10:11], v[10:11], v[0:1]
	s_delay_alu instid0(VALU_DEP_1) | instskip(NEXT) | instid1(VALU_DEP_1)
	v_fma_f64 v[10:11], v[16:17], v[8:9], v[10:11]
	v_fma_f64 v[16:17], -v[10:11], v[10:11], v[0:1]
	s_delay_alu instid0(VALU_DEP_1) | instskip(NEXT) | instid1(VALU_DEP_1)
	v_fma_f64 v[8:9], v[16:17], v[8:9], v[10:11]
	v_ldexp_f64 v[8:9], v[8:9], v3
	s_delay_alu instid0(VALU_DEP_1) | instskip(NEXT) | instid1(VALU_DEP_1)
	v_dual_cndmask_b32 v0, v8, v0 :: v_dual_cndmask_b32 v1, v9, v1
	v_mul_f64 v[8:9], v[6:7], v[0:1]
.LBB70_67:                              ;   in Loop: Header=BB70_63 Depth=1
	s_or_b32 exec_lo, exec_lo, s13
                                        ; implicit-def: $vgpr0_vgpr1
                                        ; implicit-def: $vgpr6_vgpr7
.LBB70_68:                              ;   in Loop: Header=BB70_63 Depth=1
	s_and_not1_saveexec_b32 s2, s2
	s_cbranch_execz .LBB70_70
; %bb.69:                               ;   in Loop: Header=BB70_63 Depth=1
	v_div_scale_f64 v[8:9], null, v[0:1], v[0:1], v[6:7]
	v_div_scale_f64 v[23:24], vcc_lo, v[6:7], v[0:1], v[6:7]
	s_delay_alu instid0(VALU_DEP_2) | instskip(SKIP_2) | instid1(VALU_DEP_1)
	v_rcp_f64_e32 v[10:11], v[8:9]
	s_waitcnt_depctr 0xfff
	v_fma_f64 v[16:17], -v[8:9], v[10:11], 1.0
	v_fma_f64 v[10:11], v[10:11], v[16:17], v[10:11]
	s_delay_alu instid0(VALU_DEP_1) | instskip(NEXT) | instid1(VALU_DEP_1)
	v_fma_f64 v[16:17], -v[8:9], v[10:11], 1.0
	v_fma_f64 v[10:11], v[10:11], v[16:17], v[10:11]
	s_delay_alu instid0(VALU_DEP_1) | instskip(NEXT) | instid1(VALU_DEP_1)
	v_mul_f64 v[16:17], v[23:24], v[10:11]
	v_fma_f64 v[8:9], -v[8:9], v[16:17], v[23:24]
	s_delay_alu instid0(VALU_DEP_1) | instskip(NEXT) | instid1(VALU_DEP_1)
	v_div_fmas_f64 v[8:9], v[8:9], v[10:11], v[16:17]
	v_div_fixup_f64 v[6:7], v[8:9], v[0:1], v[6:7]
	s_delay_alu instid0(VALU_DEP_1) | instskip(NEXT) | instid1(VALU_DEP_1)
	v_fma_f64 v[6:7], v[6:7], v[6:7], 1.0
	v_cmp_gt_f64_e32 vcc_lo, 0x10000000, v[6:7]
	v_cndmask_b32_e64 v3, 0, 1, vcc_lo
	s_delay_alu instid0(VALU_DEP_1) | instskip(NEXT) | instid1(VALU_DEP_1)
	v_lshlrev_b32_e32 v3, 8, v3
	v_ldexp_f64 v[6:7], v[6:7], v3
	v_cndmask_b32_e64 v3, 0, 0xffffff80, vcc_lo
	s_delay_alu instid0(VALU_DEP_2) | instskip(SKIP_4) | instid1(VALU_DEP_1)
	v_rsq_f64_e32 v[8:9], v[6:7]
	v_cmp_class_f64_e64 vcc_lo, v[6:7], 0x260
	s_waitcnt_depctr 0xfff
	v_mul_f64 v[10:11], v[6:7], v[8:9]
	v_mul_f64 v[8:9], v[8:9], 0.5
	v_fma_f64 v[16:17], -v[8:9], v[10:11], 0.5
	s_delay_alu instid0(VALU_DEP_1) | instskip(SKIP_1) | instid1(VALU_DEP_2)
	v_fma_f64 v[10:11], v[10:11], v[16:17], v[10:11]
	v_fma_f64 v[8:9], v[8:9], v[16:17], v[8:9]
	v_fma_f64 v[16:17], -v[10:11], v[10:11], v[6:7]
	s_delay_alu instid0(VALU_DEP_1) | instskip(NEXT) | instid1(VALU_DEP_1)
	v_fma_f64 v[10:11], v[16:17], v[8:9], v[10:11]
	v_fma_f64 v[16:17], -v[10:11], v[10:11], v[6:7]
	s_delay_alu instid0(VALU_DEP_1) | instskip(NEXT) | instid1(VALU_DEP_1)
	v_fma_f64 v[8:9], v[16:17], v[8:9], v[10:11]
	v_ldexp_f64 v[8:9], v[8:9], v3
	s_delay_alu instid0(VALU_DEP_1) | instskip(NEXT) | instid1(VALU_DEP_1)
	v_dual_cndmask_b32 v6, v8, v6 :: v_dual_cndmask_b32 v7, v9, v7
	v_mul_f64 v[8:9], v[0:1], v[6:7]
.LBB70_70:                              ;   in Loop: Header=BB70_63 Depth=1
	s_or_b32 exec_lo, exec_lo, s2
	s_delay_alu instid0(VALU_DEP_1) | instskip(SKIP_2) | instid1(VALU_DEP_2)
	v_cmp_gt_f64_e32 vcc_lo, 0x10000000, v[8:9]
	v_cndmask_b32_e64 v0, 0, 1, vcc_lo
	v_cndmask_b32_e64 v3, 0, 0xffffff80, vcc_lo
	v_lshlrev_b32_e32 v0, 8, v0
	s_delay_alu instid0(VALU_DEP_1) | instskip(NEXT) | instid1(VALU_DEP_1)
	v_ldexp_f64 v[0:1], v[8:9], v0
	v_rsq_f64_e32 v[6:7], v[0:1]
	v_cmp_class_f64_e64 vcc_lo, v[0:1], 0x260
	s_waitcnt_depctr 0xfff
	v_mul_f64 v[8:9], v[0:1], v[6:7]
	v_mul_f64 v[6:7], v[6:7], 0.5
	s_delay_alu instid0(VALU_DEP_1) | instskip(NEXT) | instid1(VALU_DEP_1)
	v_fma_f64 v[10:11], -v[6:7], v[8:9], 0.5
	v_fma_f64 v[8:9], v[8:9], v[10:11], v[8:9]
	v_fma_f64 v[6:7], v[6:7], v[10:11], v[6:7]
	s_delay_alu instid0(VALU_DEP_2) | instskip(NEXT) | instid1(VALU_DEP_1)
	v_fma_f64 v[10:11], -v[8:9], v[8:9], v[0:1]
	v_fma_f64 v[8:9], v[10:11], v[6:7], v[8:9]
	s_delay_alu instid0(VALU_DEP_1) | instskip(NEXT) | instid1(VALU_DEP_1)
	v_fma_f64 v[10:11], -v[8:9], v[8:9], v[0:1]
	v_fma_f64 v[6:7], v[10:11], v[6:7], v[8:9]
	s_delay_alu instid0(VALU_DEP_1) | instskip(SKIP_1) | instid1(VALU_DEP_2)
	v_ldexp_f64 v[6:7], v[6:7], v3
	v_mov_b32_e32 v3, v2
	v_dual_cndmask_b32 v1, v7, v1 :: v_dual_cndmask_b32 v0, v6, v0
	ds_store_b128 v13, v[0:3]
.LBB70_71:                              ;   in Loop: Header=BB70_63 Depth=1
	s_or_b32 exec_lo, exec_lo, s12
	v_mov_b32_e32 v0, s3
	s_waitcnt lgkmcnt(0)
	buffer_gl0_inv
	ds_load_b128 v[6:9], v0
	s_waitcnt lgkmcnt(0)
	v_cmp_neq_f64_e32 vcc_lo, 0, v[6:7]
	v_cmp_neq_f64_e64 s2, 0, v[8:9]
	s_delay_alu instid0(VALU_DEP_1) | instskip(SKIP_4) | instid1(SALU_CYCLE_1)
	s_or_b32 vcc_lo, vcc_lo, s2
	v_dual_cndmask_b32 v1, 0, v9 :: v_dual_cndmask_b32 v0, 0, v8
	v_cndmask_b32_e32 v7, 0x3ff00000, v7, vcc_lo
	v_cndmask_b32_e32 v6, 0, v6, vcc_lo
	s_or_b32 s2, vcc_lo, s1
	s_xor_b32 s12, s2, -1
	s_delay_alu instid0(SALU_CYCLE_1)
	s_and_saveexec_b32 s2, s12
	s_cbranch_execz .LBB70_75
; %bb.72:                               ;   in Loop: Header=BB70_63 Depth=1
	v_mbcnt_lo_u32_b32 v0, exec_lo, 0
	s_mov_b32 s12, exec_lo
	s_delay_alu instid0(VALU_DEP_1)
	v_cmpx_eq_u32_e32 0, v0
	s_cbranch_execz .LBB70_74
; %bb.73:                               ;   in Loop: Header=BB70_63 Depth=1
	v_mov_b32_e32 v0, s5
	global_atomic_min_i32 v2, v0, s[10:11]
.LBB70_74:                              ;   in Loop: Header=BB70_63 Depth=1
	s_or_b32 exec_lo, exec_lo, s12
	v_mov_b32_e32 v0, 0
	v_dual_mov_b32 v1, 0 :: v_dual_mov_b32 v6, 0
	v_mov_b32_e32 v7, 0x3ff00000
.LBB70_75:                              ;   in Loop: Header=BB70_63 Depth=1
	s_or_b32 exec_lo, exec_lo, s2
	s_delay_alu instid0(SALU_CYCLE_1)
	s_mov_b32 s2, exec_lo
	v_cmpx_lt_u32_e64 s4, v20
	s_cbranch_execz .LBB70_62
; %bb.76:                               ;   in Loop: Header=BB70_63 Depth=1
	v_mul_f64 v[8:9], v[0:1], v[0:1]
	s_delay_alu instid0(VALU_DEP_1) | instskip(NEXT) | instid1(VALU_DEP_1)
	v_fma_f64 v[16:17], v[6:7], v[6:7], v[8:9]
	v_div_scale_f64 v[27:28], null, v[16:17], v[16:17], 1.0
	v_div_scale_f64 v[29:30], vcc_lo, 1.0, v[16:17], 1.0
	s_delay_alu instid0(VALU_DEP_2) | instskip(SKIP_2) | instid1(VALU_DEP_1)
	v_rcp_f64_e32 v[8:9], v[27:28]
	s_waitcnt_depctr 0xfff
	v_fma_f64 v[10:11], -v[27:28], v[8:9], 1.0
	v_fma_f64 v[8:9], v[8:9], v[10:11], v[8:9]
	s_delay_alu instid0(VALU_DEP_1) | instskip(NEXT) | instid1(VALU_DEP_1)
	v_fma_f64 v[10:11], -v[27:28], v[8:9], 1.0
	v_fma_f64 v[31:32], v[8:9], v[10:11], v[8:9]
	ds_load_b128 v[8:11], v12
	ds_load_b128 v[23:26], v12 offset:1152
	s_waitcnt lgkmcnt(0)
	v_add_f64 v[10:11], v[10:11], -v[25:26]
	v_add_f64 v[8:9], v[8:9], -v[23:24]
	v_mul_f64 v[33:34], v[29:30], v[31:32]
	s_delay_alu instid0(VALU_DEP_3) | instskip(NEXT) | instid1(VALU_DEP_3)
	v_mul_f64 v[23:24], v[0:1], v[10:11]
	v_mul_f64 v[0:1], v[0:1], -v[8:9]
	s_delay_alu instid0(VALU_DEP_3) | instskip(NEXT) | instid1(VALU_DEP_3)
	v_fma_f64 v[25:26], -v[27:28], v[33:34], v[29:30]
	v_fma_f64 v[8:9], v[8:9], v[6:7], v[23:24]
	s_delay_alu instid0(VALU_DEP_3) | instskip(NEXT) | instid1(VALU_DEP_3)
	v_fma_f64 v[0:1], v[10:11], v[6:7], v[0:1]
	v_div_fmas_f64 v[25:26], v[25:26], v[31:32], v[33:34]
	s_delay_alu instid0(VALU_DEP_1) | instskip(NEXT) | instid1(VALU_DEP_1)
	v_div_fixup_f64 v[16:17], v[25:26], v[16:17], 1.0
	v_mul_f64 v[6:7], v[16:17], v[8:9]
	s_delay_alu instid0(VALU_DEP_4)
	v_mul_f64 v[8:9], v[16:17], v[0:1]
	ds_store_b128 v12, v[6:9]
	s_waitcnt lgkmcnt(0)
	s_waitcnt_vscnt null, 0x0
	buffer_gl0_inv
	ds_load_b128 v[23:26], v15
	ds_load_b128 v[27:30], v22
	s_waitcnt lgkmcnt(0)
	v_fma_f64 v[0:1], v[6:7], v[23:24], v[27:28]
	v_fma_f64 v[10:11], v[8:9], v[23:24], v[29:30]
	s_delay_alu instid0(VALU_DEP_2) | instskip(NEXT) | instid1(VALU_DEP_2)
	v_fma_f64 v[8:9], v[8:9], v[25:26], v[0:1]
	v_fma_f64 v[10:11], v[6:7], -v[25:26], v[10:11]
	ds_store_b128 v22, v[8:11]
	s_branch .LBB70_62
.LBB70_77:
	s_and_saveexec_b32 s1, s0
	s_cbranch_execz .LBB70_79
; %bb.78:
	v_mad_u64_u32 v[0:1], null, s28, s29, v[5:6]
	s_delay_alu instid0(VALU_DEP_1) | instskip(SKIP_3) | instid1(VALU_DEP_1)
	v_mad_u64_u32 v[5:6], null, v0, s29, v[4:5]
	v_add_nc_u32_e32 v0, 0x900, v21
	ds_load_2addr_b64 v[0:3], v0 offset1:1
	v_ashrrev_i32_e32 v6, 31, v5
	v_lshlrev_b64 v[4:5], 4, v[5:6]
	s_delay_alu instid0(VALU_DEP_1) | instskip(NEXT) | instid1(VALU_DEP_2)
	v_add_co_u32 v4, vcc_lo, s18, v4
	v_add_co_ci_u32_e32 v5, vcc_lo, s19, v5, vcc_lo
	s_waitcnt lgkmcnt(0)
	global_store_b128 v[4:5], v[0:3], off
.LBB70_79:
	s_or_b32 exec_lo, exec_lo, s1
	v_or_b32_e32 v0, v19, v20
	s_delay_alu instid0(VALU_DEP_1)
	v_cmp_eq_u32_e64 s3, 0, v0
.LBB70_80:
	s_delay_alu instid0(VALU_DEP_1)
	s_and_saveexec_b32 s0, s3
	s_cbranch_execnz .LBB70_88
.LBB70_81:
	s_nop 0
	s_sendmsg sendmsg(MSG_DEALLOC_VGPRS)
	s_endpgm
.LBB70_82:
	s_cbranch_execz .LBB70_80
; %bb.83:
	v_or_b32_e32 v0, v19, v20
	s_mov_b32 s0, exec_lo
	s_delay_alu instid0(VALU_DEP_1)
	v_cmpx_eq_u32_e32 0, v0
	s_cbranch_execz .LBB70_87
; %bb.84:
	v_mbcnt_lo_u32_b32 v0, exec_lo, 0
	s_mov_b32 s1, exec_lo
	s_delay_alu instid0(VALU_DEP_1)
	v_cmpx_eq_u32_e32 0, v0
	s_cbranch_execz .LBB70_86
; %bb.85:
	s_add_i32 s2, s16, s17
	s_delay_alu instid0(SALU_CYCLE_1)
	v_dual_mov_b32 v0, 0 :: v_dual_mov_b32 v1, s2
	global_atomic_min_i32 v0, v1, s[10:11]
.LBB70_86:
	s_or_b32 exec_lo, exec_lo, s1
	s_delay_alu instid0(SALU_CYCLE_1)
	s_or_b32 s3, s3, exec_lo
.LBB70_87:
	s_or_b32 exec_lo, exec_lo, s0
	s_and_saveexec_b32 s0, s3
	s_cbranch_execz .LBB70_81
.LBB70_88:
	v_dual_mov_b32 v0, 0 :: v_dual_mov_b32 v1, 1
	s_add_u32 s0, s6, s8
	s_addc_u32 s1, s7, s9
	s_waitcnt_vscnt null, 0x0
	global_store_b32 v0, v1, s[0:1]
	s_nop 0
	s_sendmsg sendmsg(MSG_DEALLOC_VGPRS)
	s_endpgm
	.section	.rodata,"a",@progbits
	.p2align	6, 0x0
	.amdhsa_kernel _ZN9rocsparseL17bsric0_2_8_kernelILi64ELi64ELi8E21rocsparse_complex_numIdEEEv20rocsparse_direction_iiPKiS5_PT2_S5_PiS5_S8_21rocsparse_index_base_
		.amdhsa_group_segment_fixed_size 5376
		.amdhsa_private_segment_fixed_size 0
		.amdhsa_kernarg_size 76
		.amdhsa_user_sgpr_count 15
		.amdhsa_user_sgpr_dispatch_ptr 0
		.amdhsa_user_sgpr_queue_ptr 0
		.amdhsa_user_sgpr_kernarg_segment_ptr 1
		.amdhsa_user_sgpr_dispatch_id 0
		.amdhsa_user_sgpr_private_segment_size 0
		.amdhsa_wavefront_size32 1
		.amdhsa_uses_dynamic_stack 0
		.amdhsa_enable_private_segment 0
		.amdhsa_system_sgpr_workgroup_id_x 1
		.amdhsa_system_sgpr_workgroup_id_y 0
		.amdhsa_system_sgpr_workgroup_id_z 0
		.amdhsa_system_sgpr_workgroup_info 0
		.amdhsa_system_vgpr_workitem_id 1
		.amdhsa_next_free_vgpr 36
		.amdhsa_next_free_sgpr 43
		.amdhsa_reserve_vcc 1
		.amdhsa_float_round_mode_32 0
		.amdhsa_float_round_mode_16_64 0
		.amdhsa_float_denorm_mode_32 3
		.amdhsa_float_denorm_mode_16_64 3
		.amdhsa_dx10_clamp 1
		.amdhsa_ieee_mode 1
		.amdhsa_fp16_overflow 0
		.amdhsa_workgroup_processor_mode 1
		.amdhsa_memory_ordered 1
		.amdhsa_forward_progress 0
		.amdhsa_shared_vgpr_count 0
		.amdhsa_exception_fp_ieee_invalid_op 0
		.amdhsa_exception_fp_denorm_src 0
		.amdhsa_exception_fp_ieee_div_zero 0
		.amdhsa_exception_fp_ieee_overflow 0
		.amdhsa_exception_fp_ieee_underflow 0
		.amdhsa_exception_fp_ieee_inexact 0
		.amdhsa_exception_int_div_zero 0
	.end_amdhsa_kernel
	.section	.text._ZN9rocsparseL17bsric0_2_8_kernelILi64ELi64ELi8E21rocsparse_complex_numIdEEEv20rocsparse_direction_iiPKiS5_PT2_S5_PiS5_S8_21rocsparse_index_base_,"axG",@progbits,_ZN9rocsparseL17bsric0_2_8_kernelILi64ELi64ELi8E21rocsparse_complex_numIdEEEv20rocsparse_direction_iiPKiS5_PT2_S5_PiS5_S8_21rocsparse_index_base_,comdat
.Lfunc_end70:
	.size	_ZN9rocsparseL17bsric0_2_8_kernelILi64ELi64ELi8E21rocsparse_complex_numIdEEEv20rocsparse_direction_iiPKiS5_PT2_S5_PiS5_S8_21rocsparse_index_base_, .Lfunc_end70-_ZN9rocsparseL17bsric0_2_8_kernelILi64ELi64ELi8E21rocsparse_complex_numIdEEEv20rocsparse_direction_iiPKiS5_PT2_S5_PiS5_S8_21rocsparse_index_base_
                                        ; -- End function
	.section	.AMDGPU.csdata,"",@progbits
; Kernel info:
; codeLenInByte = 4632
; NumSgprs: 45
; NumVgprs: 36
; ScratchSize: 0
; MemoryBound: 1
; FloatMode: 240
; IeeeMode: 1
; LDSByteSize: 5376 bytes/workgroup (compile time only)
; SGPRBlocks: 5
; VGPRBlocks: 4
; NumSGPRsForWavesPerEU: 45
; NumVGPRsForWavesPerEU: 36
; Occupancy: 12
; WaveLimiterHint : 1
; COMPUTE_PGM_RSRC2:SCRATCH_EN: 0
; COMPUTE_PGM_RSRC2:USER_SGPR: 15
; COMPUTE_PGM_RSRC2:TRAP_HANDLER: 0
; COMPUTE_PGM_RSRC2:TGID_X_EN: 1
; COMPUTE_PGM_RSRC2:TGID_Y_EN: 0
; COMPUTE_PGM_RSRC2:TGID_Z_EN: 0
; COMPUTE_PGM_RSRC2:TIDIG_COMP_CNT: 1
	.section	.text._ZN9rocsparseL18bsric0_9_16_kernelILi64ELi64ELi16E21rocsparse_complex_numIdEEEv20rocsparse_direction_iiPKiS5_PT2_S5_PiS5_S8_21rocsparse_index_base_,"axG",@progbits,_ZN9rocsparseL18bsric0_9_16_kernelILi64ELi64ELi16E21rocsparse_complex_numIdEEEv20rocsparse_direction_iiPKiS5_PT2_S5_PiS5_S8_21rocsparse_index_base_,comdat
	.globl	_ZN9rocsparseL18bsric0_9_16_kernelILi64ELi64ELi16E21rocsparse_complex_numIdEEEv20rocsparse_direction_iiPKiS5_PT2_S5_PiS5_S8_21rocsparse_index_base_ ; -- Begin function _ZN9rocsparseL18bsric0_9_16_kernelILi64ELi64ELi16E21rocsparse_complex_numIdEEEv20rocsparse_direction_iiPKiS5_PT2_S5_PiS5_S8_21rocsparse_index_base_
	.p2align	8
	.type	_ZN9rocsparseL18bsric0_9_16_kernelILi64ELi64ELi16E21rocsparse_complex_numIdEEEv20rocsparse_direction_iiPKiS5_PT2_S5_PiS5_S8_21rocsparse_index_base_,@function
_ZN9rocsparseL18bsric0_9_16_kernelILi64ELi64ELi16E21rocsparse_complex_numIdEEEv20rocsparse_direction_iiPKiS5_PT2_S5_PiS5_S8_21rocsparse_index_base_: ; @_ZN9rocsparseL18bsric0_9_16_kernelILi64ELi64ELi16E21rocsparse_complex_numIdEEEv20rocsparse_direction_iiPKiS5_PT2_S5_PiS5_S8_21rocsparse_index_base_
; %bb.0:
	s_load_b256 s[4:11], s[0:1], 0x28
	s_mov_b32 s2, s15
	s_mov_b32 s3, 0
	v_and_b32_e32 v18, 0x3ff, v0
	s_lshl_b64 s[12:13], s[2:3], 2
	v_bfe_u32 v9, v0, 10, 10
	s_waitcnt lgkmcnt(0)
	s_add_u32 s8, s8, s12
	s_addc_u32 s9, s9, s13
	s_load_b32 s16, s[8:9], 0x0
	s_waitcnt lgkmcnt(0)
	s_ashr_i32 s17, s16, 31
	s_delay_alu instid0(SALU_CYCLE_1) | instskip(NEXT) | instid1(SALU_CYCLE_1)
	s_lshl_b64 s[8:9], s[16:17], 2
	s_add_u32 s12, s4, s8
	s_addc_u32 s13, s5, s9
	s_load_b32 s28, s[12:13], 0x0
	s_load_b32 s17, s[0:1], 0x48
	s_waitcnt lgkmcnt(0)
	s_cmp_lg_u32 s28, -1
	s_cbranch_scc0 .LBB71_137
; %bb.1:
	s_clause 0x1
	s_load_b128 s[12:15], s[0:1], 0x10
	s_load_b64 s[18:19], s[0:1], 0x20
	v_lshlrev_b32_e32 v0, 2, v9
	v_lshlrev_b32_e32 v21, 4, v9
	s_waitcnt lgkmcnt(0)
	s_add_u32 s2, s12, s8
	s_addc_u32 s3, s13, s9
	s_load_b32 s2, s[2:3], 0x0
	s_waitcnt lgkmcnt(0)
	s_sub_i32 s31, s2, s17
	s_mov_b32 s2, exec_lo
	v_add3_u32 v0, v0, v18, s31
	s_delay_alu instid0(VALU_DEP_1)
	v_cmpx_ge_i32_e64 s28, v0
	s_cbranch_execz .LBB71_4
; %bb.2:
	v_lshlrev_b32_e32 v1, 2, v18
	s_mov_b32 s3, 0
	s_delay_alu instid0(VALU_DEP_1)
	v_add3_u32 v2, v21, v1, 0x4600
	.p2align	6
.LBB71_3:                               ; =>This Inner Loop Header: Depth=1
	v_ashrrev_i32_e32 v1, 31, v0
	s_delay_alu instid0(VALU_DEP_1) | instskip(SKIP_1) | instid1(VALU_DEP_2)
	v_lshlrev_b64 v[3:4], 2, v[0:1]
	v_add_nc_u32_e32 v0, 64, v0
	v_add_co_u32 v3, vcc_lo, s14, v3
	s_delay_alu instid0(VALU_DEP_3) | instskip(NEXT) | instid1(VALU_DEP_3)
	v_add_co_ci_u32_e32 v4, vcc_lo, s15, v4, vcc_lo
	v_cmp_lt_i32_e32 vcc_lo, s28, v0
	global_load_b32 v1, v[3:4], off
	s_or_b32 s3, vcc_lo, s3
	s_waitcnt vmcnt(0)
	v_subrev_nc_u32_e32 v1, s17, v1
	ds_store_b32 v2, v1
	v_add_nc_u32_e32 v2, 0x100, v2
	s_and_not1_b32 exec_lo, exec_lo, s3
	s_cbranch_execnz .LBB71_3
.LBB71_4:
	s_or_b32 exec_lo, exec_lo, s2
	v_mul_u32_u24_e32 v19, 0x110, v9
	v_lshlrev_b32_e32 v20, 4, v18
	s_mov_b32 s2, exec_lo
	v_cmpx_gt_u32_e32 16, v18
	s_cbranch_execz .LBB71_7
; %bb.5:
	v_mov_b32_e32 v0, 0
	v_add_nc_u32_e32 v4, -4, v18
	v_add3_u32 v5, v19, v20, 0x3300
	s_mov_b32 s3, 0
	s_delay_alu instid0(VALU_DEP_3)
	v_mov_b32_e32 v1, v0
	v_mov_b32_e32 v2, v0
	;; [unrolled: 1-line block ×3, first 2 shown]
.LBB71_6:                               ; =>This Inner Loop Header: Depth=1
	v_add_nc_u32_e32 v4, 4, v4
	ds_store_b128 v5, v[0:3]
	v_add_nc_u32_e32 v5, 64, v5
	v_cmp_lt_u32_e32 vcc_lo, 11, v4
	s_or_b32 s3, vcc_lo, s3
	s_delay_alu instid0(SALU_CYCLE_1)
	s_and_not1_b32 exec_lo, exec_lo, s3
	s_cbranch_execnz .LBB71_6
.LBB71_7:
	s_or_b32 exec_lo, exec_lo, s2
	s_clause 0x1
	s_load_b32 s29, s[0:1], 0x8
	s_load_b32 s30, s[0:1], 0x0
	s_cmp_ge_i32 s31, s28
	s_waitcnt lgkmcnt(0)
	buffer_gl0_inv
	v_cmp_gt_i32_e64 s0, s29, v18
	s_cbranch_scc1 .LBB71_92
; %bb.8:
	v_mad_u64_u32 v[0:1], null, s29, s31, v[9:10]
	v_or_b32_e32 v1, v18, v9
	v_mad_u32_u24 v22, 0x110, v9, v20
	v_mul_lo_u32 v23, v9, s29
	v_mul_lo_u32 v25, v18, s29
	s_movk_i32 s3, 0x2200
	s_cmp_lg_u32 s30, 0
	v_mul_lo_u32 v27, s29, v0
	v_cmp_gt_i32_e64 s1, s29, v9
	v_cmp_ne_u32_e64 s2, 0, v1
	v_add_nc_u32_e32 v24, 0x1100, v22
	v_mad_u32_u24 v26, 0x110, v9, s3
	v_mad_u32_u24 v28, 0x110, v18, s3
	v_dual_mov_b32 v0, 0 :: v_dual_add_nc_u32 v29, 0x3300, v22
	v_add_nc_u32_e32 v30, 0x2200, v22
	s_cselect_b32 s33, -1, 0
	s_cmp_gt_i32 s29, 0
	s_mul_i32 s35, s29, s29
	s_cselect_b32 s34, -1, 0
	s_lshl_b32 s36, s29, 2
	s_mov_b32 s20, s31
	s_branch .LBB71_10
.LBB71_9:                               ;   in Loop: Header=BB71_10 Depth=1
	s_set_inst_prefetch_distance 0x2
	s_or_b32 exec_lo, exec_lo, s3
	s_add_i32 s20, s20, 1
	v_add_nc_u32_e32 v27, s35, v27
	s_cmp_ge_i32 s20, s28
	s_waitcnt_vscnt null, 0x0
	buffer_gl1_inv
	buffer_gl0_inv
	s_cselect_b32 s3, -1, 0
	s_delay_alu instid0(SALU_CYCLE_1)
	s_and_b32 vcc_lo, exec_lo, s3
	s_cbranch_vccnz .LBB71_92
.LBB71_10:                              ; =>This Loop Header: Depth=1
                                        ;     Child Loop BB71_14 Depth 2
                                        ;     Child Loop BB71_27 Depth 2
	;; [unrolled: 1-line block ×5, first 2 shown]
                                        ;       Child Loop BB71_59 Depth 3
                                        ;     Child Loop BB71_72 Depth 2
                                        ;       Child Loop BB71_78 Depth 3
                                        ;       Child Loop BB71_81 Depth 3
                                        ;     Child Loop BB71_86 Depth 2
	s_ashr_i32 s21, s20, 31
	s_delay_alu instid0(SALU_CYCLE_1) | instskip(NEXT) | instid1(SALU_CYCLE_1)
	s_lshl_b64 s[22:23], s[20:21], 2
	s_add_u32 s22, s14, s22
	s_addc_u32 s23, s15, s23
	s_load_b32 s37, s[22:23], 0x0
	s_waitcnt lgkmcnt(0)
	s_sub_i32 s24, s37, s17
	s_delay_alu instid0(SALU_CYCLE_1) | instskip(NEXT) | instid1(SALU_CYCLE_1)
	s_ashr_i32 s25, s24, 31
	s_lshl_b64 s[22:23], s[24:25], 2
	s_delay_alu instid0(SALU_CYCLE_1)
	s_add_u32 s26, s4, s22
	s_addc_u32 s27, s5, s23
	s_load_b32 s3, s[26:27], 0x0
	s_waitcnt lgkmcnt(0)
	s_cmp_eq_u32 s3, -1
	s_cbranch_scc1 .LBB71_91
; %bb.11:                               ;   in Loop: Header=BB71_10 Depth=1
	s_add_u32 s26, s12, s22
	s_addc_u32 s27, s13, s23
	s_mul_i32 s21, s20, s29
	s_load_b32 s25, s[26:27], 0x0
	s_and_saveexec_b32 s38, s0
	s_cbranch_execz .LBB71_24
; %bb.12:                               ;   in Loop: Header=BB71_10 Depth=1
	v_mov_b32_e32 v8, v24
	v_mov_b32_e32 v10, v18
	s_mov_b32 s39, 0
	s_branch .LBB71_14
.LBB71_13:                              ;   in Loop: Header=BB71_14 Depth=2
	s_or_b32 exec_lo, exec_lo, s26
	v_dual_mov_b32 v1, v0 :: v_dual_add_nc_u32 v10, 4, v10
	v_mov_b32_e32 v2, v0
	v_mov_b32_e32 v3, v0
	s_waitcnt vmcnt(0)
	ds_store_b128 v8, v[4:7] offset:4352
	ds_store_b128 v8, v[0:3]
	v_add_nc_u32_e32 v8, 64, v8
	v_cmp_le_i32_e32 vcc_lo, s29, v10
	s_or_b32 s39, vcc_lo, s39
	s_delay_alu instid0(SALU_CYCLE_1)
	s_and_not1_b32 exec_lo, exec_lo, s39
	s_cbranch_execz .LBB71_24
.LBB71_14:                              ;   Parent Loop BB71_10 Depth=1
                                        ; =>  This Inner Loop Header: Depth=2
	s_and_b32 vcc_lo, exec_lo, s33
	s_cbranch_vccz .LBB71_18
; %bb.15:                               ;   in Loop: Header=BB71_14 Depth=2
	s_mov_b32 s41, 0
	s_mov_b32 s40, 0
                                        ; implicit-def: $vgpr1
	s_and_saveexec_b32 s26, s1
	s_delay_alu instid0(SALU_CYCLE_1)
	s_xor_b32 s26, exec_lo, s26
; %bb.16:                               ;   in Loop: Header=BB71_14 Depth=2
	v_add_nc_u32_e32 v3, s21, v10
	s_mov_b32 s40, exec_lo
	s_delay_alu instid0(VALU_DEP_1)
	v_mad_u64_u32 v[1:2], null, v3, s29, v[9:10]
; %bb.17:                               ;   in Loop: Header=BB71_14 Depth=2
	s_or_b32 exec_lo, exec_lo, s26
	s_mov_b64 s[26:27], 0
	s_and_b32 vcc_lo, exec_lo, s41
	s_cbranch_vccnz .LBB71_19
	s_branch .LBB71_22
.LBB71_18:                              ;   in Loop: Header=BB71_14 Depth=2
	s_mov_b32 s40, 0
                                        ; implicit-def: $vgpr1
                                        ; implicit-def: $sgpr26_sgpr27
	s_cbranch_execz .LBB71_22
.LBB71_19:                              ;   in Loop: Header=BB71_14 Depth=2
                                        ; implicit-def: $vgpr1
	s_and_saveexec_b32 s26, s1
; %bb.20:                               ;   in Loop: Header=BB71_14 Depth=2
	v_add_nc_u32_e32 v1, v27, v10
	s_or_b32 s40, s40, exec_lo
; %bb.21:                               ;   in Loop: Header=BB71_14 Depth=2
	s_or_b32 exec_lo, exec_lo, s26
	s_mov_b64 s[26:27], 0
.LBB71_22:                              ;   in Loop: Header=BB71_14 Depth=2
	s_delay_alu instid0(SALU_CYCLE_1)
	v_dual_mov_b32 v4, s26 :: v_dual_mov_b32 v5, s27
	v_dual_mov_b32 v6, s26 :: v_dual_mov_b32 v7, s27
	s_and_saveexec_b32 s26, s40
	s_cbranch_execz .LBB71_13
; %bb.23:                               ;   in Loop: Header=BB71_14 Depth=2
	v_ashrrev_i32_e32 v2, 31, v1
	s_delay_alu instid0(VALU_DEP_1) | instskip(NEXT) | instid1(VALU_DEP_1)
	v_lshlrev_b64 v[1:2], 4, v[1:2]
	v_add_co_u32 v1, vcc_lo, s18, v1
	s_delay_alu instid0(VALU_DEP_2)
	v_add_co_ci_u32_e32 v2, vcc_lo, s19, v2, vcc_lo
	global_load_b128 v[4:7], v[1:2], off
	s_branch .LBB71_13
.LBB71_24:                              ;   in Loop: Header=BB71_10 Depth=1
	s_or_b32 exec_lo, exec_lo, s38
; %bb.25:                               ;   in Loop: Header=BB71_10 Depth=1
	ds_load_b32 v1, v0 offset:17920
	s_waitcnt lgkmcnt(0)
	s_sub_i32 s26, s25, s17
	s_delay_alu instid0(SALU_CYCLE_1) | instskip(SKIP_3) | instid1(SALU_CYCLE_1)
	s_cmp_le_i32 s26, s3
	s_cselect_b32 s25, -1, 0
	v_cmp_ge_i32_e32 vcc_lo, s24, v1
	s_and_b32 s25, s25, vcc_lo
	s_and_not1_b32 vcc_lo, exec_lo, s25
	s_mov_b32 s25, 0
	s_cbranch_vccnz .LBB71_37
; %bb.26:                               ;   in Loop: Header=BB71_10 Depth=1
	s_mov_b32 s38, 0
	s_mov_b32 s39, 0
.LBB71_27:                              ;   Parent Loop BB71_10 Depth=1
                                        ; =>  This Inner Loop Header: Depth=2
	s_ashr_i32 s27, s26, 31
	s_mov_b32 s42, -1
	s_lshl_b64 s[40:41], s[26:27], 2
	s_delay_alu instid0(SALU_CYCLE_1) | instskip(SKIP_2) | instid1(SALU_CYCLE_1)
	s_add_u32 s40, s14, s40
	s_addc_u32 s41, s15, s41
	s_lshl_b32 s25, s39, 2
	v_mov_b32_e32 v1, s25
	s_load_b32 s25, s[40:41], 0x0
                                        ; implicit-def: $sgpr41
                                        ; implicit-def: $sgpr40
	ds_load_b32 v1, v1 offset:17920
	s_waitcnt lgkmcnt(0)
	s_sub_i32 s43, s25, s17
                                        ; implicit-def: $sgpr25
	s_delay_alu instid0(SALU_CYCLE_1)
	v_cmp_ge_i32_e32 vcc_lo, s43, v1
	v_readfirstlane_b32 s27, v1
	s_cbranch_vccz .LBB71_33
; %bb.28:                               ;   in Loop: Header=BB71_27 Depth=2
	s_delay_alu instid0(VALU_DEP_1)
	s_cmp_le_i32 s43, s27
                                        ; implicit-def: $sgpr25
                                        ; implicit-def: $sgpr41
                                        ; implicit-def: $sgpr40
	s_cbranch_scc0 .LBB71_30
; %bb.29:                               ;   in Loop: Header=BB71_27 Depth=2
	s_add_i32 s25, s39, s31
	s_lshl_b32 s40, s38, 2
	s_mul_i32 s25, s25, s35
	s_delay_alu instid0(SALU_CYCLE_1)
	v_dual_mov_b32 v1, s40 :: v_dual_mov_b32 v2, s25
	s_mul_i32 s40, s26, s35
	s_add_i32 s41, s26, 1
	v_mov_b32_e32 v3, s40
	s_add_i32 s40, s39, 1
	s_add_i32 s25, s38, 1
	s_mov_b32 s42, 0
	ds_store_2addr_stride64_b32 v1, v3, v2 offset0:68 offset1:69
.LBB71_30:                              ;   in Loop: Header=BB71_27 Depth=2
	s_and_not1_b32 vcc_lo, exec_lo, s42
	s_cbranch_vccnz .LBB71_32
; %bb.31:                               ;   in Loop: Header=BB71_27 Depth=2
	s_add_i32 s40, s39, 1
	s_mov_b32 s25, s38
	s_mov_b32 s41, s26
.LBB71_32:                              ;   in Loop: Header=BB71_27 Depth=2
	s_mov_b32 s42, 0
.LBB71_33:                              ;   in Loop: Header=BB71_27 Depth=2
	s_delay_alu instid0(SALU_CYCLE_1)
	s_and_not1_b32 vcc_lo, exec_lo, s42
	s_cbranch_vccnz .LBB71_35
; %bb.34:                               ;   in Loop: Header=BB71_27 Depth=2
	s_add_i32 s41, s26, 1
	s_mov_b32 s40, s39
	s_mov_b32 s25, s38
.LBB71_35:                              ;   in Loop: Header=BB71_27 Depth=2
	s_cmp_le_i32 s41, s3
	s_cselect_b32 s26, -1, 0
	s_cmp_le_i32 s27, s24
	s_cselect_b32 s27, -1, 0
	s_delay_alu instid0(SALU_CYCLE_1) | instskip(NEXT) | instid1(SALU_CYCLE_1)
	s_and_b32 s26, s26, s27
	s_and_b32 vcc_lo, exec_lo, s26
	s_cbranch_vccz .LBB71_37
; %bb.36:                               ;   in Loop: Header=BB71_27 Depth=2
	s_mov_b32 s38, s25
	s_mov_b32 s26, s41
	s_mov_b32 s39, s40
	s_branch .LBB71_27
.LBB71_37:                              ;   in Loop: Header=BB71_10 Depth=1
	s_add_u32 s22, s6, s22
	s_addc_u32 s23, s7, s23
	s_waitcnt lgkmcnt(0)
	buffer_gl0_inv
.LBB71_38:                              ;   Parent Loop BB71_10 Depth=1
                                        ; =>  This Inner Loop Header: Depth=2
	global_load_b32 v1, v0, s[22:23] glc
	s_waitcnt vmcnt(0)
	v_cmp_eq_u32_e32 vcc_lo, 0, v1
	s_cbranch_vccnz .LBB71_38
; %bb.39:                               ;   in Loop: Header=BB71_10 Depth=1
	buffer_gl1_inv
	buffer_gl0_inv
	s_and_saveexec_b32 s24, s0
	s_cbranch_execz .LBB71_52
; %bb.40:                               ;   in Loop: Header=BB71_10 Depth=1
	s_mul_i32 s3, s3, s29
	s_delay_alu instid0(SALU_CYCLE_1) | instskip(SKIP_2) | instid1(VALU_DEP_2)
	v_dual_mov_b32 v10, v18 :: v_dual_add_nc_u32 v1, s3, v9
	v_mov_b32_e32 v8, v22
	s_mov_b32 s26, 0
	v_mul_lo_u32 v7, v1, s29
	s_branch .LBB71_42
.LBB71_41:                              ;   in Loop: Header=BB71_42 Depth=2
	s_or_b32 exec_lo, exec_lo, s22
	v_add_nc_u32_e32 v10, 4, v10
	s_waitcnt vmcnt(0)
	ds_store_b128 v8, v[1:4]
	v_add_nc_u32_e32 v8, 64, v8
	v_cmp_le_i32_e32 vcc_lo, s29, v10
	s_or_b32 s26, vcc_lo, s26
	s_delay_alu instid0(SALU_CYCLE_1)
	s_and_not1_b32 exec_lo, exec_lo, s26
	s_cbranch_execz .LBB71_52
.LBB71_42:                              ;   Parent Loop BB71_10 Depth=1
                                        ; =>  This Inner Loop Header: Depth=2
	s_and_b32 vcc_lo, exec_lo, s33
	s_cbranch_vccz .LBB71_46
; %bb.43:                               ;   in Loop: Header=BB71_42 Depth=2
	s_mov_b32 s38, 0
	s_mov_b32 s27, 0
                                        ; implicit-def: $vgpr5
	s_and_saveexec_b32 s22, s1
	s_delay_alu instid0(SALU_CYCLE_1)
	s_xor_b32 s22, exec_lo, s22
; %bb.44:                               ;   in Loop: Header=BB71_42 Depth=2
	v_add_nc_u32_e32 v1, s3, v10
	s_mov_b32 s27, exec_lo
	s_delay_alu instid0(VALU_DEP_1)
	v_mad_u64_u32 v[5:6], null, v1, s29, v[9:10]
; %bb.45:                               ;   in Loop: Header=BB71_42 Depth=2
	s_or_b32 exec_lo, exec_lo, s22
	s_mov_b64 s[22:23], 0
	s_and_b32 vcc_lo, exec_lo, s38
	s_cbranch_vccnz .LBB71_47
	s_branch .LBB71_50
.LBB71_46:                              ;   in Loop: Header=BB71_42 Depth=2
	s_mov_b32 s27, 0
                                        ; implicit-def: $vgpr5
                                        ; implicit-def: $sgpr22_sgpr23
	s_cbranch_execz .LBB71_50
.LBB71_47:                              ;   in Loop: Header=BB71_42 Depth=2
                                        ; implicit-def: $vgpr5
	s_and_saveexec_b32 s22, s1
; %bb.48:                               ;   in Loop: Header=BB71_42 Depth=2
	s_delay_alu instid0(VALU_DEP_1)
	v_add_nc_u32_e32 v5, v7, v10
	s_or_b32 s27, s27, exec_lo
; %bb.49:                               ;   in Loop: Header=BB71_42 Depth=2
	s_or_b32 exec_lo, exec_lo, s22
	s_mov_b64 s[22:23], 0
.LBB71_50:                              ;   in Loop: Header=BB71_42 Depth=2
	s_delay_alu instid0(SALU_CYCLE_1)
	v_dual_mov_b32 v1, s22 :: v_dual_mov_b32 v2, s23
	v_dual_mov_b32 v3, s22 :: v_dual_mov_b32 v4, s23
	s_and_saveexec_b32 s22, s27
	s_cbranch_execz .LBB71_41
; %bb.51:                               ;   in Loop: Header=BB71_42 Depth=2
	v_ashrrev_i32_e32 v6, 31, v5
	s_delay_alu instid0(VALU_DEP_1) | instskip(NEXT) | instid1(VALU_DEP_1)
	v_lshlrev_b64 v[1:2], 4, v[5:6]
	v_add_co_u32 v1, vcc_lo, s18, v1
	s_delay_alu instid0(VALU_DEP_2)
	v_add_co_ci_u32_e32 v2, vcc_lo, s19, v2, vcc_lo
	global_load_b128 v[1:4], v[1:2], off
	s_branch .LBB71_41
.LBB71_52:                              ;   in Loop: Header=BB71_10 Depth=1
	s_or_b32 exec_lo, exec_lo, s24
; %bb.53:                               ;   in Loop: Header=BB71_10 Depth=1
	s_cmp_lt_i32 s25, 2
	s_cbranch_scc1 .LBB71_69
; %bb.54:                               ;   in Loop: Header=BB71_10 Depth=1
	s_add_i32 s3, s25, -2
	s_mov_b32 s22, 0
	s_branch .LBB71_56
.LBB71_55:                              ;   in Loop: Header=BB71_56 Depth=2
	s_or_b32 exec_lo, exec_lo, s23
	s_add_i32 s23, s22, 1
	s_cmp_eq_u32 s22, s3
	s_mov_b32 s22, s23
	s_cbranch_scc1 .LBB71_69
.LBB71_56:                              ;   Parent Loop BB71_10 Depth=1
                                        ; =>  This Loop Header: Depth=2
                                        ;       Child Loop BB71_59 Depth 3
	s_and_saveexec_b32 s23, s0
	s_cbranch_execz .LBB71_55
; %bb.57:                               ;   in Loop: Header=BB71_56 Depth=2
	s_lshl_b32 s24, s22, 2
	v_mov_b32_e32 v35, v18
	v_mov_b32_e32 v1, s24
	s_mov_b32 s24, 0
	ds_load_2addr_stride64_b32 v[1:2], v1 offset0:68 offset1:69
	s_waitcnt lgkmcnt(0)
	v_add_nc_u32_e32 v32, v9, v2
	v_add_nc_u32_e32 v31, v2, v23
	;; [unrolled: 1-line block ×4, first 2 shown]
	s_branch .LBB71_59
.LBB71_58:                              ;   in Loop: Header=BB71_59 Depth=3
	v_lshlrev_b32_e32 v5, 4, v35
	v_add_nc_u32_e32 v35, 4, v35
	v_add_nc_u32_e32 v33, 4, v33
	v_add_nc_u32_e32 v34, s36, v34
	s_delay_alu instid0(VALU_DEP_4) | instskip(NEXT) | instid1(VALU_DEP_4)
	v_mad_u32_u24 v10, 0x110, v9, v5
	v_cmp_le_i32_e32 vcc_lo, s29, v35
	ds_load_b128 v[5:8], v10 offset:4352
	s_or_b32 s24, vcc_lo, s24
	s_waitcnt lgkmcnt(0)
	v_add_f64 v[3:4], v[3:4], v[5:6]
	v_add_f64 v[5:6], v[1:2], v[7:8]
	ds_store_b128 v10, v[3:6] offset:4352
	s_and_not1_b32 exec_lo, exec_lo, s24
	s_cbranch_execz .LBB71_55
.LBB71_59:                              ;   Parent Loop BB71_10 Depth=1
                                        ;     Parent Loop BB71_56 Depth=2
                                        ; =>    This Inner Loop Header: Depth=3
	v_mov_b32_e32 v14, 0
	s_delay_alu instid0(VALU_DEP_3) | instskip(SKIP_2) | instid1(VALU_DEP_2)
	v_dual_mov_b32 v15, 0 :: v_dual_mov_b32 v10, v33
	v_mov_b32_e32 v12, v32
	s_mov_b32 s25, 0
	v_dual_mov_b32 v17, v15 :: v_dual_mov_b32 v16, v14
	s_and_b32 vcc_lo, exec_lo, s33
	s_cbranch_vccz .LBB71_63
.LBB71_60:                              ;   in Loop: Header=BB71_59 Depth=3
	v_ashrrev_i32_e32 v11, 31, v10
	v_mov_b32_e32 v5, 0
	v_mov_b32_e32 v6, 0
	s_delay_alu instid0(VALU_DEP_3) | instskip(NEXT) | instid1(VALU_DEP_2)
	v_lshlrev_b64 v[1:2], 4, v[10:11]
	v_dual_mov_b32 v8, v6 :: v_dual_mov_b32 v7, v5
	s_delay_alu instid0(VALU_DEP_2) | instskip(NEXT) | instid1(VALU_DEP_3)
	v_add_co_u32 v1, vcc_lo, s18, v1
	v_add_co_ci_u32_e32 v2, vcc_lo, s19, v2, vcc_lo
	global_load_b128 v[1:4], v[1:2], off
	s_and_saveexec_b32 s26, s1
	s_cbranch_execz .LBB71_62
; %bb.61:                               ;   in Loop: Header=BB71_59 Depth=3
	v_ashrrev_i32_e32 v13, 31, v12
	s_delay_alu instid0(VALU_DEP_1) | instskip(NEXT) | instid1(VALU_DEP_1)
	v_lshlrev_b64 v[5:6], 4, v[12:13]
	v_add_co_u32 v5, vcc_lo, s18, v5
	s_delay_alu instid0(VALU_DEP_2)
	v_add_co_ci_u32_e32 v6, vcc_lo, s19, v6, vcc_lo
	global_load_b128 v[5:8], v[5:6], off
.LBB71_62:                              ;   in Loop: Header=BB71_59 Depth=3
	s_or_b32 exec_lo, exec_lo, s26
	s_waitcnt vmcnt(0)
	v_fma_f64 v[36:37], v[1:2], v[5:6], v[16:17]
	v_fma_f64 v[5:6], v[3:4], v[5:6], v[14:15]
	s_delay_alu instid0(VALU_DEP_2) | instskip(NEXT) | instid1(VALU_DEP_2)
	v_fma_f64 v[3:4], v[3:4], v[7:8], v[36:37]
	v_fma_f64 v[1:2], v[1:2], -v[7:8], v[5:6]
	s_branch .LBB71_67
.LBB71_63:                              ;   in Loop: Header=BB71_59 Depth=3
                                        ; implicit-def: $vgpr1_vgpr2
                                        ; implicit-def: $vgpr3_vgpr4
	s_cbranch_execz .LBB71_67
; %bb.64:                               ;   in Loop: Header=BB71_59 Depth=3
	v_add_nc_u32_e32 v1, s25, v34
	v_mov_b32_e32 v5, 0
	v_mov_b32_e32 v6, 0
	s_delay_alu instid0(VALU_DEP_3) | instskip(NEXT) | instid1(VALU_DEP_2)
	v_ashrrev_i32_e32 v2, 31, v1
	v_dual_mov_b32 v8, v6 :: v_dual_mov_b32 v7, v5
	s_delay_alu instid0(VALU_DEP_2) | instskip(NEXT) | instid1(VALU_DEP_1)
	v_lshlrev_b64 v[1:2], 4, v[1:2]
	v_add_co_u32 v1, vcc_lo, s18, v1
	s_delay_alu instid0(VALU_DEP_2)
	v_add_co_ci_u32_e32 v2, vcc_lo, s19, v2, vcc_lo
	global_load_b128 v[1:4], v[1:2], off
	s_and_saveexec_b32 s26, s1
	s_cbranch_execz .LBB71_66
; %bb.65:                               ;   in Loop: Header=BB71_59 Depth=3
	v_add_nc_u32_e32 v5, s25, v31
	s_delay_alu instid0(VALU_DEP_1) | instskip(NEXT) | instid1(VALU_DEP_1)
	v_ashrrev_i32_e32 v6, 31, v5
	v_lshlrev_b64 v[5:6], 4, v[5:6]
	s_delay_alu instid0(VALU_DEP_1) | instskip(NEXT) | instid1(VALU_DEP_2)
	v_add_co_u32 v5, vcc_lo, s18, v5
	v_add_co_ci_u32_e32 v6, vcc_lo, s19, v6, vcc_lo
	global_load_b128 v[5:8], v[5:6], off
.LBB71_66:                              ;   in Loop: Header=BB71_59 Depth=3
	s_or_b32 exec_lo, exec_lo, s26
	s_waitcnt vmcnt(0)
	v_fma_f64 v[16:17], v[1:2], v[5:6], v[16:17]
	v_fma_f64 v[5:6], v[3:4], v[5:6], v[14:15]
	s_delay_alu instid0(VALU_DEP_2) | instskip(NEXT) | instid1(VALU_DEP_2)
	v_fma_f64 v[3:4], v[3:4], v[7:8], v[16:17]
	v_fma_f64 v[1:2], v[1:2], -v[7:8], v[5:6]
.LBB71_67:                              ;   in Loop: Header=BB71_59 Depth=3
	v_add_nc_u32_e32 v12, s29, v12
	v_add_nc_u32_e32 v10, s29, v10
	s_add_i32 s25, s25, 1
	s_delay_alu instid0(SALU_CYCLE_1)
	s_cmp_eq_u32 s29, s25
	s_cbranch_scc1 .LBB71_58
; %bb.68:                               ;   in Loop: Header=BB71_59 Depth=3
	s_delay_alu instid0(VALU_DEP_3)
	v_dual_mov_b32 v15, v2 :: v_dual_mov_b32 v14, v1
	v_dual_mov_b32 v17, v4 :: v_dual_mov_b32 v16, v3
	s_and_b32 vcc_lo, exec_lo, s33
	s_cbranch_vccnz .LBB71_60
	s_branch .LBB71_63
.LBB71_69:                              ;   in Loop: Header=BB71_10 Depth=1
	s_and_not1_b32 vcc_lo, exec_lo, s34
	s_waitcnt lgkmcnt(0)
	buffer_gl0_inv
	s_cbranch_vccnz .LBB71_82
; %bb.70:                               ;   in Loop: Header=BB71_10 Depth=1
	v_mov_b32_e32 v14, v28
	s_mov_b32 s22, 0
	s_mov_b32 s23, 0
	s_branch .LBB71_72
.LBB71_71:                              ;   in Loop: Header=BB71_72 Depth=2
	s_or_b32 exec_lo, exec_lo, s3
	v_add_nc_u32_e32 v14, 16, v14
	s_add_i32 s23, s23, 1
	s_addk_i32 s22, 0x110
	s_cmp_eq_u32 s23, s29
	s_waitcnt lgkmcnt(0)
	buffer_gl0_inv
	s_cbranch_scc1 .LBB71_82
.LBB71_72:                              ;   Parent Loop BB71_10 Depth=1
                                        ; =>  This Loop Header: Depth=2
                                        ;       Child Loop BB71_78 Depth 3
                                        ;       Child Loop BB71_81 Depth 3
	s_lshl_b32 s24, s23, 4
	s_mul_i32 s3, s23, 0x110
	v_mad_u32_u24 v15, 0x110, v9, s24
	s_add_i32 s3, s24, s3
	s_delay_alu instid0(SALU_CYCLE_1)
	v_mov_b32_e32 v1, s3
	ds_load_b128 v[5:8], v1
	ds_load_b128 v[1:4], v15 offset:8704
	s_waitcnt lgkmcnt(1)
	v_cmp_neq_f64_e32 vcc_lo, 0, v[5:6]
	v_cmp_neq_f64_e64 s3, 0, v[7:8]
	s_delay_alu instid0(VALU_DEP_1) | instskip(SKIP_4) | instid1(SALU_CYCLE_1)
	s_or_b32 vcc_lo, vcc_lo, s3
	v_cndmask_b32_e32 v10, 0, v5, vcc_lo
	v_cndmask_b32_e32 v11, 0x3ff00000, v6, vcc_lo
	v_dual_cndmask_b32 v13, 0, v8 :: v_dual_cndmask_b32 v12, 0, v7
	s_or_b32 s3, vcc_lo, s2
	s_xor_b32 s24, s3, -1
	s_delay_alu instid0(SALU_CYCLE_1)
	s_and_saveexec_b32 s3, s24
	s_cbranch_execz .LBB71_76
; %bb.73:                               ;   in Loop: Header=BB71_72 Depth=2
	v_mbcnt_lo_u32_b32 v5, exec_lo, 0
	s_mov_b32 s24, exec_lo
	s_delay_alu instid0(VALU_DEP_1)
	v_cmpx_eq_u32_e32 0, v5
	s_cbranch_execz .LBB71_75
; %bb.74:                               ;   in Loop: Header=BB71_72 Depth=2
	v_mov_b32_e32 v5, s37
	global_atomic_min_i32 v0, v5, s[10:11]
.LBB71_75:                              ;   in Loop: Header=BB71_72 Depth=2
	s_or_b32 exec_lo, exec_lo, s24
	v_mov_b32_e32 v10, 0
	v_dual_mov_b32 v11, 0x3ff00000 :: v_dual_mov_b32 v12, 0
	v_mov_b32_e32 v13, 0
.LBB71_76:                              ;   in Loop: Header=BB71_72 Depth=2
	s_or_b32 exec_lo, exec_lo, s3
	v_lshl_add_u32 v5, s23, 4, v19
	s_cmp_eq_u32 s23, 0
	ds_load_b128 v[5:8], v5 offset:4352
	s_cbranch_scc1 .LBB71_79
; %bb.77:                               ;   in Loop: Header=BB71_72 Depth=2
	v_mov_b32_e32 v16, v26
	s_mov_b32 s3, 0
	s_mov_b32 s24, s22
	.p2align	6
.LBB71_78:                              ;   Parent Loop BB71_10 Depth=1
                                        ;     Parent Loop BB71_72 Depth=2
                                        ; =>    This Inner Loop Header: Depth=3
	s_delay_alu instid0(SALU_CYCLE_1)
	v_mov_b32_e32 v17, s24
	s_add_i32 s3, s3, 1
	s_add_i32 s24, s24, 16
	s_cmp_ge_u32 s3, s23
	ds_load_b128 v[31:34], v16
	ds_load_b128 v[35:38], v17
	v_add_nc_u32_e32 v16, 16, v16
	s_waitcnt lgkmcnt(0)
	v_fma_f64 v[5:6], v[35:36], v[31:32], v[5:6]
	v_fma_f64 v[7:8], v[37:38], v[31:32], v[7:8]
	s_delay_alu instid0(VALU_DEP_2) | instskip(NEXT) | instid1(VALU_DEP_2)
	v_fma_f64 v[5:6], v[37:38], v[33:34], v[5:6]
	v_fma_f64 v[7:8], v[35:36], -v[33:34], v[7:8]
	s_cbranch_scc0 .LBB71_78
.LBB71_79:                              ;   in Loop: Header=BB71_72 Depth=2
	v_mul_f64 v[16:17], v[12:13], v[12:13]
	s_waitcnt lgkmcnt(0)
	s_delay_alu instid0(VALU_DEP_2) | instskip(NEXT) | instid1(VALU_DEP_4)
	v_add_f64 v[3:4], v[3:4], -v[7:8]
	v_add_f64 v[1:2], v[1:2], -v[5:6]
	v_add_nc_u32_e32 v15, 0x2200, v15
	s_delay_alu instid0(VALU_DEP_4) | instskip(NEXT) | instid1(VALU_DEP_4)
	v_fma_f64 v[16:17], v[10:11], v[10:11], v[16:17]
	v_mul_f64 v[5:6], v[12:13], v[3:4]
	s_delay_alu instid0(VALU_DEP_4) | instskip(NEXT) | instid1(VALU_DEP_3)
	v_mul_f64 v[12:13], v[12:13], -v[1:2]
	v_div_scale_f64 v[31:32], null, v[16:17], v[16:17], 1.0
	v_div_scale_f64 v[37:38], vcc_lo, 1.0, v[16:17], 1.0
	s_delay_alu instid0(VALU_DEP_4) | instskip(NEXT) | instid1(VALU_DEP_4)
	v_fma_f64 v[1:2], v[1:2], v[10:11], v[5:6]
	v_fma_f64 v[3:4], v[3:4], v[10:11], v[12:13]
	s_delay_alu instid0(VALU_DEP_4) | instskip(SKIP_2) | instid1(VALU_DEP_1)
	v_rcp_f64_e32 v[33:34], v[31:32]
	s_waitcnt_depctr 0xfff
	v_fma_f64 v[35:36], -v[31:32], v[33:34], 1.0
	v_fma_f64 v[33:34], v[33:34], v[35:36], v[33:34]
	s_delay_alu instid0(VALU_DEP_1) | instskip(NEXT) | instid1(VALU_DEP_1)
	v_fma_f64 v[35:36], -v[31:32], v[33:34], 1.0
	v_fma_f64 v[33:34], v[33:34], v[35:36], v[33:34]
	s_delay_alu instid0(VALU_DEP_1) | instskip(NEXT) | instid1(VALU_DEP_1)
	v_mul_f64 v[35:36], v[37:38], v[33:34]
	v_fma_f64 v[7:8], -v[31:32], v[35:36], v[37:38]
	s_delay_alu instid0(VALU_DEP_1) | instskip(NEXT) | instid1(VALU_DEP_1)
	v_div_fmas_f64 v[7:8], v[7:8], v[33:34], v[35:36]
	v_div_fixup_f64 v[5:6], v[7:8], v[16:17], 1.0
	s_delay_alu instid0(VALU_DEP_1)
	v_mul_f64 v[1:2], v[5:6], v[1:2]
	v_mul_f64 v[3:4], v[5:6], v[3:4]
	ds_store_b128 v15, v[1:4]
	s_waitcnt lgkmcnt(0)
	s_waitcnt_vscnt null, 0x0
	buffer_gl0_inv
	s_and_saveexec_b32 s3, s0
	s_cbranch_execz .LBB71_71
; %bb.80:                               ;   in Loop: Header=BB71_72 Depth=2
	v_dual_mov_b32 v5, v29 :: v_dual_mov_b32 v6, v14
	v_mov_b32_e32 v7, v18
	s_mov_b32 s24, 0
	.p2align	6
.LBB71_81:                              ;   Parent Loop BB71_10 Depth=1
                                        ;     Parent Loop BB71_72 Depth=2
                                        ; =>    This Inner Loop Header: Depth=3
	ds_load_b128 v[10:13], v6
	ds_load_b128 v[31:34], v5
	v_add_nc_u32_e32 v7, 4, v7
	v_add_nc_u32_e32 v6, 0x440, v6
	s_delay_alu instid0(VALU_DEP_2) | instskip(SKIP_4) | instid1(VALU_DEP_2)
	v_cmp_le_i32_e32 vcc_lo, s29, v7
	s_or_b32 s24, vcc_lo, s24
	s_waitcnt lgkmcnt(0)
	v_fma_f64 v[15:16], v[1:2], v[10:11], v[31:32]
	v_fma_f64 v[31:32], v[3:4], v[10:11], v[33:34]
	;; [unrolled: 1-line block ×3, first 2 shown]
	s_delay_alu instid0(VALU_DEP_2)
	v_fma_f64 v[12:13], v[1:2], -v[12:13], v[31:32]
	ds_store_b128 v5, v[10:13]
	v_add_nc_u32_e32 v5, 64, v5
	s_and_not1_b32 exec_lo, exec_lo, s24
	s_cbranch_execnz .LBB71_81
	s_branch .LBB71_71
.LBB71_82:                              ;   in Loop: Header=BB71_10 Depth=1
	s_and_saveexec_b32 s3, s0
	s_cbranch_execz .LBB71_9
; %bb.83:                               ;   in Loop: Header=BB71_10 Depth=1
	v_mov_b32_e32 v3, v30
	v_mov_b32_e32 v4, v18
	s_mov_b32 s22, 0
	s_set_inst_prefetch_distance 0x1
	s_branch .LBB71_86
	.p2align	6
.LBB71_84:                              ;   in Loop: Header=BB71_86 Depth=2
	ds_load_2addr_b64 v[5:8], v3 offset1:1
	v_ashrrev_i32_e32 v2, 31, v1
	s_delay_alu instid0(VALU_DEP_1) | instskip(NEXT) | instid1(VALU_DEP_1)
	v_lshlrev_b64 v[1:2], 4, v[1:2]
	v_add_co_u32 v1, vcc_lo, s18, v1
	s_delay_alu instid0(VALU_DEP_2)
	v_add_co_ci_u32_e32 v2, vcc_lo, s19, v2, vcc_lo
	s_waitcnt lgkmcnt(0)
	global_store_b128 v[1:2], v[5:8], off
.LBB71_85:                              ;   in Loop: Header=BB71_86 Depth=2
	s_or_b32 exec_lo, exec_lo, s23
	v_add_nc_u32_e32 v4, 4, v4
	v_add_nc_u32_e32 v3, 64, v3
	s_delay_alu instid0(VALU_DEP_2) | instskip(SKIP_1) | instid1(SALU_CYCLE_1)
	v_cmp_le_i32_e32 vcc_lo, s29, v4
	s_or_b32 s22, vcc_lo, s22
	s_and_not1_b32 exec_lo, exec_lo, s22
	s_cbranch_execz .LBB71_9
.LBB71_86:                              ;   Parent Loop BB71_10 Depth=1
                                        ; =>  This Inner Loop Header: Depth=2
	s_and_saveexec_b32 s23, s1
	s_cbranch_execz .LBB71_85
; %bb.87:                               ;   in Loop: Header=BB71_86 Depth=2
	s_and_b32 vcc_lo, exec_lo, s33
	s_cbranch_vccz .LBB71_89
; %bb.88:                               ;   in Loop: Header=BB71_86 Depth=2
	v_add_nc_u32_e32 v5, s21, v4
	s_delay_alu instid0(VALU_DEP_1)
	v_mad_u64_u32 v[1:2], null, v5, s29, v[9:10]
	s_cbranch_execnz .LBB71_84
	s_branch .LBB71_90
.LBB71_89:                              ;   in Loop: Header=BB71_86 Depth=2
                                        ; implicit-def: $vgpr1
.LBB71_90:                              ;   in Loop: Header=BB71_86 Depth=2
	v_add_nc_u32_e32 v1, v27, v4
	s_branch .LBB71_84
.LBB71_91:                              ;   in Loop: Header=BB71_10 Depth=1
                                        ; implicit-def: $sgpr20
                                        ; implicit-def: $vgpr27
	s_cbranch_execz .LBB71_10
.LBB71_92:
	v_cmp_gt_i32_e64 s0, s29, v18
	s_delay_alu instid0(VALU_DEP_1)
	s_and_saveexec_b32 s4, s0
	s_cbranch_execz .LBB71_105
; %bb.93:
	s_mul_i32 s5, s28, s29
	v_cmp_gt_i32_e64 s1, s29, v9
	v_add_nc_u32_e32 v0, s5, v9
	v_add3_u32 v7, v19, v20, 0x2200
	v_mov_b32_e32 v8, v18
	s_cmp_lg_u32 s30, 0
	s_mov_b32 s12, 0
	v_mul_lo_u32 v6, v0, s29
	s_cselect_b32 s13, -1, 0
	s_branch .LBB71_95
.LBB71_94:                              ;   in Loop: Header=BB71_95 Depth=1
	s_or_b32 exec_lo, exec_lo, s2
	v_add_nc_u32_e32 v8, 4, v8
	s_waitcnt vmcnt(0)
	ds_store_b128 v7, v[0:3]
	v_add_nc_u32_e32 v7, 64, v7
	v_cmp_le_i32_e32 vcc_lo, s29, v8
	s_or_b32 s12, vcc_lo, s12
	s_delay_alu instid0(SALU_CYCLE_1)
	s_and_not1_b32 exec_lo, exec_lo, s12
	s_cbranch_execz .LBB71_105
.LBB71_95:                              ; =>This Inner Loop Header: Depth=1
	s_and_b32 vcc_lo, exec_lo, s13
	s_cbranch_vccz .LBB71_99
; %bb.96:                               ;   in Loop: Header=BB71_95 Depth=1
	s_mov_b32 s15, 0
	s_mov_b32 s14, 0
                                        ; implicit-def: $vgpr4
	s_and_saveexec_b32 s2, s1
	s_delay_alu instid0(SALU_CYCLE_1)
	s_xor_b32 s2, exec_lo, s2
; %bb.97:                               ;   in Loop: Header=BB71_95 Depth=1
	v_add_nc_u32_e32 v0, s5, v8
	s_mov_b32 s14, exec_lo
	s_delay_alu instid0(VALU_DEP_1)
	v_mad_u64_u32 v[4:5], null, v0, s29, v[9:10]
; %bb.98:                               ;   in Loop: Header=BB71_95 Depth=1
	s_or_b32 exec_lo, exec_lo, s2
	s_mov_b64 s[2:3], 0
	s_and_b32 vcc_lo, exec_lo, s15
	s_cbranch_vccnz .LBB71_100
	s_branch .LBB71_103
.LBB71_99:                              ;   in Loop: Header=BB71_95 Depth=1
	s_mov_b32 s14, 0
                                        ; implicit-def: $vgpr4
                                        ; implicit-def: $sgpr2_sgpr3
	s_cbranch_execz .LBB71_103
.LBB71_100:                             ;   in Loop: Header=BB71_95 Depth=1
                                        ; implicit-def: $vgpr4
	s_and_saveexec_b32 s2, s1
; %bb.101:                              ;   in Loop: Header=BB71_95 Depth=1
	v_add_nc_u32_e32 v4, v6, v8
	s_or_b32 s14, s14, exec_lo
; %bb.102:                              ;   in Loop: Header=BB71_95 Depth=1
	s_or_b32 exec_lo, exec_lo, s2
	s_mov_b64 s[2:3], 0
.LBB71_103:                             ;   in Loop: Header=BB71_95 Depth=1
	s_delay_alu instid0(SALU_CYCLE_1)
	v_dual_mov_b32 v0, s2 :: v_dual_mov_b32 v1, s3
	v_dual_mov_b32 v2, s2 :: v_dual_mov_b32 v3, s3
	s_and_saveexec_b32 s2, s14
	s_cbranch_execz .LBB71_94
; %bb.104:                              ;   in Loop: Header=BB71_95 Depth=1
	v_ashrrev_i32_e32 v5, 31, v4
	s_delay_alu instid0(VALU_DEP_1) | instskip(NEXT) | instid1(VALU_DEP_1)
	v_lshlrev_b64 v[0:1], 4, v[4:5]
	v_add_co_u32 v0, vcc_lo, s18, v0
	s_delay_alu instid0(VALU_DEP_2)
	v_add_co_ci_u32_e32 v1, vcc_lo, s19, v1, vcc_lo
	global_load_b128 v[0:3], v[0:1], off
	s_branch .LBB71_94
.LBB71_105:
	s_or_b32 exec_lo, exec_lo, s4
; %bb.106:
	s_cmp_lt_i32 s29, 1
	s_waitcnt lgkmcnt(0)
	buffer_gl0_inv
	s_cbranch_scc1 .LBB71_125
; %bb.107:
	v_or_b32_e32 v0, v18, v9
	v_mad_u32_u24 v1, 0x110, v9, v21
	s_movk_i32 s2, 0x2200
	v_add3_u32 v13, v19, v20, 0x3300
	v_mad_u32_u24 v12, 0x110, v18, s2
	v_cmp_ne_u32_e64 s1, 0, v0
	v_add_nc_u32_e32 v10, 0x2200, v1
	v_dual_mov_b32 v2, 0 :: v_dual_add_nc_u32 v11, 0x3300, v1
	s_mov_b32 s3, 0
	s_add_i32 s4, s16, s17
	s_branch .LBB71_109
.LBB71_108:                             ;   in Loop: Header=BB71_109 Depth=1
	s_or_b32 exec_lo, exec_lo, s2
	v_add_nc_u32_e32 v12, 16, v12
	s_add_i32 s3, s3, 1
	s_waitcnt lgkmcnt(0)
	s_waitcnt_vscnt null, 0x0
	buffer_gl0_inv
	s_cmp_eq_u32 s3, s29
	s_cbranch_scc1 .LBB71_125
.LBB71_109:                             ; =>This Loop Header: Depth=1
                                        ;     Child Loop BB71_124 Depth 2
	s_mov_b32 s5, exec_lo
	v_cmpx_eq_u32_e64 s3, v9
	s_cbranch_execz .LBB71_117
; %bb.110:                              ;   in Loop: Header=BB71_109 Depth=1
	ds_load_b128 v[3:6], v11
	ds_load_b128 v[14:17], v10
	s_waitcnt lgkmcnt(0)
	v_add_f64 v[0:1], v[14:15], -v[3:4]
	v_add_f64 v[7:8], v[16:17], -v[5:6]
                                        ; implicit-def: $vgpr5_vgpr6
	s_delay_alu instid0(VALU_DEP_2) | instskip(NEXT) | instid1(VALU_DEP_2)
	v_cmp_gt_f64_e32 vcc_lo, 0, v[0:1]
	v_cmp_gt_f64_e64 s2, 0, v[7:8]
	v_xor_b32_e32 v3, 0x80000000, v1
	v_xor_b32_e32 v4, 0x80000000, v8
	s_delay_alu instid0(VALU_DEP_2) | instskip(NEXT) | instid1(VALU_DEP_2)
	v_dual_cndmask_b32 v1, v1, v3 :: v_dual_cndmask_b32 v0, v0, v0
	v_cndmask_b32_e64 v4, v8, v4, s2
	v_cndmask_b32_e64 v3, v7, v7, s2
	s_mov_b32 s2, exec_lo
	s_delay_alu instid0(VALU_DEP_1)
	v_cmpx_ngt_f64_e32 v[0:1], v[3:4]
	s_xor_b32 s2, exec_lo, s2
	s_cbranch_execz .LBB71_114
; %bb.111:                              ;   in Loop: Header=BB71_109 Depth=1
	v_mov_b32_e32 v5, 0
	v_mov_b32_e32 v6, 0
	s_mov_b32 s12, exec_lo
	v_cmpx_neq_f64_e32 0, v[7:8]
	s_cbranch_execz .LBB71_113
; %bb.112:                              ;   in Loop: Header=BB71_109 Depth=1
	v_div_scale_f64 v[5:6], null, v[3:4], v[3:4], v[0:1]
	v_div_scale_f64 v[16:17], vcc_lo, v[0:1], v[3:4], v[0:1]
	s_delay_alu instid0(VALU_DEP_2) | instskip(SKIP_2) | instid1(VALU_DEP_1)
	v_rcp_f64_e32 v[7:8], v[5:6]
	s_waitcnt_depctr 0xfff
	v_fma_f64 v[14:15], -v[5:6], v[7:8], 1.0
	v_fma_f64 v[7:8], v[7:8], v[14:15], v[7:8]
	s_delay_alu instid0(VALU_DEP_1) | instskip(NEXT) | instid1(VALU_DEP_1)
	v_fma_f64 v[14:15], -v[5:6], v[7:8], 1.0
	v_fma_f64 v[7:8], v[7:8], v[14:15], v[7:8]
	s_delay_alu instid0(VALU_DEP_1) | instskip(NEXT) | instid1(VALU_DEP_1)
	v_mul_f64 v[14:15], v[16:17], v[7:8]
	v_fma_f64 v[5:6], -v[5:6], v[14:15], v[16:17]
	s_delay_alu instid0(VALU_DEP_1) | instskip(NEXT) | instid1(VALU_DEP_1)
	v_div_fmas_f64 v[5:6], v[5:6], v[7:8], v[14:15]
	v_div_fixup_f64 v[0:1], v[5:6], v[3:4], v[0:1]
	s_delay_alu instid0(VALU_DEP_1) | instskip(NEXT) | instid1(VALU_DEP_1)
	v_fma_f64 v[0:1], v[0:1], v[0:1], 1.0
	v_cmp_gt_f64_e32 vcc_lo, 0x10000000, v[0:1]
	v_cndmask_b32_e64 v5, 0, 1, vcc_lo
	s_delay_alu instid0(VALU_DEP_1) | instskip(NEXT) | instid1(VALU_DEP_1)
	v_lshlrev_b32_e32 v5, 8, v5
	v_ldexp_f64 v[0:1], v[0:1], v5
	s_delay_alu instid0(VALU_DEP_1) | instskip(SKIP_3) | instid1(VALU_DEP_1)
	v_rsq_f64_e32 v[5:6], v[0:1]
	s_waitcnt_depctr 0xfff
	v_mul_f64 v[7:8], v[0:1], v[5:6]
	v_mul_f64 v[5:6], v[5:6], 0.5
	v_fma_f64 v[14:15], -v[5:6], v[7:8], 0.5
	s_delay_alu instid0(VALU_DEP_1) | instskip(SKIP_1) | instid1(VALU_DEP_2)
	v_fma_f64 v[7:8], v[7:8], v[14:15], v[7:8]
	v_fma_f64 v[5:6], v[5:6], v[14:15], v[5:6]
	v_fma_f64 v[14:15], -v[7:8], v[7:8], v[0:1]
	s_delay_alu instid0(VALU_DEP_1) | instskip(NEXT) | instid1(VALU_DEP_1)
	v_fma_f64 v[7:8], v[14:15], v[5:6], v[7:8]
	v_fma_f64 v[14:15], -v[7:8], v[7:8], v[0:1]
	s_delay_alu instid0(VALU_DEP_1) | instskip(SKIP_2) | instid1(VALU_DEP_2)
	v_fma_f64 v[5:6], v[14:15], v[5:6], v[7:8]
	v_cndmask_b32_e64 v7, 0, 0xffffff80, vcc_lo
	v_cmp_class_f64_e64 vcc_lo, v[0:1], 0x260
	v_ldexp_f64 v[5:6], v[5:6], v7
	s_delay_alu instid0(VALU_DEP_1) | instskip(NEXT) | instid1(VALU_DEP_1)
	v_dual_cndmask_b32 v1, v6, v1 :: v_dual_cndmask_b32 v0, v5, v0
	v_mul_f64 v[5:6], v[3:4], v[0:1]
.LBB71_113:                             ;   in Loop: Header=BB71_109 Depth=1
	s_or_b32 exec_lo, exec_lo, s12
                                        ; implicit-def: $vgpr0_vgpr1
                                        ; implicit-def: $vgpr3_vgpr4
.LBB71_114:                             ;   in Loop: Header=BB71_109 Depth=1
	s_and_not1_saveexec_b32 s2, s2
	s_cbranch_execz .LBB71_116
; %bb.115:                              ;   in Loop: Header=BB71_109 Depth=1
	v_div_scale_f64 v[5:6], null, v[0:1], v[0:1], v[3:4]
	v_div_scale_f64 v[16:17], vcc_lo, v[3:4], v[0:1], v[3:4]
	s_delay_alu instid0(VALU_DEP_2) | instskip(SKIP_2) | instid1(VALU_DEP_1)
	v_rcp_f64_e32 v[7:8], v[5:6]
	s_waitcnt_depctr 0xfff
	v_fma_f64 v[14:15], -v[5:6], v[7:8], 1.0
	v_fma_f64 v[7:8], v[7:8], v[14:15], v[7:8]
	s_delay_alu instid0(VALU_DEP_1) | instskip(NEXT) | instid1(VALU_DEP_1)
	v_fma_f64 v[14:15], -v[5:6], v[7:8], 1.0
	v_fma_f64 v[7:8], v[7:8], v[14:15], v[7:8]
	s_delay_alu instid0(VALU_DEP_1) | instskip(NEXT) | instid1(VALU_DEP_1)
	v_mul_f64 v[14:15], v[16:17], v[7:8]
	v_fma_f64 v[5:6], -v[5:6], v[14:15], v[16:17]
	s_delay_alu instid0(VALU_DEP_1) | instskip(NEXT) | instid1(VALU_DEP_1)
	v_div_fmas_f64 v[5:6], v[5:6], v[7:8], v[14:15]
	v_div_fixup_f64 v[3:4], v[5:6], v[0:1], v[3:4]
	s_delay_alu instid0(VALU_DEP_1) | instskip(NEXT) | instid1(VALU_DEP_1)
	v_fma_f64 v[3:4], v[3:4], v[3:4], 1.0
	v_cmp_gt_f64_e32 vcc_lo, 0x10000000, v[3:4]
	v_cndmask_b32_e64 v5, 0, 1, vcc_lo
	s_delay_alu instid0(VALU_DEP_1) | instskip(NEXT) | instid1(VALU_DEP_1)
	v_lshlrev_b32_e32 v5, 8, v5
	v_ldexp_f64 v[3:4], v[3:4], v5
	s_delay_alu instid0(VALU_DEP_1) | instskip(SKIP_3) | instid1(VALU_DEP_1)
	v_rsq_f64_e32 v[5:6], v[3:4]
	s_waitcnt_depctr 0xfff
	v_mul_f64 v[7:8], v[3:4], v[5:6]
	v_mul_f64 v[5:6], v[5:6], 0.5
	v_fma_f64 v[14:15], -v[5:6], v[7:8], 0.5
	s_delay_alu instid0(VALU_DEP_1) | instskip(SKIP_1) | instid1(VALU_DEP_2)
	v_fma_f64 v[7:8], v[7:8], v[14:15], v[7:8]
	v_fma_f64 v[5:6], v[5:6], v[14:15], v[5:6]
	v_fma_f64 v[14:15], -v[7:8], v[7:8], v[3:4]
	s_delay_alu instid0(VALU_DEP_1) | instskip(NEXT) | instid1(VALU_DEP_1)
	v_fma_f64 v[7:8], v[14:15], v[5:6], v[7:8]
	v_fma_f64 v[14:15], -v[7:8], v[7:8], v[3:4]
	s_delay_alu instid0(VALU_DEP_1) | instskip(SKIP_2) | instid1(VALU_DEP_2)
	v_fma_f64 v[5:6], v[14:15], v[5:6], v[7:8]
	v_cndmask_b32_e64 v7, 0, 0xffffff80, vcc_lo
	v_cmp_class_f64_e64 vcc_lo, v[3:4], 0x260
	v_ldexp_f64 v[5:6], v[5:6], v7
	s_delay_alu instid0(VALU_DEP_1) | instskip(NEXT) | instid1(VALU_DEP_1)
	v_dual_cndmask_b32 v4, v6, v4 :: v_dual_cndmask_b32 v3, v5, v3
	v_mul_f64 v[5:6], v[0:1], v[3:4]
.LBB71_116:                             ;   in Loop: Header=BB71_109 Depth=1
	s_or_b32 exec_lo, exec_lo, s2
	s_delay_alu instid0(VALU_DEP_1) | instskip(SKIP_1) | instid1(VALU_DEP_1)
	v_cmp_gt_f64_e32 vcc_lo, 0x10000000, v[5:6]
	v_cndmask_b32_e64 v0, 0, 1, vcc_lo
	v_lshlrev_b32_e32 v0, 8, v0
	s_delay_alu instid0(VALU_DEP_1) | instskip(NEXT) | instid1(VALU_DEP_1)
	v_ldexp_f64 v[0:1], v[5:6], v0
	v_rsq_f64_e32 v[3:4], v[0:1]
	s_waitcnt_depctr 0xfff
	v_mul_f64 v[5:6], v[0:1], v[3:4]
	v_mul_f64 v[3:4], v[3:4], 0.5
	s_delay_alu instid0(VALU_DEP_1) | instskip(NEXT) | instid1(VALU_DEP_1)
	v_fma_f64 v[7:8], -v[3:4], v[5:6], 0.5
	v_fma_f64 v[5:6], v[5:6], v[7:8], v[5:6]
	v_fma_f64 v[3:4], v[3:4], v[7:8], v[3:4]
	s_delay_alu instid0(VALU_DEP_2) | instskip(NEXT) | instid1(VALU_DEP_1)
	v_fma_f64 v[7:8], -v[5:6], v[5:6], v[0:1]
	v_fma_f64 v[5:6], v[7:8], v[3:4], v[5:6]
	s_delay_alu instid0(VALU_DEP_1) | instskip(NEXT) | instid1(VALU_DEP_1)
	v_fma_f64 v[7:8], -v[5:6], v[5:6], v[0:1]
	v_fma_f64 v[3:4], v[7:8], v[3:4], v[5:6]
	v_cndmask_b32_e64 v5, 0, 0xffffff80, vcc_lo
	v_cmp_class_f64_e64 vcc_lo, v[0:1], 0x260
	s_delay_alu instid0(VALU_DEP_2) | instskip(NEXT) | instid1(VALU_DEP_1)
	v_ldexp_f64 v[3:4], v[3:4], v5
	v_dual_cndmask_b32 v1, v4, v1 :: v_dual_cndmask_b32 v0, v3, v0
	v_mov_b32_e32 v3, v2
	ds_store_b128 v10, v[0:3]
.LBB71_117:                             ;   in Loop: Header=BB71_109 Depth=1
	s_or_b32 exec_lo, exec_lo, s5
	s_lshl_b32 s5, s3, 4
	s_mul_i32 s2, s3, 0x110
	s_waitcnt lgkmcnt(0)
	buffer_gl0_inv
	s_add_i32 s2, s2, s5
	v_mad_u32_u24 v14, 0x110, v9, s5
	v_mov_b32_e32 v0, s2
	ds_load_b128 v[3:6], v14 offset:8704
	ds_load_b128 v[21:24], v0 offset:8704
	s_waitcnt lgkmcnt(0)
	v_cmp_neq_f64_e32 vcc_lo, 0, v[21:22]
	v_cmp_neq_f64_e64 s2, 0, v[23:24]
	s_delay_alu instid0(VALU_DEP_1) | instskip(SKIP_4) | instid1(SALU_CYCLE_1)
	s_or_b32 vcc_lo, vcc_lo, s2
	v_dual_cndmask_b32 v1, 0, v24 :: v_dual_cndmask_b32 v0, 0, v23
	v_cndmask_b32_e32 v7, 0, v21, vcc_lo
	v_cndmask_b32_e32 v8, 0x3ff00000, v22, vcc_lo
	s_or_b32 s2, vcc_lo, s1
	s_xor_b32 s5, s2, -1
	s_delay_alu instid0(SALU_CYCLE_1)
	s_and_saveexec_b32 s2, s5
	s_cbranch_execz .LBB71_121
; %bb.118:                              ;   in Loop: Header=BB71_109 Depth=1
	v_mbcnt_lo_u32_b32 v0, exec_lo, 0
	s_mov_b32 s5, exec_lo
	s_delay_alu instid0(VALU_DEP_1)
	v_cmpx_eq_u32_e32 0, v0
	s_cbranch_execz .LBB71_120
; %bb.119:                              ;   in Loop: Header=BB71_109 Depth=1
	v_mov_b32_e32 v0, s4
	global_atomic_min_i32 v2, v0, s[10:11]
.LBB71_120:                             ;   in Loop: Header=BB71_109 Depth=1
	s_or_b32 exec_lo, exec_lo, s5
	v_dual_mov_b32 v0, 0 :: v_dual_mov_b32 v7, 0
	v_dual_mov_b32 v1, 0 :: v_dual_mov_b32 v8, 0x3ff00000
.LBB71_121:                             ;   in Loop: Header=BB71_109 Depth=1
	s_or_b32 exec_lo, exec_lo, s2
	s_delay_alu instid0(SALU_CYCLE_1)
	s_mov_b32 s2, exec_lo
	v_cmpx_lt_u32_e64 s3, v9
	s_cbranch_execz .LBB71_108
; %bb.122:                              ;   in Loop: Header=BB71_109 Depth=1
	v_mul_f64 v[15:16], v[0:1], v[0:1]
	v_lshl_add_u32 v17, s3, 4, v19
	s_delay_alu instid0(VALU_DEP_2) | instskip(NEXT) | instid1(VALU_DEP_1)
	v_fma_f64 v[15:16], v[7:8], v[7:8], v[15:16]
	v_div_scale_f64 v[25:26], null, v[15:16], v[15:16], 1.0
	v_div_scale_f64 v[27:28], vcc_lo, 1.0, v[15:16], 1.0
	s_delay_alu instid0(VALU_DEP_2) | instskip(SKIP_2) | instid1(VALU_DEP_1)
	v_rcp_f64_e32 v[21:22], v[25:26]
	s_waitcnt_depctr 0xfff
	v_fma_f64 v[23:24], -v[25:26], v[21:22], 1.0
	v_fma_f64 v[21:22], v[21:22], v[23:24], v[21:22]
	s_delay_alu instid0(VALU_DEP_1) | instskip(NEXT) | instid1(VALU_DEP_1)
	v_fma_f64 v[23:24], -v[25:26], v[21:22], 1.0
	v_fma_f64 v[29:30], v[21:22], v[23:24], v[21:22]
	ds_load_b128 v[21:24], v17 offset:13056
	s_waitcnt lgkmcnt(0)
	v_add_f64 v[5:6], v[5:6], -v[23:24]
	v_add_f64 v[3:4], v[3:4], -v[21:22]
	v_mul_f64 v[31:32], v[27:28], v[29:30]
	s_delay_alu instid0(VALU_DEP_3) | instskip(NEXT) | instid1(VALU_DEP_3)
	v_mul_f64 v[21:22], v[0:1], v[5:6]
	v_mul_f64 v[0:1], v[0:1], -v[3:4]
	s_delay_alu instid0(VALU_DEP_3) | instskip(NEXT) | instid1(VALU_DEP_3)
	v_fma_f64 v[23:24], -v[25:26], v[31:32], v[27:28]
	v_fma_f64 v[3:4], v[3:4], v[7:8], v[21:22]
	s_delay_alu instid0(VALU_DEP_3) | instskip(NEXT) | instid1(VALU_DEP_3)
	v_fma_f64 v[0:1], v[5:6], v[7:8], v[0:1]
	v_div_fmas_f64 v[23:24], v[23:24], v[29:30], v[31:32]
	s_delay_alu instid0(VALU_DEP_1) | instskip(NEXT) | instid1(VALU_DEP_1)
	v_div_fixup_f64 v[15:16], v[23:24], v[15:16], 1.0
	v_mul_f64 v[3:4], v[15:16], v[3:4]
	s_delay_alu instid0(VALU_DEP_4)
	v_mul_f64 v[5:6], v[15:16], v[0:1]
	v_add_nc_u32_e32 v0, 0x2200, v14
	ds_store_b128 v0, v[3:6]
	s_waitcnt lgkmcnt(0)
	s_waitcnt_vscnt null, 0x0
	buffer_gl0_inv
	s_and_b32 exec_lo, exec_lo, s0
	s_cbranch_execz .LBB71_108
; %bb.123:                              ;   in Loop: Header=BB71_109 Depth=1
	v_dual_mov_b32 v0, v13 :: v_dual_mov_b32 v1, v12
	v_mov_b32_e32 v7, v18
	s_mov_b32 s5, 0
	.p2align	6
.LBB71_124:                             ;   Parent Loop BB71_109 Depth=1
                                        ; =>  This Inner Loop Header: Depth=2
	ds_load_b128 v[14:17], v1
	ds_load_b128 v[21:24], v0
	v_add_nc_u32_e32 v7, 4, v7
	v_add_nc_u32_e32 v1, 0x440, v1
	s_delay_alu instid0(VALU_DEP_2) | instskip(SKIP_4) | instid1(VALU_DEP_2)
	v_cmp_le_i32_e32 vcc_lo, s29, v7
	s_or_b32 s5, vcc_lo, s5
	s_waitcnt lgkmcnt(0)
	v_fma_f64 v[21:22], v[3:4], v[14:15], v[21:22]
	v_fma_f64 v[23:24], v[5:6], v[14:15], v[23:24]
	;; [unrolled: 1-line block ×3, first 2 shown]
	s_delay_alu instid0(VALU_DEP_2)
	v_fma_f64 v[16:17], v[3:4], -v[16:17], v[23:24]
	ds_store_b128 v0, v[14:17]
	v_add_nc_u32_e32 v0, 64, v0
	s_and_not1_b32 exec_lo, exec_lo, s5
	s_cbranch_execnz .LBB71_124
	s_branch .LBB71_108
.LBB71_125:
	s_and_saveexec_b32 s1, s0
	s_cbranch_execz .LBB71_134
; %bb.126:
	s_mul_i32 s28, s28, s29
	v_cmp_gt_i32_e64 s0, s29, v9
	v_add_nc_u32_e32 v0, s28, v9
	v_add3_u32 v3, v19, v20, 0x2200
	v_mov_b32_e32 v4, v18
	s_cmp_lg_u32 s30, 0
	s_mov_b32 s2, 0
	v_mul_lo_u32 v2, v0, s29
	s_cselect_b32 s3, -1, 0
	s_set_inst_prefetch_distance 0x1
	s_branch .LBB71_129
	.p2align	6
.LBB71_127:                             ;   in Loop: Header=BB71_129 Depth=1
	ds_load_2addr_b64 v[5:8], v3 offset1:1
	v_ashrrev_i32_e32 v1, 31, v0
	s_delay_alu instid0(VALU_DEP_1) | instskip(NEXT) | instid1(VALU_DEP_1)
	v_lshlrev_b64 v[0:1], 4, v[0:1]
	v_add_co_u32 v0, vcc_lo, s18, v0
	s_delay_alu instid0(VALU_DEP_2)
	v_add_co_ci_u32_e32 v1, vcc_lo, s19, v1, vcc_lo
	s_waitcnt lgkmcnt(0)
	global_store_b128 v[0:1], v[5:8], off
.LBB71_128:                             ;   in Loop: Header=BB71_129 Depth=1
	s_or_b32 exec_lo, exec_lo, s4
	v_add_nc_u32_e32 v4, 4, v4
	v_add_nc_u32_e32 v3, 64, v3
	s_delay_alu instid0(VALU_DEP_2) | instskip(SKIP_1) | instid1(SALU_CYCLE_1)
	v_cmp_le_i32_e32 vcc_lo, s29, v4
	s_or_b32 s2, vcc_lo, s2
	s_and_not1_b32 exec_lo, exec_lo, s2
	s_cbranch_execz .LBB71_134
.LBB71_129:                             ; =>This Inner Loop Header: Depth=1
	s_and_saveexec_b32 s4, s0
	s_cbranch_execz .LBB71_128
; %bb.130:                              ;   in Loop: Header=BB71_129 Depth=1
	s_and_b32 vcc_lo, exec_lo, s3
	s_cbranch_vccz .LBB71_132
; %bb.131:                              ;   in Loop: Header=BB71_129 Depth=1
	v_add_nc_u32_e32 v5, s28, v4
	s_delay_alu instid0(VALU_DEP_1)
	v_mad_u64_u32 v[0:1], null, v5, s29, v[9:10]
	s_cbranch_execnz .LBB71_127
	s_branch .LBB71_133
.LBB71_132:                             ;   in Loop: Header=BB71_129 Depth=1
                                        ; implicit-def: $vgpr0
.LBB71_133:                             ;   in Loop: Header=BB71_129 Depth=1
	v_add_nc_u32_e32 v0, v2, v4
	s_branch .LBB71_127
.LBB71_134:
	s_set_inst_prefetch_distance 0x2
	s_or_b32 exec_lo, exec_lo, s1
	v_or_b32_e32 v0, v18, v9
	s_delay_alu instid0(VALU_DEP_1)
	v_cmp_eq_u32_e64 s3, 0, v0
.LBB71_135:
	s_delay_alu instid0(VALU_DEP_1)
	s_and_saveexec_b32 s0, s3
	s_cbranch_execnz .LBB71_143
.LBB71_136:
	s_nop 0
	s_sendmsg sendmsg(MSG_DEALLOC_VGPRS)
	s_endpgm
.LBB71_137:
	s_cbranch_execz .LBB71_135
; %bb.138:
	v_or_b32_e32 v0, v18, v9
	s_mov_b32 s0, exec_lo
	s_delay_alu instid0(VALU_DEP_1)
	v_cmpx_eq_u32_e32 0, v0
	s_cbranch_execz .LBB71_142
; %bb.139:
	v_mbcnt_lo_u32_b32 v0, exec_lo, 0
	s_mov_b32 s1, exec_lo
	s_delay_alu instid0(VALU_DEP_1)
	v_cmpx_eq_u32_e32 0, v0
	s_cbranch_execz .LBB71_141
; %bb.140:
	s_add_i32 s2, s16, s17
	s_delay_alu instid0(SALU_CYCLE_1)
	v_dual_mov_b32 v0, 0 :: v_dual_mov_b32 v1, s2
	global_atomic_min_i32 v0, v1, s[10:11]
.LBB71_141:
	s_or_b32 exec_lo, exec_lo, s1
	s_delay_alu instid0(SALU_CYCLE_1)
	s_or_b32 s3, s3, exec_lo
.LBB71_142:
	s_or_b32 exec_lo, exec_lo, s0
	s_and_saveexec_b32 s0, s3
	s_cbranch_execz .LBB71_136
.LBB71_143:
	v_dual_mov_b32 v0, 0 :: v_dual_mov_b32 v1, 1
	s_add_u32 s0, s6, s8
	s_addc_u32 s1, s7, s9
	s_waitcnt_vscnt null, 0x0
	global_store_b32 v0, v1, s[0:1]
	s_nop 0
	s_sendmsg sendmsg(MSG_DEALLOC_VGPRS)
	s_endpgm
	.section	.rodata,"a",@progbits
	.p2align	6, 0x0
	.amdhsa_kernel _ZN9rocsparseL18bsric0_9_16_kernelILi64ELi64ELi16E21rocsparse_complex_numIdEEEv20rocsparse_direction_iiPKiS5_PT2_S5_PiS5_S8_21rocsparse_index_base_
		.amdhsa_group_segment_fixed_size 18176
		.amdhsa_private_segment_fixed_size 0
		.amdhsa_kernarg_size 76
		.amdhsa_user_sgpr_count 15
		.amdhsa_user_sgpr_dispatch_ptr 0
		.amdhsa_user_sgpr_queue_ptr 0
		.amdhsa_user_sgpr_kernarg_segment_ptr 1
		.amdhsa_user_sgpr_dispatch_id 0
		.amdhsa_user_sgpr_private_segment_size 0
		.amdhsa_wavefront_size32 1
		.amdhsa_uses_dynamic_stack 0
		.amdhsa_enable_private_segment 0
		.amdhsa_system_sgpr_workgroup_id_x 1
		.amdhsa_system_sgpr_workgroup_id_y 0
		.amdhsa_system_sgpr_workgroup_id_z 0
		.amdhsa_system_sgpr_workgroup_info 0
		.amdhsa_system_vgpr_workitem_id 1
		.amdhsa_next_free_vgpr 39
		.amdhsa_next_free_sgpr 44
		.amdhsa_reserve_vcc 1
		.amdhsa_float_round_mode_32 0
		.amdhsa_float_round_mode_16_64 0
		.amdhsa_float_denorm_mode_32 3
		.amdhsa_float_denorm_mode_16_64 3
		.amdhsa_dx10_clamp 1
		.amdhsa_ieee_mode 1
		.amdhsa_fp16_overflow 0
		.amdhsa_workgroup_processor_mode 1
		.amdhsa_memory_ordered 1
		.amdhsa_forward_progress 0
		.amdhsa_shared_vgpr_count 0
		.amdhsa_exception_fp_ieee_invalid_op 0
		.amdhsa_exception_fp_denorm_src 0
		.amdhsa_exception_fp_ieee_div_zero 0
		.amdhsa_exception_fp_ieee_overflow 0
		.amdhsa_exception_fp_ieee_underflow 0
		.amdhsa_exception_fp_ieee_inexact 0
		.amdhsa_exception_int_div_zero 0
	.end_amdhsa_kernel
	.section	.text._ZN9rocsparseL18bsric0_9_16_kernelILi64ELi64ELi16E21rocsparse_complex_numIdEEEv20rocsparse_direction_iiPKiS5_PT2_S5_PiS5_S8_21rocsparse_index_base_,"axG",@progbits,_ZN9rocsparseL18bsric0_9_16_kernelILi64ELi64ELi16E21rocsparse_complex_numIdEEEv20rocsparse_direction_iiPKiS5_PT2_S5_PiS5_S8_21rocsparse_index_base_,comdat
.Lfunc_end71:
	.size	_ZN9rocsparseL18bsric0_9_16_kernelILi64ELi64ELi16E21rocsparse_complex_numIdEEEv20rocsparse_direction_iiPKiS5_PT2_S5_PiS5_S8_21rocsparse_index_base_, .Lfunc_end71-_ZN9rocsparseL18bsric0_9_16_kernelILi64ELi64ELi16E21rocsparse_complex_numIdEEEv20rocsparse_direction_iiPKiS5_PT2_S5_PiS5_S8_21rocsparse_index_base_
                                        ; -- End function
	.section	.AMDGPU.csdata,"",@progbits
; Kernel info:
; codeLenInByte = 5484
; NumSgprs: 46
; NumVgprs: 39
; ScratchSize: 0
; MemoryBound: 1
; FloatMode: 240
; IeeeMode: 1
; LDSByteSize: 18176 bytes/workgroup (compile time only)
; SGPRBlocks: 5
; VGPRBlocks: 4
; NumSGPRsForWavesPerEU: 46
; NumVGPRsForWavesPerEU: 39
; Occupancy: 4
; WaveLimiterHint : 1
; COMPUTE_PGM_RSRC2:SCRATCH_EN: 0
; COMPUTE_PGM_RSRC2:USER_SGPR: 15
; COMPUTE_PGM_RSRC2:TRAP_HANDLER: 0
; COMPUTE_PGM_RSRC2:TGID_X_EN: 1
; COMPUTE_PGM_RSRC2:TGID_Y_EN: 0
; COMPUTE_PGM_RSRC2:TGID_Z_EN: 0
; COMPUTE_PGM_RSRC2:TIDIG_COMP_CNT: 1
	.section	.text._ZN9rocsparseL19bsric0_17_32_kernelILi64ELi64ELi32E21rocsparse_complex_numIdEEEv20rocsparse_direction_iiPKiS5_PT2_S5_PiS5_S8_21rocsparse_index_base_,"axG",@progbits,_ZN9rocsparseL19bsric0_17_32_kernelILi64ELi64ELi32E21rocsparse_complex_numIdEEEv20rocsparse_direction_iiPKiS5_PT2_S5_PiS5_S8_21rocsparse_index_base_,comdat
	.globl	_ZN9rocsparseL19bsric0_17_32_kernelILi64ELi64ELi32E21rocsparse_complex_numIdEEEv20rocsparse_direction_iiPKiS5_PT2_S5_PiS5_S8_21rocsparse_index_base_ ; -- Begin function _ZN9rocsparseL19bsric0_17_32_kernelILi64ELi64ELi32E21rocsparse_complex_numIdEEEv20rocsparse_direction_iiPKiS5_PT2_S5_PiS5_S8_21rocsparse_index_base_
	.p2align	8
	.type	_ZN9rocsparseL19bsric0_17_32_kernelILi64ELi64ELi32E21rocsparse_complex_numIdEEEv20rocsparse_direction_iiPKiS5_PT2_S5_PiS5_S8_21rocsparse_index_base_,@function
_ZN9rocsparseL19bsric0_17_32_kernelILi64ELi64ELi32E21rocsparse_complex_numIdEEEv20rocsparse_direction_iiPKiS5_PT2_S5_PiS5_S8_21rocsparse_index_base_: ; @_ZN9rocsparseL19bsric0_17_32_kernelILi64ELi64ELi32E21rocsparse_complex_numIdEEEv20rocsparse_direction_iiPKiS5_PT2_S5_PiS5_S8_21rocsparse_index_base_
; %bb.0:
	s_load_b256 s[4:11], s[0:1], 0x28
	s_mov_b32 s2, s15
	s_mov_b32 s3, 0
	v_and_b32_e32 v18, 0x3ff, v0
	s_lshl_b64 s[12:13], s[2:3], 2
	v_bfe_u32 v9, v0, 10, 10
	s_waitcnt lgkmcnt(0)
	s_add_u32 s8, s8, s12
	s_addc_u32 s9, s9, s13
	s_load_b32 s16, s[8:9], 0x0
	s_waitcnt lgkmcnt(0)
	s_ashr_i32 s17, s16, 31
	s_delay_alu instid0(SALU_CYCLE_1) | instskip(NEXT) | instid1(SALU_CYCLE_1)
	s_lshl_b64 s[8:9], s[16:17], 2
	s_add_u32 s12, s4, s8
	s_addc_u32 s13, s5, s9
	s_load_b32 s28, s[12:13], 0x0
	s_load_b32 s17, s[0:1], 0x48
	s_waitcnt lgkmcnt(0)
	s_cmp_lg_u32 s28, -1
	s_cbranch_scc0 .LBB72_125
; %bb.1:
	s_clause 0x1
	s_load_b128 s[12:15], s[0:1], 0x10
	s_load_b64 s[18:19], s[0:1], 0x20
	v_lshlrev_b32_e32 v0, 1, v9
	s_waitcnt lgkmcnt(0)
	s_add_u32 s2, s12, s8
	s_addc_u32 s3, s13, s9
	s_load_b32 s2, s[2:3], 0x0
	s_waitcnt lgkmcnt(0)
	s_sub_i32 s31, s2, s17
	s_mov_b32 s2, exec_lo
	v_add3_u32 v0, v0, v18, s31
	s_delay_alu instid0(VALU_DEP_1)
	v_cmpx_ge_i32_e64 s28, v0
	s_cbranch_execz .LBB72_4
; %bb.2:
	v_lshlrev_b32_e32 v1, 3, v9
	v_lshlrev_b32_e32 v2, 2, v18
	s_mov_b32 s3, 0
	s_delay_alu instid0(VALU_DEP_1)
	v_add3_u32 v2, v1, v2, 0xc800
	.p2align	6
.LBB72_3:                               ; =>This Inner Loop Header: Depth=1
	v_ashrrev_i32_e32 v1, 31, v0
	s_delay_alu instid0(VALU_DEP_1) | instskip(SKIP_1) | instid1(VALU_DEP_2)
	v_lshlrev_b64 v[3:4], 2, v[0:1]
	v_add_nc_u32_e32 v0, 64, v0
	v_add_co_u32 v3, vcc_lo, s14, v3
	s_delay_alu instid0(VALU_DEP_3) | instskip(NEXT) | instid1(VALU_DEP_3)
	v_add_co_ci_u32_e32 v4, vcc_lo, s15, v4, vcc_lo
	v_cmp_lt_i32_e32 vcc_lo, s28, v0
	global_load_b32 v1, v[3:4], off
	s_or_b32 s3, vcc_lo, s3
	s_waitcnt vmcnt(0)
	v_subrev_nc_u32_e32 v1, s17, v1
	ds_store_b32 v2, v1
	v_add_nc_u32_e32 v2, 0x100, v2
	s_and_not1_b32 exec_lo, exec_lo, s3
	s_cbranch_execnz .LBB72_3
.LBB72_4:
	s_or_b32 exec_lo, exec_lo, s2
	v_mul_u32_u24_e32 v19, 0x210, v9
	v_lshlrev_b32_e32 v20, 4, v18
	s_mov_b32 s2, exec_lo
	v_cmpx_gt_u32_e32 32, v18
	s_cbranch_execz .LBB72_7
; %bb.5:
	v_mov_b32_e32 v0, 0
	v_add_nc_u32_e32 v4, -2, v18
	v_add3_u32 v5, v19, v20, 0x8400
	s_mov_b32 s3, 0
	s_delay_alu instid0(VALU_DEP_3)
	v_mov_b32_e32 v1, v0
	v_mov_b32_e32 v2, v0
	;; [unrolled: 1-line block ×3, first 2 shown]
.LBB72_6:                               ; =>This Inner Loop Header: Depth=1
	v_add_nc_u32_e32 v4, 2, v4
	ds_store_b128 v5, v[0:3]
	v_add_nc_u32_e32 v5, 32, v5
	v_cmp_lt_u32_e32 vcc_lo, 29, v4
	s_or_b32 s3, vcc_lo, s3
	s_delay_alu instid0(SALU_CYCLE_1)
	s_and_not1_b32 exec_lo, exec_lo, s3
	s_cbranch_execnz .LBB72_6
.LBB72_7:
	s_or_b32 exec_lo, exec_lo, s2
	s_clause 0x1
	s_load_b32 s29, s[0:1], 0x8
	s_load_b32 s30, s[0:1], 0x0
	s_cmp_ge_i32 s31, s28
	s_waitcnt lgkmcnt(0)
	buffer_gl0_inv
	v_cmp_gt_i32_e64 s0, s29, v18
	s_cbranch_scc1 .LBB72_80
; %bb.8:
	v_mad_u64_u32 v[0:1], null, s29, s31, v[9:10]
	v_or_b32_e32 v1, v18, v9
	v_mad_u32_u24 v22, 0x210, v9, v20
	s_cmp_eq_u32 s30, 0
	v_mul_lo_u32 v21, v9, s29
	v_mul_lo_u32 v23, v18, s29
	s_movk_i32 s3, 0x4200
	v_mul_lo_u32 v25, s29, v0
	s_cselect_b32 s33, -1, 0
	s_cmp_lg_u32 s30, 0
	v_cmp_gt_i32_e64 s1, s29, v9
	v_cmp_ne_u32_e64 s2, 0, v1
	v_mad_u32_u24 v24, 0x210, v9, s3
	v_mad_u32_u24 v26, 0x210, v18, s3
	v_dual_mov_b32 v0, 0 :: v_dual_add_nc_u32 v27, 0x8400, v22
	v_add_nc_u32_e32 v28, 0x4200, v22
	s_cselect_b32 s34, -1, 0
	s_cmp_gt_i32 s29, 0
	s_mul_i32 s36, s29, s29
	s_cselect_b32 s35, -1, 0
	s_lshl_b32 s37, s29, 1
	s_mov_b32 s20, s31
	s_branch .LBB72_10
.LBB72_9:                               ;   in Loop: Header=BB72_10 Depth=1
	s_set_inst_prefetch_distance 0x2
	s_or_b32 exec_lo, exec_lo, s3
	s_add_i32 s20, s20, 1
	v_add_nc_u32_e32 v25, s36, v25
	s_cmp_ge_i32 s20, s28
	s_waitcnt_vscnt null, 0x0
	buffer_gl1_inv
	buffer_gl0_inv
	s_cselect_b32 s3, -1, 0
	s_delay_alu instid0(SALU_CYCLE_1)
	s_and_b32 vcc_lo, exec_lo, s3
	s_cbranch_vccnz .LBB72_80
.LBB72_10:                              ; =>This Loop Header: Depth=1
                                        ;     Child Loop BB72_14 Depth 2
                                        ;     Child Loop BB72_27 Depth 2
	;; [unrolled: 1-line block ×4, first 2 shown]
                                        ;       Child Loop BB72_45 Depth 3
                                        ;     Child Loop BB72_58 Depth 2
                                        ;       Child Loop BB72_65 Depth 3
                                        ;       Child Loop BB72_69 Depth 3
                                        ;     Child Loop BB72_74 Depth 2
	s_ashr_i32 s21, s20, 31
	s_delay_alu instid0(SALU_CYCLE_1) | instskip(NEXT) | instid1(SALU_CYCLE_1)
	s_lshl_b64 s[22:23], s[20:21], 2
	s_add_u32 s22, s14, s22
	s_addc_u32 s23, s15, s23
	s_load_b32 s38, s[22:23], 0x0
	s_waitcnt lgkmcnt(0)
	s_sub_i32 s24, s38, s17
	s_delay_alu instid0(SALU_CYCLE_1) | instskip(NEXT) | instid1(SALU_CYCLE_1)
	s_ashr_i32 s25, s24, 31
	s_lshl_b64 s[22:23], s[24:25], 2
	s_delay_alu instid0(SALU_CYCLE_1)
	s_add_u32 s26, s4, s22
	s_addc_u32 s27, s5, s23
	s_load_b32 s3, s[26:27], 0x0
	s_waitcnt lgkmcnt(0)
	s_cmp_eq_u32 s3, -1
	s_cbranch_scc1 .LBB72_79
; %bb.11:                               ;   in Loop: Header=BB72_10 Depth=1
	s_add_u32 s26, s12, s22
	s_addc_u32 s27, s13, s23
	s_mul_i32 s21, s20, s29
	s_load_b32 s25, s[26:27], 0x0
	s_and_saveexec_b32 s39, s0
	s_cbranch_execz .LBB72_24
; %bb.12:                               ;   in Loop: Header=BB72_10 Depth=1
	v_mov_b32_e32 v8, v22
	v_mov_b32_e32 v10, v18
	s_mov_b32 s40, 0
	s_branch .LBB72_14
.LBB72_13:                              ;   in Loop: Header=BB72_14 Depth=2
	s_or_b32 exec_lo, exec_lo, s26
	v_dual_mov_b32 v1, v0 :: v_dual_add_nc_u32 v10, 2, v10
	v_mov_b32_e32 v2, v0
	v_mov_b32_e32 v3, v0
	s_waitcnt vmcnt(0)
	ds_store_b128 v8, v[4:7] offset:16896
	ds_store_b128 v8, v[0:3]
	v_add_nc_u32_e32 v8, 32, v8
	v_cmp_le_i32_e32 vcc_lo, s29, v10
	s_or_b32 s40, vcc_lo, s40
	s_delay_alu instid0(SALU_CYCLE_1)
	s_and_not1_b32 exec_lo, exec_lo, s40
	s_cbranch_execz .LBB72_24
.LBB72_14:                              ;   Parent Loop BB72_10 Depth=1
                                        ; =>  This Inner Loop Header: Depth=2
	s_and_b32 vcc_lo, exec_lo, s34
	s_cbranch_vccz .LBB72_18
; %bb.15:                               ;   in Loop: Header=BB72_14 Depth=2
	s_mov_b32 s42, 0
	s_mov_b32 s41, 0
                                        ; implicit-def: $vgpr1
	s_and_saveexec_b32 s26, s1
	s_delay_alu instid0(SALU_CYCLE_1)
	s_xor_b32 s26, exec_lo, s26
; %bb.16:                               ;   in Loop: Header=BB72_14 Depth=2
	v_add_nc_u32_e32 v3, s21, v10
	s_mov_b32 s41, exec_lo
	s_delay_alu instid0(VALU_DEP_1)
	v_mad_u64_u32 v[1:2], null, v3, s29, v[9:10]
; %bb.17:                               ;   in Loop: Header=BB72_14 Depth=2
	s_or_b32 exec_lo, exec_lo, s26
	s_mov_b64 s[26:27], 0
	s_and_b32 vcc_lo, exec_lo, s42
	s_cbranch_vccnz .LBB72_19
	s_branch .LBB72_22
.LBB72_18:                              ;   in Loop: Header=BB72_14 Depth=2
	s_mov_b32 s41, 0
                                        ; implicit-def: $vgpr1
                                        ; implicit-def: $sgpr26_sgpr27
	s_cbranch_execz .LBB72_22
.LBB72_19:                              ;   in Loop: Header=BB72_14 Depth=2
                                        ; implicit-def: $vgpr1
	s_and_saveexec_b32 s26, s1
; %bb.20:                               ;   in Loop: Header=BB72_14 Depth=2
	v_add_nc_u32_e32 v1, v25, v10
	s_or_b32 s41, s41, exec_lo
; %bb.21:                               ;   in Loop: Header=BB72_14 Depth=2
	s_or_b32 exec_lo, exec_lo, s26
	s_mov_b64 s[26:27], 0
.LBB72_22:                              ;   in Loop: Header=BB72_14 Depth=2
	s_delay_alu instid0(SALU_CYCLE_1)
	v_dual_mov_b32 v4, s26 :: v_dual_mov_b32 v5, s27
	v_dual_mov_b32 v6, s26 :: v_dual_mov_b32 v7, s27
	s_and_saveexec_b32 s26, s41
	s_cbranch_execz .LBB72_13
; %bb.23:                               ;   in Loop: Header=BB72_14 Depth=2
	v_ashrrev_i32_e32 v2, 31, v1
	s_delay_alu instid0(VALU_DEP_1) | instskip(NEXT) | instid1(VALU_DEP_1)
	v_lshlrev_b64 v[1:2], 4, v[1:2]
	v_add_co_u32 v1, vcc_lo, s18, v1
	s_delay_alu instid0(VALU_DEP_2)
	v_add_co_ci_u32_e32 v2, vcc_lo, s19, v2, vcc_lo
	global_load_b128 v[4:7], v[1:2], off
	s_branch .LBB72_13
.LBB72_24:                              ;   in Loop: Header=BB72_10 Depth=1
	s_or_b32 exec_lo, exec_lo, s39
; %bb.25:                               ;   in Loop: Header=BB72_10 Depth=1
	ds_load_b32 v1, v0 offset:51200
	s_waitcnt lgkmcnt(0)
	s_sub_i32 s26, s25, s17
	s_mov_b32 s27, 0
	s_cmp_le_i32 s26, s3
	s_cselect_b32 s25, -1, 0
	v_cmp_ge_i32_e32 vcc_lo, s24, v1
	s_and_b32 s25, s25, vcc_lo
	s_delay_alu instid0(SALU_CYCLE_1)
	s_and_not1_b32 vcc_lo, exec_lo, s25
	s_cbranch_vccnz .LBB72_37
; %bb.26:                               ;   in Loop: Header=BB72_10 Depth=1
	s_mov_b32 s25, 0
	s_mov_b32 s39, 0
.LBB72_27:                              ;   Parent Loop BB72_10 Depth=1
                                        ; =>  This Inner Loop Header: Depth=2
	s_ashr_i32 s27, s26, 31
	s_mov_b32 s43, -1
	s_lshl_b64 s[40:41], s[26:27], 2
                                        ; implicit-def: $sgpr42
	s_delay_alu instid0(SALU_CYCLE_1) | instskip(SKIP_2) | instid1(SALU_CYCLE_1)
	s_add_u32 s40, s14, s40
	s_addc_u32 s41, s15, s41
	s_lshl_b32 s27, s39, 2
	v_mov_b32_e32 v1, s27
	s_load_b32 s27, s[40:41], 0x0
                                        ; implicit-def: $sgpr41
	ds_load_b32 v1, v1 offset:51200
	s_waitcnt lgkmcnt(0)
	s_sub_i32 s44, s27, s17
                                        ; implicit-def: $sgpr27
	s_delay_alu instid0(SALU_CYCLE_1)
	v_cmp_ge_i32_e32 vcc_lo, s44, v1
	v_readfirstlane_b32 s40, v1
	s_cbranch_vccz .LBB72_33
; %bb.28:                               ;   in Loop: Header=BB72_27 Depth=2
	s_delay_alu instid0(VALU_DEP_1)
	s_cmp_le_i32 s44, s40
                                        ; implicit-def: $sgpr27
                                        ; implicit-def: $sgpr42
                                        ; implicit-def: $sgpr41
	s_cbranch_scc0 .LBB72_30
; %bb.29:                               ;   in Loop: Header=BB72_27 Depth=2
	s_add_i32 s27, s39, s31
	s_lshl_b32 s41, s25, 2
	s_mul_i32 s27, s27, s36
	s_delay_alu instid0(SALU_CYCLE_1)
	v_dual_mov_b32 v1, s41 :: v_dual_mov_b32 v2, s27
	s_mul_i32 s41, s26, s36
	s_add_i32 s42, s26, 1
	v_mov_b32_e32 v3, s41
	s_add_i32 s41, s39, 1
	s_add_i32 s27, s25, 1
	s_mov_b32 s43, 0
	ds_store_2addr_stride64_b32 v1, v3, v2 offset0:198 offset1:199
.LBB72_30:                              ;   in Loop: Header=BB72_27 Depth=2
	s_and_not1_b32 vcc_lo, exec_lo, s43
	s_cbranch_vccnz .LBB72_32
; %bb.31:                               ;   in Loop: Header=BB72_27 Depth=2
	s_add_i32 s41, s39, 1
	s_mov_b32 s27, s25
	s_mov_b32 s42, s26
.LBB72_32:                              ;   in Loop: Header=BB72_27 Depth=2
	s_mov_b32 s43, 0
.LBB72_33:                              ;   in Loop: Header=BB72_27 Depth=2
	s_delay_alu instid0(SALU_CYCLE_1)
	s_and_not1_b32 vcc_lo, exec_lo, s43
	s_cbranch_vccnz .LBB72_35
; %bb.34:                               ;   in Loop: Header=BB72_27 Depth=2
	s_add_i32 s42, s26, 1
	s_mov_b32 s41, s39
	s_mov_b32 s27, s25
.LBB72_35:                              ;   in Loop: Header=BB72_27 Depth=2
	s_cmp_le_i32 s42, s3
	s_cselect_b32 s25, -1, 0
	s_cmp_le_i32 s40, s24
	s_cselect_b32 s26, -1, 0
	s_delay_alu instid0(SALU_CYCLE_1) | instskip(NEXT) | instid1(SALU_CYCLE_1)
	s_and_b32 s25, s25, s26
	s_and_b32 vcc_lo, exec_lo, s25
	s_cbranch_vccz .LBB72_37
; %bb.36:                               ;   in Loop: Header=BB72_27 Depth=2
	s_mov_b32 s25, s27
	s_mov_b32 s26, s42
	;; [unrolled: 1-line block ×3, first 2 shown]
	s_branch .LBB72_27
.LBB72_37:                              ;   in Loop: Header=BB72_10 Depth=1
	s_add_u32 s22, s6, s22
	s_addc_u32 s23, s7, s23
	s_waitcnt lgkmcnt(0)
	buffer_gl0_inv
.LBB72_38:                              ;   Parent Loop BB72_10 Depth=1
                                        ; =>  This Inner Loop Header: Depth=2
	global_load_b32 v1, v0, s[22:23] glc
	s_waitcnt vmcnt(0)
	v_cmp_eq_u32_e32 vcc_lo, 0, v1
	s_cbranch_vccnz .LBB72_38
; %bb.39:                               ;   in Loop: Header=BB72_10 Depth=1
	s_cmp_lt_i32 s27, 2
	buffer_gl1_inv
	buffer_gl0_inv
	s_cbranch_scc1 .LBB72_55
; %bb.40:                               ;   in Loop: Header=BB72_10 Depth=1
	s_add_i32 s22, s27, -2
	s_mov_b32 s23, 0
	s_branch .LBB72_42
.LBB72_41:                              ;   in Loop: Header=BB72_42 Depth=2
	s_or_b32 exec_lo, exec_lo, s24
	s_add_i32 s24, s23, 1
	s_cmp_eq_u32 s23, s22
	s_mov_b32 s23, s24
	s_cbranch_scc1 .LBB72_55
.LBB72_42:                              ;   Parent Loop BB72_10 Depth=1
                                        ; =>  This Loop Header: Depth=2
                                        ;       Child Loop BB72_45 Depth 3
	s_and_saveexec_b32 s24, s0
	s_cbranch_execz .LBB72_41
; %bb.43:                               ;   in Loop: Header=BB72_42 Depth=2
	s_lshl_b32 s25, s23, 2
	v_mov_b32_e32 v33, v18
	v_mov_b32_e32 v1, s25
	s_mov_b32 s25, 0
	ds_load_2addr_stride64_b32 v[1:2], v1 offset0:198 offset1:199
	s_waitcnt lgkmcnt(0)
	v_add_nc_u32_e32 v30, v9, v2
	v_add_nc_u32_e32 v29, v2, v21
	;; [unrolled: 1-line block ×4, first 2 shown]
	s_branch .LBB72_45
.LBB72_44:                              ;   in Loop: Header=BB72_45 Depth=3
	v_lshlrev_b32_e32 v5, 4, v33
	v_add_nc_u32_e32 v33, 2, v33
	v_add_nc_u32_e32 v31, 2, v31
	;; [unrolled: 1-line block ×3, first 2 shown]
	s_delay_alu instid0(VALU_DEP_4) | instskip(NEXT) | instid1(VALU_DEP_4)
	v_mad_u32_u24 v10, 0x210, v9, v5
	v_cmp_le_i32_e32 vcc_lo, s29, v33
	ds_load_b128 v[5:8], v10
	s_or_b32 s25, vcc_lo, s25
	s_waitcnt lgkmcnt(0)
	v_add_f64 v[3:4], v[3:4], v[5:6]
	v_add_f64 v[5:6], v[1:2], v[7:8]
	ds_store_b128 v10, v[3:6]
	s_and_not1_b32 exec_lo, exec_lo, s25
	s_cbranch_execz .LBB72_41
.LBB72_45:                              ;   Parent Loop BB72_10 Depth=1
                                        ;     Parent Loop BB72_42 Depth=2
                                        ; =>    This Inner Loop Header: Depth=3
	v_mov_b32_e32 v14, 0
	s_delay_alu instid0(VALU_DEP_3) | instskip(SKIP_2) | instid1(VALU_DEP_2)
	v_dual_mov_b32 v15, 0 :: v_dual_mov_b32 v10, v31
	v_mov_b32_e32 v12, v30
	s_mov_b32 s26, 0
	v_dual_mov_b32 v17, v15 :: v_dual_mov_b32 v16, v14
	s_and_b32 vcc_lo, exec_lo, s34
	s_cbranch_vccz .LBB72_49
.LBB72_46:                              ;   in Loop: Header=BB72_45 Depth=3
	v_ashrrev_i32_e32 v11, 31, v10
	v_mov_b32_e32 v5, 0
	v_mov_b32_e32 v6, 0
	s_delay_alu instid0(VALU_DEP_3) | instskip(NEXT) | instid1(VALU_DEP_2)
	v_lshlrev_b64 v[1:2], 4, v[10:11]
	v_dual_mov_b32 v8, v6 :: v_dual_mov_b32 v7, v5
	s_delay_alu instid0(VALU_DEP_2) | instskip(NEXT) | instid1(VALU_DEP_3)
	v_add_co_u32 v1, vcc_lo, s18, v1
	v_add_co_ci_u32_e32 v2, vcc_lo, s19, v2, vcc_lo
	global_load_b128 v[1:4], v[1:2], off
	s_and_saveexec_b32 s27, s1
	s_cbranch_execz .LBB72_48
; %bb.47:                               ;   in Loop: Header=BB72_45 Depth=3
	v_ashrrev_i32_e32 v13, 31, v12
	s_delay_alu instid0(VALU_DEP_1) | instskip(NEXT) | instid1(VALU_DEP_1)
	v_lshlrev_b64 v[5:6], 4, v[12:13]
	v_add_co_u32 v5, vcc_lo, s18, v5
	s_delay_alu instid0(VALU_DEP_2)
	v_add_co_ci_u32_e32 v6, vcc_lo, s19, v6, vcc_lo
	global_load_b128 v[5:8], v[5:6], off
.LBB72_48:                              ;   in Loop: Header=BB72_45 Depth=3
	s_or_b32 exec_lo, exec_lo, s27
	s_waitcnt vmcnt(0)
	v_fma_f64 v[34:35], v[1:2], v[5:6], v[16:17]
	v_fma_f64 v[5:6], v[3:4], v[5:6], v[14:15]
	s_delay_alu instid0(VALU_DEP_2) | instskip(NEXT) | instid1(VALU_DEP_2)
	v_fma_f64 v[3:4], v[3:4], v[7:8], v[34:35]
	v_fma_f64 v[1:2], v[1:2], -v[7:8], v[5:6]
	s_branch .LBB72_53
.LBB72_49:                              ;   in Loop: Header=BB72_45 Depth=3
                                        ; implicit-def: $vgpr1_vgpr2
                                        ; implicit-def: $vgpr3_vgpr4
	s_cbranch_execz .LBB72_53
; %bb.50:                               ;   in Loop: Header=BB72_45 Depth=3
	v_add_nc_u32_e32 v1, s26, v32
	v_mov_b32_e32 v5, 0
	v_mov_b32_e32 v6, 0
	s_delay_alu instid0(VALU_DEP_3) | instskip(NEXT) | instid1(VALU_DEP_2)
	v_ashrrev_i32_e32 v2, 31, v1
	v_dual_mov_b32 v8, v6 :: v_dual_mov_b32 v7, v5
	s_delay_alu instid0(VALU_DEP_2) | instskip(NEXT) | instid1(VALU_DEP_1)
	v_lshlrev_b64 v[1:2], 4, v[1:2]
	v_add_co_u32 v1, vcc_lo, s18, v1
	s_delay_alu instid0(VALU_DEP_2)
	v_add_co_ci_u32_e32 v2, vcc_lo, s19, v2, vcc_lo
	global_load_b128 v[1:4], v[1:2], off
	s_and_saveexec_b32 s27, s1
	s_cbranch_execz .LBB72_52
; %bb.51:                               ;   in Loop: Header=BB72_45 Depth=3
	v_add_nc_u32_e32 v5, s26, v29
	s_delay_alu instid0(VALU_DEP_1) | instskip(NEXT) | instid1(VALU_DEP_1)
	v_ashrrev_i32_e32 v6, 31, v5
	v_lshlrev_b64 v[5:6], 4, v[5:6]
	s_delay_alu instid0(VALU_DEP_1) | instskip(NEXT) | instid1(VALU_DEP_2)
	v_add_co_u32 v5, vcc_lo, s18, v5
	v_add_co_ci_u32_e32 v6, vcc_lo, s19, v6, vcc_lo
	global_load_b128 v[5:8], v[5:6], off
.LBB72_52:                              ;   in Loop: Header=BB72_45 Depth=3
	s_or_b32 exec_lo, exec_lo, s27
	s_waitcnt vmcnt(0)
	v_fma_f64 v[16:17], v[1:2], v[5:6], v[16:17]
	v_fma_f64 v[5:6], v[3:4], v[5:6], v[14:15]
	s_delay_alu instid0(VALU_DEP_2) | instskip(NEXT) | instid1(VALU_DEP_2)
	v_fma_f64 v[3:4], v[3:4], v[7:8], v[16:17]
	v_fma_f64 v[1:2], v[1:2], -v[7:8], v[5:6]
.LBB72_53:                              ;   in Loop: Header=BB72_45 Depth=3
	v_add_nc_u32_e32 v12, s29, v12
	v_add_nc_u32_e32 v10, s29, v10
	s_add_i32 s26, s26, 1
	s_delay_alu instid0(SALU_CYCLE_1)
	s_cmp_eq_u32 s29, s26
	s_cbranch_scc1 .LBB72_44
; %bb.54:                               ;   in Loop: Header=BB72_45 Depth=3
	s_delay_alu instid0(VALU_DEP_3)
	v_dual_mov_b32 v15, v2 :: v_dual_mov_b32 v14, v1
	v_dual_mov_b32 v17, v4 :: v_dual_mov_b32 v16, v3
	s_and_b32 vcc_lo, exec_lo, s34
	s_cbranch_vccz .LBB72_49
	s_branch .LBB72_46
.LBB72_55:                              ;   in Loop: Header=BB72_10 Depth=1
	s_and_not1_b32 vcc_lo, exec_lo, s35
	s_waitcnt lgkmcnt(0)
	buffer_gl0_inv
	s_cbranch_vccnz .LBB72_70
; %bb.56:                               ;   in Loop: Header=BB72_10 Depth=1
	v_mov_b32_e32 v14, v26
	s_mul_i32 s24, s36, s3
	s_mov_b32 s25, 0
	s_mov_b32 s26, s24
	s_branch .LBB72_58
.LBB72_57:                              ;   in Loop: Header=BB72_58 Depth=2
	s_or_b32 exec_lo, exec_lo, s3
	v_add_nc_u32_e32 v14, 16, v14
	s_add_i32 s25, s25, 1
	s_add_i32 s26, s26, 1
	s_cmp_eq_u32 s25, s29
	s_waitcnt lgkmcnt(0)
	buffer_gl0_inv
	s_cbranch_scc1 .LBB72_70
.LBB72_58:                              ;   Parent Loop BB72_10 Depth=1
                                        ; =>  This Loop Header: Depth=2
                                        ;       Child Loop BB72_65 Depth 3
                                        ;       Child Loop BB72_69 Depth 3
	s_mul_i32 s27, s25, s29
	v_lshl_add_u32 v15, s25, 4, v19
	s_add_i32 s27, s27, s24
	s_delay_alu instid0(SALU_CYCLE_1) | instskip(SKIP_2) | instid1(SALU_CYCLE_1)
	s_add_i32 s22, s27, s25
	ds_load_b128 v[1:4], v15 offset:16896
	s_ashr_i32 s23, s22, 31
	s_lshl_b64 s[22:23], s[22:23], 4
	s_delay_alu instid0(SALU_CYCLE_1)
	s_add_u32 s22, s18, s22
	s_addc_u32 s23, s19, s23
	global_load_b128 v[5:8], v0, s[22:23]
	s_waitcnt vmcnt(0)
	v_cmp_neq_f64_e32 vcc_lo, 0, v[5:6]
	v_cmp_neq_f64_e64 s3, 0, v[7:8]
	s_delay_alu instid0(VALU_DEP_1) | instskip(SKIP_4) | instid1(SALU_CYCLE_1)
	s_or_b32 vcc_lo, vcc_lo, s3
	v_cndmask_b32_e32 v11, 0x3ff00000, v6, vcc_lo
	v_dual_cndmask_b32 v10, 0, v5 :: v_dual_cndmask_b32 v13, 0, v8
	v_cndmask_b32_e32 v12, 0, v7, vcc_lo
	s_or_b32 s3, vcc_lo, s2
	s_xor_b32 s22, s3, -1
	s_delay_alu instid0(SALU_CYCLE_1)
	s_and_saveexec_b32 s3, s22
	s_cbranch_execz .LBB72_62
; %bb.59:                               ;   in Loop: Header=BB72_58 Depth=2
	v_mbcnt_lo_u32_b32 v5, exec_lo, 0
	s_mov_b32 s22, exec_lo
	s_delay_alu instid0(VALU_DEP_1)
	v_cmpx_eq_u32_e32 0, v5
	s_cbranch_execz .LBB72_61
; %bb.60:                               ;   in Loop: Header=BB72_58 Depth=2
	v_mov_b32_e32 v5, s38
	global_atomic_min_i32 v0, v5, s[10:11]
.LBB72_61:                              ;   in Loop: Header=BB72_58 Depth=2
	s_or_b32 exec_lo, exec_lo, s22
	v_mov_b32_e32 v10, 0
	v_dual_mov_b32 v11, 0x3ff00000 :: v_dual_mov_b32 v12, 0
	v_mov_b32_e32 v13, 0
.LBB72_62:                              ;   in Loop: Header=BB72_58 Depth=2
	s_or_b32 exec_lo, exec_lo, s3
	ds_load_b128 v[5:8], v15
	s_cmp_eq_u32 s25, 0
	s_cbranch_scc1 .LBB72_67
; %bb.63:                               ;   in Loop: Header=BB72_58 Depth=2
	v_mov_b32_e32 v16, v24
	s_mov_b32 s3, 0
	s_mov_b32 s39, s26
	s_set_inst_prefetch_distance 0x1
	s_branch .LBB72_65
	.p2align	6
.LBB72_64:                              ;   in Loop: Header=BB72_65 Depth=3
	s_ashr_i32 s23, s22, 31
	ds_load_b128 v[33:36], v16
	s_lshl_b64 s[22:23], s[22:23], 4
	v_add_nc_u32_e32 v16, 16, v16
	s_add_u32 s22, s18, s22
	s_addc_u32 s23, s19, s23
	s_add_i32 s3, s3, 1
	global_load_b128 v[29:32], v0, s[22:23]
	s_add_i32 s39, s39, s29
	s_cmp_ge_u32 s3, s25
	s_waitcnt vmcnt(0) lgkmcnt(0)
	v_fma_f64 v[5:6], v[29:30], v[33:34], v[5:6]
	v_fma_f64 v[7:8], v[31:32], v[33:34], v[7:8]
	s_delay_alu instid0(VALU_DEP_2) | instskip(NEXT) | instid1(VALU_DEP_2)
	v_fma_f64 v[5:6], v[31:32], v[35:36], v[5:6]
	v_fma_f64 v[7:8], v[29:30], -v[35:36], v[7:8]
	s_cbranch_scc1 .LBB72_67
.LBB72_65:                              ;   Parent Loop BB72_10 Depth=1
                                        ;     Parent Loop BB72_58 Depth=2
                                        ; =>    This Inner Loop Header: Depth=3
	s_and_not1_b32 vcc_lo, exec_lo, s33
	s_mov_b32 s22, s39
	s_cbranch_vccnz .LBB72_64
; %bb.66:                               ;   in Loop: Header=BB72_65 Depth=3
	s_add_i32 s22, s3, s27
	s_branch .LBB72_64
.LBB72_67:                              ;   in Loop: Header=BB72_58 Depth=2
	s_set_inst_prefetch_distance 0x2
	v_mul_f64 v[16:17], v[12:13], v[12:13]
	s_waitcnt lgkmcnt(0)
	s_delay_alu instid0(VALU_DEP_2) | instskip(NEXT) | instid1(VALU_DEP_4)
	v_add_f64 v[3:4], v[3:4], -v[7:8]
	v_add_f64 v[1:2], v[1:2], -v[5:6]
	v_add_nc_u32_e32 v15, 0x4200, v15
	s_delay_alu instid0(VALU_DEP_4) | instskip(NEXT) | instid1(VALU_DEP_4)
	v_fma_f64 v[16:17], v[10:11], v[10:11], v[16:17]
	v_mul_f64 v[5:6], v[12:13], v[3:4]
	s_delay_alu instid0(VALU_DEP_4) | instskip(NEXT) | instid1(VALU_DEP_3)
	v_mul_f64 v[12:13], v[12:13], -v[1:2]
	v_div_scale_f64 v[29:30], null, v[16:17], v[16:17], 1.0
	v_div_scale_f64 v[35:36], vcc_lo, 1.0, v[16:17], 1.0
	s_delay_alu instid0(VALU_DEP_4) | instskip(NEXT) | instid1(VALU_DEP_4)
	v_fma_f64 v[1:2], v[1:2], v[10:11], v[5:6]
	v_fma_f64 v[3:4], v[3:4], v[10:11], v[12:13]
	s_delay_alu instid0(VALU_DEP_4) | instskip(SKIP_2) | instid1(VALU_DEP_1)
	v_rcp_f64_e32 v[31:32], v[29:30]
	s_waitcnt_depctr 0xfff
	v_fma_f64 v[33:34], -v[29:30], v[31:32], 1.0
	v_fma_f64 v[31:32], v[31:32], v[33:34], v[31:32]
	s_delay_alu instid0(VALU_DEP_1) | instskip(NEXT) | instid1(VALU_DEP_1)
	v_fma_f64 v[33:34], -v[29:30], v[31:32], 1.0
	v_fma_f64 v[31:32], v[31:32], v[33:34], v[31:32]
	s_delay_alu instid0(VALU_DEP_1) | instskip(NEXT) | instid1(VALU_DEP_1)
	v_mul_f64 v[33:34], v[35:36], v[31:32]
	v_fma_f64 v[7:8], -v[29:30], v[33:34], v[35:36]
	s_delay_alu instid0(VALU_DEP_1) | instskip(NEXT) | instid1(VALU_DEP_1)
	v_div_fmas_f64 v[7:8], v[7:8], v[31:32], v[33:34]
	v_div_fixup_f64 v[5:6], v[7:8], v[16:17], 1.0
	s_delay_alu instid0(VALU_DEP_1)
	v_mul_f64 v[1:2], v[5:6], v[1:2]
	v_mul_f64 v[3:4], v[5:6], v[3:4]
	ds_store_b128 v15, v[1:4]
	s_waitcnt lgkmcnt(0)
	s_waitcnt_vscnt null, 0x0
	buffer_gl0_inv
	s_and_saveexec_b32 s3, s0
	s_cbranch_execz .LBB72_57
; %bb.68:                               ;   in Loop: Header=BB72_58 Depth=2
	v_dual_mov_b32 v5, v27 :: v_dual_mov_b32 v6, v14
	v_mov_b32_e32 v7, v18
	s_mov_b32 s22, 0
	.p2align	6
.LBB72_69:                              ;   Parent Loop BB72_10 Depth=1
                                        ;     Parent Loop BB72_58 Depth=2
                                        ; =>    This Inner Loop Header: Depth=3
	ds_load_b128 v[10:13], v6
	ds_load_b128 v[29:32], v5
	v_add_nc_u32_e32 v7, 2, v7
	v_add_nc_u32_e32 v6, 0x420, v6
	s_delay_alu instid0(VALU_DEP_2) | instskip(SKIP_4) | instid1(VALU_DEP_2)
	v_cmp_le_i32_e32 vcc_lo, s29, v7
	s_or_b32 s22, vcc_lo, s22
	s_waitcnt lgkmcnt(0)
	v_fma_f64 v[15:16], v[1:2], v[10:11], v[29:30]
	v_fma_f64 v[29:30], v[3:4], v[10:11], v[31:32]
	v_fma_f64 v[10:11], v[3:4], v[12:13], v[15:16]
	s_delay_alu instid0(VALU_DEP_2)
	v_fma_f64 v[12:13], v[1:2], -v[12:13], v[29:30]
	ds_store_b128 v5, v[10:13]
	v_add_nc_u32_e32 v5, 32, v5
	s_and_not1_b32 exec_lo, exec_lo, s22
	s_cbranch_execnz .LBB72_69
	s_branch .LBB72_57
.LBB72_70:                              ;   in Loop: Header=BB72_10 Depth=1
	s_and_saveexec_b32 s3, s0
	s_cbranch_execz .LBB72_9
; %bb.71:                               ;   in Loop: Header=BB72_10 Depth=1
	v_dual_mov_b32 v3, v28 :: v_dual_mov_b32 v4, v18
	s_mov_b32 s22, 0
	s_set_inst_prefetch_distance 0x1
	s_branch .LBB72_74
	.p2align	6
.LBB72_72:                              ;   in Loop: Header=BB72_74 Depth=2
	ds_load_2addr_b64 v[5:8], v3 offset1:1
	v_ashrrev_i32_e32 v2, 31, v1
	s_delay_alu instid0(VALU_DEP_1) | instskip(NEXT) | instid1(VALU_DEP_1)
	v_lshlrev_b64 v[1:2], 4, v[1:2]
	v_add_co_u32 v1, vcc_lo, s18, v1
	s_delay_alu instid0(VALU_DEP_2)
	v_add_co_ci_u32_e32 v2, vcc_lo, s19, v2, vcc_lo
	s_waitcnt lgkmcnt(0)
	global_store_b128 v[1:2], v[5:8], off
.LBB72_73:                              ;   in Loop: Header=BB72_74 Depth=2
	s_or_b32 exec_lo, exec_lo, s23
	v_add_nc_u32_e32 v4, 2, v4
	v_add_nc_u32_e32 v3, 32, v3
	s_delay_alu instid0(VALU_DEP_2) | instskip(SKIP_1) | instid1(SALU_CYCLE_1)
	v_cmp_le_i32_e32 vcc_lo, s29, v4
	s_or_b32 s22, vcc_lo, s22
	s_and_not1_b32 exec_lo, exec_lo, s22
	s_cbranch_execz .LBB72_9
.LBB72_74:                              ;   Parent Loop BB72_10 Depth=1
                                        ; =>  This Inner Loop Header: Depth=2
	s_and_saveexec_b32 s23, s1
	s_cbranch_execz .LBB72_73
; %bb.75:                               ;   in Loop: Header=BB72_74 Depth=2
	s_and_b32 vcc_lo, exec_lo, s34
	s_cbranch_vccz .LBB72_77
; %bb.76:                               ;   in Loop: Header=BB72_74 Depth=2
	v_add_nc_u32_e32 v5, s21, v4
	s_delay_alu instid0(VALU_DEP_1)
	v_mad_u64_u32 v[1:2], null, v5, s29, v[9:10]
	s_cbranch_execnz .LBB72_72
	s_branch .LBB72_78
	.p2align	6
.LBB72_77:                              ;   in Loop: Header=BB72_74 Depth=2
                                        ; implicit-def: $vgpr1
.LBB72_78:                              ;   in Loop: Header=BB72_74 Depth=2
	v_add_nc_u32_e32 v1, v25, v4
	s_branch .LBB72_72
.LBB72_79:                              ;   in Loop: Header=BB72_10 Depth=1
                                        ; implicit-def: $sgpr20
                                        ; implicit-def: $vgpr25
	s_cbranch_execz .LBB72_10
.LBB72_80:
	v_cmp_gt_i32_e64 s0, s29, v18
	s_delay_alu instid0(VALU_DEP_1)
	s_and_saveexec_b32 s4, s0
	s_cbranch_execz .LBB72_93
; %bb.81:
	s_mul_i32 s5, s28, s29
	v_cmp_gt_i32_e64 s1, s29, v9
	v_add_nc_u32_e32 v0, s5, v9
	v_add3_u32 v7, v19, v20, 0x4200
	v_mov_b32_e32 v8, v18
	s_cmp_lg_u32 s30, 0
	s_mov_b32 s12, 0
	v_mul_lo_u32 v6, v0, s29
	s_cselect_b32 s13, -1, 0
	s_branch .LBB72_83
.LBB72_82:                              ;   in Loop: Header=BB72_83 Depth=1
	s_or_b32 exec_lo, exec_lo, s2
	v_add_nc_u32_e32 v8, 2, v8
	s_waitcnt vmcnt(0)
	ds_store_b128 v7, v[0:3]
	v_add_nc_u32_e32 v7, 32, v7
	v_cmp_le_i32_e32 vcc_lo, s29, v8
	s_or_b32 s12, vcc_lo, s12
	s_delay_alu instid0(SALU_CYCLE_1)
	s_and_not1_b32 exec_lo, exec_lo, s12
	s_cbranch_execz .LBB72_93
.LBB72_83:                              ; =>This Inner Loop Header: Depth=1
	s_and_b32 vcc_lo, exec_lo, s13
	s_cbranch_vccz .LBB72_87
; %bb.84:                               ;   in Loop: Header=BB72_83 Depth=1
	s_mov_b32 s15, 0
	s_mov_b32 s14, 0
                                        ; implicit-def: $vgpr4
	s_and_saveexec_b32 s2, s1
	s_delay_alu instid0(SALU_CYCLE_1)
	s_xor_b32 s2, exec_lo, s2
; %bb.85:                               ;   in Loop: Header=BB72_83 Depth=1
	v_add_nc_u32_e32 v0, s5, v8
	s_mov_b32 s14, exec_lo
	s_delay_alu instid0(VALU_DEP_1)
	v_mad_u64_u32 v[4:5], null, v0, s29, v[9:10]
; %bb.86:                               ;   in Loop: Header=BB72_83 Depth=1
	s_or_b32 exec_lo, exec_lo, s2
	s_mov_b64 s[2:3], 0
	s_and_b32 vcc_lo, exec_lo, s15
	s_cbranch_vccnz .LBB72_88
	s_branch .LBB72_91
.LBB72_87:                              ;   in Loop: Header=BB72_83 Depth=1
	s_mov_b32 s14, 0
                                        ; implicit-def: $vgpr4
                                        ; implicit-def: $sgpr2_sgpr3
	s_cbranch_execz .LBB72_91
.LBB72_88:                              ;   in Loop: Header=BB72_83 Depth=1
                                        ; implicit-def: $vgpr4
	s_and_saveexec_b32 s2, s1
; %bb.89:                               ;   in Loop: Header=BB72_83 Depth=1
	v_add_nc_u32_e32 v4, v6, v8
	s_or_b32 s14, s14, exec_lo
; %bb.90:                               ;   in Loop: Header=BB72_83 Depth=1
	s_or_b32 exec_lo, exec_lo, s2
	s_mov_b64 s[2:3], 0
.LBB72_91:                              ;   in Loop: Header=BB72_83 Depth=1
	s_delay_alu instid0(SALU_CYCLE_1)
	v_dual_mov_b32 v0, s2 :: v_dual_mov_b32 v1, s3
	v_dual_mov_b32 v2, s2 :: v_dual_mov_b32 v3, s3
	s_and_saveexec_b32 s2, s14
	s_cbranch_execz .LBB72_82
; %bb.92:                               ;   in Loop: Header=BB72_83 Depth=1
	v_ashrrev_i32_e32 v5, 31, v4
	s_delay_alu instid0(VALU_DEP_1) | instskip(NEXT) | instid1(VALU_DEP_1)
	v_lshlrev_b64 v[0:1], 4, v[4:5]
	v_add_co_u32 v0, vcc_lo, s18, v0
	s_delay_alu instid0(VALU_DEP_2)
	v_add_co_ci_u32_e32 v1, vcc_lo, s19, v1, vcc_lo
	global_load_b128 v[0:3], v[0:1], off
	s_branch .LBB72_82
.LBB72_93:
	s_or_b32 exec_lo, exec_lo, s4
; %bb.94:
	s_cmp_lt_i32 s29, 1
	s_waitcnt lgkmcnt(0)
	buffer_gl0_inv
	s_cbranch_scc1 .LBB72_113
; %bb.95:
	v_lshlrev_b32_e32 v0, 4, v9
	v_or_b32_e32 v1, v18, v9
	s_movk_i32 s1, 0x4200
	v_add3_u32 v10, v19, v20, 0x8400
	v_mad_u32_u24 v11, 0x210, v18, s1
	v_mad_u32_u24 v0, 0x210, v9, v0
	v_cmp_ne_u32_e64 s1, 0, v1
	s_mov_b32 s3, 0
	s_add_i32 s4, s16, s17
	v_mov_b32_e32 v2, 0
	v_add_nc_u32_e32 v12, 0x4200, v0
	v_add_nc_u32_e32 v13, 0x8400, v0
	s_branch .LBB72_97
.LBB72_96:                              ;   in Loop: Header=BB72_97 Depth=1
	s_or_b32 exec_lo, exec_lo, s2
	v_add_nc_u32_e32 v11, 16, v11
	s_add_i32 s3, s3, 1
	s_waitcnt lgkmcnt(0)
	s_waitcnt_vscnt null, 0x0
	buffer_gl0_inv
	s_cmp_eq_u32 s3, s29
	s_cbranch_scc1 .LBB72_113
.LBB72_97:                              ; =>This Loop Header: Depth=1
                                        ;     Child Loop BB72_112 Depth 2
	s_mov_b32 s5, exec_lo
	v_cmpx_eq_u32_e64 s3, v9
	s_cbranch_execz .LBB72_105
; %bb.98:                               ;   in Loop: Header=BB72_97 Depth=1
	ds_load_b128 v[3:6], v13
	ds_load_b128 v[14:17], v12
	s_waitcnt lgkmcnt(0)
	v_add_f64 v[0:1], v[14:15], -v[3:4]
	v_add_f64 v[7:8], v[16:17], -v[5:6]
                                        ; implicit-def: $vgpr5_vgpr6
	s_delay_alu instid0(VALU_DEP_2) | instskip(NEXT) | instid1(VALU_DEP_2)
	v_cmp_gt_f64_e32 vcc_lo, 0, v[0:1]
	v_cmp_gt_f64_e64 s2, 0, v[7:8]
	v_xor_b32_e32 v3, 0x80000000, v1
	v_xor_b32_e32 v4, 0x80000000, v8
	s_delay_alu instid0(VALU_DEP_2) | instskip(NEXT) | instid1(VALU_DEP_2)
	v_dual_cndmask_b32 v1, v1, v3 :: v_dual_cndmask_b32 v0, v0, v0
	v_cndmask_b32_e64 v4, v8, v4, s2
	v_cndmask_b32_e64 v3, v7, v7, s2
	s_mov_b32 s2, exec_lo
	s_delay_alu instid0(VALU_DEP_1)
	v_cmpx_ngt_f64_e32 v[0:1], v[3:4]
	s_xor_b32 s2, exec_lo, s2
	s_cbranch_execz .LBB72_102
; %bb.99:                               ;   in Loop: Header=BB72_97 Depth=1
	v_mov_b32_e32 v5, 0
	v_mov_b32_e32 v6, 0
	s_mov_b32 s12, exec_lo
	v_cmpx_neq_f64_e32 0, v[7:8]
	s_cbranch_execz .LBB72_101
; %bb.100:                              ;   in Loop: Header=BB72_97 Depth=1
	v_div_scale_f64 v[5:6], null, v[3:4], v[3:4], v[0:1]
	v_div_scale_f64 v[16:17], vcc_lo, v[0:1], v[3:4], v[0:1]
	s_delay_alu instid0(VALU_DEP_2) | instskip(SKIP_2) | instid1(VALU_DEP_1)
	v_rcp_f64_e32 v[7:8], v[5:6]
	s_waitcnt_depctr 0xfff
	v_fma_f64 v[14:15], -v[5:6], v[7:8], 1.0
	v_fma_f64 v[7:8], v[7:8], v[14:15], v[7:8]
	s_delay_alu instid0(VALU_DEP_1) | instskip(NEXT) | instid1(VALU_DEP_1)
	v_fma_f64 v[14:15], -v[5:6], v[7:8], 1.0
	v_fma_f64 v[7:8], v[7:8], v[14:15], v[7:8]
	s_delay_alu instid0(VALU_DEP_1) | instskip(NEXT) | instid1(VALU_DEP_1)
	v_mul_f64 v[14:15], v[16:17], v[7:8]
	v_fma_f64 v[5:6], -v[5:6], v[14:15], v[16:17]
	s_delay_alu instid0(VALU_DEP_1) | instskip(NEXT) | instid1(VALU_DEP_1)
	v_div_fmas_f64 v[5:6], v[5:6], v[7:8], v[14:15]
	v_div_fixup_f64 v[0:1], v[5:6], v[3:4], v[0:1]
	s_delay_alu instid0(VALU_DEP_1) | instskip(NEXT) | instid1(VALU_DEP_1)
	v_fma_f64 v[0:1], v[0:1], v[0:1], 1.0
	v_cmp_gt_f64_e32 vcc_lo, 0x10000000, v[0:1]
	v_cndmask_b32_e64 v5, 0, 1, vcc_lo
	s_delay_alu instid0(VALU_DEP_1) | instskip(NEXT) | instid1(VALU_DEP_1)
	v_lshlrev_b32_e32 v5, 8, v5
	v_ldexp_f64 v[0:1], v[0:1], v5
	s_delay_alu instid0(VALU_DEP_1) | instskip(SKIP_3) | instid1(VALU_DEP_1)
	v_rsq_f64_e32 v[5:6], v[0:1]
	s_waitcnt_depctr 0xfff
	v_mul_f64 v[7:8], v[0:1], v[5:6]
	v_mul_f64 v[5:6], v[5:6], 0.5
	v_fma_f64 v[14:15], -v[5:6], v[7:8], 0.5
	s_delay_alu instid0(VALU_DEP_1) | instskip(SKIP_1) | instid1(VALU_DEP_2)
	v_fma_f64 v[7:8], v[7:8], v[14:15], v[7:8]
	v_fma_f64 v[5:6], v[5:6], v[14:15], v[5:6]
	v_fma_f64 v[14:15], -v[7:8], v[7:8], v[0:1]
	s_delay_alu instid0(VALU_DEP_1) | instskip(NEXT) | instid1(VALU_DEP_1)
	v_fma_f64 v[7:8], v[14:15], v[5:6], v[7:8]
	v_fma_f64 v[14:15], -v[7:8], v[7:8], v[0:1]
	s_delay_alu instid0(VALU_DEP_1) | instskip(SKIP_2) | instid1(VALU_DEP_2)
	v_fma_f64 v[5:6], v[14:15], v[5:6], v[7:8]
	v_cndmask_b32_e64 v7, 0, 0xffffff80, vcc_lo
	v_cmp_class_f64_e64 vcc_lo, v[0:1], 0x260
	v_ldexp_f64 v[5:6], v[5:6], v7
	s_delay_alu instid0(VALU_DEP_1) | instskip(NEXT) | instid1(VALU_DEP_1)
	v_dual_cndmask_b32 v1, v6, v1 :: v_dual_cndmask_b32 v0, v5, v0
	v_mul_f64 v[5:6], v[3:4], v[0:1]
.LBB72_101:                             ;   in Loop: Header=BB72_97 Depth=1
	s_or_b32 exec_lo, exec_lo, s12
                                        ; implicit-def: $vgpr0_vgpr1
                                        ; implicit-def: $vgpr3_vgpr4
.LBB72_102:                             ;   in Loop: Header=BB72_97 Depth=1
	s_and_not1_saveexec_b32 s2, s2
	s_cbranch_execz .LBB72_104
; %bb.103:                              ;   in Loop: Header=BB72_97 Depth=1
	v_div_scale_f64 v[5:6], null, v[0:1], v[0:1], v[3:4]
	v_div_scale_f64 v[16:17], vcc_lo, v[3:4], v[0:1], v[3:4]
	s_delay_alu instid0(VALU_DEP_2) | instskip(SKIP_2) | instid1(VALU_DEP_1)
	v_rcp_f64_e32 v[7:8], v[5:6]
	s_waitcnt_depctr 0xfff
	v_fma_f64 v[14:15], -v[5:6], v[7:8], 1.0
	v_fma_f64 v[7:8], v[7:8], v[14:15], v[7:8]
	s_delay_alu instid0(VALU_DEP_1) | instskip(NEXT) | instid1(VALU_DEP_1)
	v_fma_f64 v[14:15], -v[5:6], v[7:8], 1.0
	v_fma_f64 v[7:8], v[7:8], v[14:15], v[7:8]
	s_delay_alu instid0(VALU_DEP_1) | instskip(NEXT) | instid1(VALU_DEP_1)
	v_mul_f64 v[14:15], v[16:17], v[7:8]
	v_fma_f64 v[5:6], -v[5:6], v[14:15], v[16:17]
	s_delay_alu instid0(VALU_DEP_1) | instskip(NEXT) | instid1(VALU_DEP_1)
	v_div_fmas_f64 v[5:6], v[5:6], v[7:8], v[14:15]
	v_div_fixup_f64 v[3:4], v[5:6], v[0:1], v[3:4]
	s_delay_alu instid0(VALU_DEP_1) | instskip(NEXT) | instid1(VALU_DEP_1)
	v_fma_f64 v[3:4], v[3:4], v[3:4], 1.0
	v_cmp_gt_f64_e32 vcc_lo, 0x10000000, v[3:4]
	v_cndmask_b32_e64 v5, 0, 1, vcc_lo
	s_delay_alu instid0(VALU_DEP_1) | instskip(NEXT) | instid1(VALU_DEP_1)
	v_lshlrev_b32_e32 v5, 8, v5
	v_ldexp_f64 v[3:4], v[3:4], v5
	s_delay_alu instid0(VALU_DEP_1) | instskip(SKIP_3) | instid1(VALU_DEP_1)
	v_rsq_f64_e32 v[5:6], v[3:4]
	s_waitcnt_depctr 0xfff
	v_mul_f64 v[7:8], v[3:4], v[5:6]
	v_mul_f64 v[5:6], v[5:6], 0.5
	v_fma_f64 v[14:15], -v[5:6], v[7:8], 0.5
	s_delay_alu instid0(VALU_DEP_1) | instskip(SKIP_1) | instid1(VALU_DEP_2)
	v_fma_f64 v[7:8], v[7:8], v[14:15], v[7:8]
	v_fma_f64 v[5:6], v[5:6], v[14:15], v[5:6]
	v_fma_f64 v[14:15], -v[7:8], v[7:8], v[3:4]
	s_delay_alu instid0(VALU_DEP_1) | instskip(NEXT) | instid1(VALU_DEP_1)
	v_fma_f64 v[7:8], v[14:15], v[5:6], v[7:8]
	v_fma_f64 v[14:15], -v[7:8], v[7:8], v[3:4]
	s_delay_alu instid0(VALU_DEP_1) | instskip(SKIP_2) | instid1(VALU_DEP_2)
	v_fma_f64 v[5:6], v[14:15], v[5:6], v[7:8]
	v_cndmask_b32_e64 v7, 0, 0xffffff80, vcc_lo
	v_cmp_class_f64_e64 vcc_lo, v[3:4], 0x260
	v_ldexp_f64 v[5:6], v[5:6], v7
	s_delay_alu instid0(VALU_DEP_1) | instskip(NEXT) | instid1(VALU_DEP_1)
	v_dual_cndmask_b32 v4, v6, v4 :: v_dual_cndmask_b32 v3, v5, v3
	v_mul_f64 v[5:6], v[0:1], v[3:4]
.LBB72_104:                             ;   in Loop: Header=BB72_97 Depth=1
	s_or_b32 exec_lo, exec_lo, s2
	s_delay_alu instid0(VALU_DEP_1) | instskip(SKIP_1) | instid1(VALU_DEP_1)
	v_cmp_gt_f64_e32 vcc_lo, 0x10000000, v[5:6]
	v_cndmask_b32_e64 v0, 0, 1, vcc_lo
	v_lshlrev_b32_e32 v0, 8, v0
	s_delay_alu instid0(VALU_DEP_1) | instskip(NEXT) | instid1(VALU_DEP_1)
	v_ldexp_f64 v[0:1], v[5:6], v0
	v_rsq_f64_e32 v[3:4], v[0:1]
	s_waitcnt_depctr 0xfff
	v_mul_f64 v[5:6], v[0:1], v[3:4]
	v_mul_f64 v[3:4], v[3:4], 0.5
	s_delay_alu instid0(VALU_DEP_1) | instskip(NEXT) | instid1(VALU_DEP_1)
	v_fma_f64 v[7:8], -v[3:4], v[5:6], 0.5
	v_fma_f64 v[5:6], v[5:6], v[7:8], v[5:6]
	v_fma_f64 v[3:4], v[3:4], v[7:8], v[3:4]
	s_delay_alu instid0(VALU_DEP_2) | instskip(NEXT) | instid1(VALU_DEP_1)
	v_fma_f64 v[7:8], -v[5:6], v[5:6], v[0:1]
	v_fma_f64 v[5:6], v[7:8], v[3:4], v[5:6]
	s_delay_alu instid0(VALU_DEP_1) | instskip(NEXT) | instid1(VALU_DEP_1)
	v_fma_f64 v[7:8], -v[5:6], v[5:6], v[0:1]
	v_fma_f64 v[3:4], v[7:8], v[3:4], v[5:6]
	v_cndmask_b32_e64 v5, 0, 0xffffff80, vcc_lo
	v_cmp_class_f64_e64 vcc_lo, v[0:1], 0x260
	s_delay_alu instid0(VALU_DEP_2) | instskip(NEXT) | instid1(VALU_DEP_1)
	v_ldexp_f64 v[3:4], v[3:4], v5
	v_dual_cndmask_b32 v1, v4, v1 :: v_dual_cndmask_b32 v0, v3, v0
	v_mov_b32_e32 v3, v2
	ds_store_b128 v12, v[0:3]
.LBB72_105:                             ;   in Loop: Header=BB72_97 Depth=1
	s_or_b32 exec_lo, exec_lo, s5
	s_lshl_b32 s5, s3, 4
	s_mul_i32 s2, s3, 0x210
	s_waitcnt lgkmcnt(0)
	buffer_gl0_inv
	s_add_i32 s2, s2, s5
	v_mad_u32_u24 v14, 0x210, v9, s5
	v_mov_b32_e32 v0, s2
	ds_load_b128 v[3:6], v14 offset:16896
	ds_load_b128 v[21:24], v0 offset:16896
	s_waitcnt lgkmcnt(0)
	v_cmp_neq_f64_e32 vcc_lo, 0, v[21:22]
	v_cmp_neq_f64_e64 s2, 0, v[23:24]
	s_delay_alu instid0(VALU_DEP_1) | instskip(SKIP_4) | instid1(SALU_CYCLE_1)
	s_or_b32 vcc_lo, vcc_lo, s2
	v_dual_cndmask_b32 v1, 0, v24 :: v_dual_cndmask_b32 v0, 0, v23
	v_cndmask_b32_e32 v7, 0, v21, vcc_lo
	v_cndmask_b32_e32 v8, 0x3ff00000, v22, vcc_lo
	s_or_b32 s2, vcc_lo, s1
	s_xor_b32 s5, s2, -1
	s_delay_alu instid0(SALU_CYCLE_1)
	s_and_saveexec_b32 s2, s5
	s_cbranch_execz .LBB72_109
; %bb.106:                              ;   in Loop: Header=BB72_97 Depth=1
	v_mbcnt_lo_u32_b32 v0, exec_lo, 0
	s_mov_b32 s5, exec_lo
	s_delay_alu instid0(VALU_DEP_1)
	v_cmpx_eq_u32_e32 0, v0
	s_cbranch_execz .LBB72_108
; %bb.107:                              ;   in Loop: Header=BB72_97 Depth=1
	v_mov_b32_e32 v0, s4
	global_atomic_min_i32 v2, v0, s[10:11]
.LBB72_108:                             ;   in Loop: Header=BB72_97 Depth=1
	s_or_b32 exec_lo, exec_lo, s5
	v_dual_mov_b32 v0, 0 :: v_dual_mov_b32 v7, 0
	v_dual_mov_b32 v1, 0 :: v_dual_mov_b32 v8, 0x3ff00000
.LBB72_109:                             ;   in Loop: Header=BB72_97 Depth=1
	s_or_b32 exec_lo, exec_lo, s2
	s_delay_alu instid0(SALU_CYCLE_1)
	s_mov_b32 s2, exec_lo
	v_cmpx_lt_u32_e64 s3, v9
	s_cbranch_execz .LBB72_96
; %bb.110:                              ;   in Loop: Header=BB72_97 Depth=1
	v_mul_f64 v[15:16], v[0:1], v[0:1]
	v_lshl_add_u32 v17, s3, 4, v19
	s_delay_alu instid0(VALU_DEP_2) | instskip(NEXT) | instid1(VALU_DEP_1)
	v_fma_f64 v[15:16], v[7:8], v[7:8], v[15:16]
	v_div_scale_f64 v[25:26], null, v[15:16], v[15:16], 1.0
	v_div_scale_f64 v[27:28], vcc_lo, 1.0, v[15:16], 1.0
	s_delay_alu instid0(VALU_DEP_2) | instskip(SKIP_2) | instid1(VALU_DEP_1)
	v_rcp_f64_e32 v[21:22], v[25:26]
	s_waitcnt_depctr 0xfff
	v_fma_f64 v[23:24], -v[25:26], v[21:22], 1.0
	v_fma_f64 v[21:22], v[21:22], v[23:24], v[21:22]
	s_delay_alu instid0(VALU_DEP_1) | instskip(NEXT) | instid1(VALU_DEP_1)
	v_fma_f64 v[23:24], -v[25:26], v[21:22], 1.0
	v_fma_f64 v[29:30], v[21:22], v[23:24], v[21:22]
	ds_load_b128 v[21:24], v17 offset:33792
	s_waitcnt lgkmcnt(0)
	v_add_f64 v[5:6], v[5:6], -v[23:24]
	v_add_f64 v[3:4], v[3:4], -v[21:22]
	v_mul_f64 v[31:32], v[27:28], v[29:30]
	s_delay_alu instid0(VALU_DEP_3) | instskip(NEXT) | instid1(VALU_DEP_3)
	v_mul_f64 v[21:22], v[0:1], v[5:6]
	v_mul_f64 v[0:1], v[0:1], -v[3:4]
	s_delay_alu instid0(VALU_DEP_3) | instskip(NEXT) | instid1(VALU_DEP_3)
	v_fma_f64 v[23:24], -v[25:26], v[31:32], v[27:28]
	v_fma_f64 v[3:4], v[3:4], v[7:8], v[21:22]
	s_delay_alu instid0(VALU_DEP_3) | instskip(NEXT) | instid1(VALU_DEP_3)
	v_fma_f64 v[0:1], v[5:6], v[7:8], v[0:1]
	v_div_fmas_f64 v[23:24], v[23:24], v[29:30], v[31:32]
	s_delay_alu instid0(VALU_DEP_1) | instskip(NEXT) | instid1(VALU_DEP_1)
	v_div_fixup_f64 v[15:16], v[23:24], v[15:16], 1.0
	v_mul_f64 v[3:4], v[15:16], v[3:4]
	s_delay_alu instid0(VALU_DEP_4)
	v_mul_f64 v[5:6], v[15:16], v[0:1]
	v_add_nc_u32_e32 v0, 0x4200, v14
	ds_store_b128 v0, v[3:6]
	s_waitcnt lgkmcnt(0)
	s_waitcnt_vscnt null, 0x0
	buffer_gl0_inv
	s_and_b32 exec_lo, exec_lo, s0
	s_cbranch_execz .LBB72_96
; %bb.111:                              ;   in Loop: Header=BB72_97 Depth=1
	v_dual_mov_b32 v0, v10 :: v_dual_mov_b32 v1, v11
	v_mov_b32_e32 v7, v18
	s_mov_b32 s5, 0
	.p2align	6
.LBB72_112:                             ;   Parent Loop BB72_97 Depth=1
                                        ; =>  This Inner Loop Header: Depth=2
	ds_load_b128 v[14:17], v1
	ds_load_b128 v[21:24], v0
	v_add_nc_u32_e32 v7, 2, v7
	v_add_nc_u32_e32 v1, 0x420, v1
	s_delay_alu instid0(VALU_DEP_2) | instskip(SKIP_4) | instid1(VALU_DEP_2)
	v_cmp_le_i32_e32 vcc_lo, s29, v7
	s_or_b32 s5, vcc_lo, s5
	s_waitcnt lgkmcnt(0)
	v_fma_f64 v[21:22], v[3:4], v[14:15], v[21:22]
	v_fma_f64 v[23:24], v[5:6], v[14:15], v[23:24]
	;; [unrolled: 1-line block ×3, first 2 shown]
	s_delay_alu instid0(VALU_DEP_2)
	v_fma_f64 v[16:17], v[3:4], -v[16:17], v[23:24]
	ds_store_b128 v0, v[14:17]
	v_add_nc_u32_e32 v0, 32, v0
	s_and_not1_b32 exec_lo, exec_lo, s5
	s_cbranch_execnz .LBB72_112
	s_branch .LBB72_96
.LBB72_113:
	s_and_saveexec_b32 s1, s0
	s_cbranch_execz .LBB72_122
; %bb.114:
	s_mul_i32 s28, s28, s29
	v_cmp_gt_i32_e64 s0, s29, v9
	v_add_nc_u32_e32 v0, s28, v9
	v_add3_u32 v3, v19, v20, 0x4200
	v_mov_b32_e32 v4, v18
	s_cmp_lg_u32 s30, 0
	s_mov_b32 s2, 0
	v_mul_lo_u32 v2, v0, s29
	s_cselect_b32 s3, -1, 0
	s_set_inst_prefetch_distance 0x1
	s_branch .LBB72_117
	.p2align	6
.LBB72_115:                             ;   in Loop: Header=BB72_117 Depth=1
	ds_load_2addr_b64 v[5:8], v3 offset1:1
	v_ashrrev_i32_e32 v1, 31, v0
	s_delay_alu instid0(VALU_DEP_1) | instskip(NEXT) | instid1(VALU_DEP_1)
	v_lshlrev_b64 v[0:1], 4, v[0:1]
	v_add_co_u32 v0, vcc_lo, s18, v0
	s_delay_alu instid0(VALU_DEP_2)
	v_add_co_ci_u32_e32 v1, vcc_lo, s19, v1, vcc_lo
	s_waitcnt lgkmcnt(0)
	global_store_b128 v[0:1], v[5:8], off
.LBB72_116:                             ;   in Loop: Header=BB72_117 Depth=1
	s_or_b32 exec_lo, exec_lo, s4
	v_add_nc_u32_e32 v4, 2, v4
	v_add_nc_u32_e32 v3, 32, v3
	s_delay_alu instid0(VALU_DEP_2) | instskip(SKIP_1) | instid1(SALU_CYCLE_1)
	v_cmp_le_i32_e32 vcc_lo, s29, v4
	s_or_b32 s2, vcc_lo, s2
	s_and_not1_b32 exec_lo, exec_lo, s2
	s_cbranch_execz .LBB72_122
.LBB72_117:                             ; =>This Inner Loop Header: Depth=1
	s_and_saveexec_b32 s4, s0
	s_cbranch_execz .LBB72_116
; %bb.118:                              ;   in Loop: Header=BB72_117 Depth=1
	s_and_b32 vcc_lo, exec_lo, s3
	s_cbranch_vccz .LBB72_120
; %bb.119:                              ;   in Loop: Header=BB72_117 Depth=1
	v_add_nc_u32_e32 v5, s28, v4
	s_delay_alu instid0(VALU_DEP_1)
	v_mad_u64_u32 v[0:1], null, v5, s29, v[9:10]
	s_cbranch_execnz .LBB72_115
	s_branch .LBB72_121
.LBB72_120:                             ;   in Loop: Header=BB72_117 Depth=1
                                        ; implicit-def: $vgpr0
.LBB72_121:                             ;   in Loop: Header=BB72_117 Depth=1
	v_add_nc_u32_e32 v0, v2, v4
	s_branch .LBB72_115
.LBB72_122:
	s_set_inst_prefetch_distance 0x2
	s_or_b32 exec_lo, exec_lo, s1
	v_or_b32_e32 v0, v18, v9
	s_delay_alu instid0(VALU_DEP_1)
	v_cmp_eq_u32_e64 s3, 0, v0
.LBB72_123:
	s_delay_alu instid0(VALU_DEP_1)
	s_and_saveexec_b32 s0, s3
	s_cbranch_execnz .LBB72_131
.LBB72_124:
	s_nop 0
	s_sendmsg sendmsg(MSG_DEALLOC_VGPRS)
	s_endpgm
.LBB72_125:
	s_cbranch_execz .LBB72_123
; %bb.126:
	v_or_b32_e32 v0, v18, v9
	s_mov_b32 s0, exec_lo
	s_delay_alu instid0(VALU_DEP_1)
	v_cmpx_eq_u32_e32 0, v0
	s_cbranch_execz .LBB72_130
; %bb.127:
	v_mbcnt_lo_u32_b32 v0, exec_lo, 0
	s_mov_b32 s1, exec_lo
	s_delay_alu instid0(VALU_DEP_1)
	v_cmpx_eq_u32_e32 0, v0
	s_cbranch_execz .LBB72_129
; %bb.128:
	s_add_i32 s2, s16, s17
	s_delay_alu instid0(SALU_CYCLE_1)
	v_dual_mov_b32 v0, 0 :: v_dual_mov_b32 v1, s2
	global_atomic_min_i32 v0, v1, s[10:11]
.LBB72_129:
	s_or_b32 exec_lo, exec_lo, s1
	s_delay_alu instid0(SALU_CYCLE_1)
	s_or_b32 s3, s3, exec_lo
.LBB72_130:
	s_or_b32 exec_lo, exec_lo, s0
	s_and_saveexec_b32 s0, s3
	s_cbranch_execz .LBB72_124
.LBB72_131:
	v_dual_mov_b32 v0, 0 :: v_dual_mov_b32 v1, 1
	s_add_u32 s0, s6, s8
	s_addc_u32 s1, s7, s9
	s_waitcnt_vscnt null, 0x0
	global_store_b32 v0, v1, s[0:1]
	s_nop 0
	s_sendmsg sendmsg(MSG_DEALLOC_VGPRS)
	s_endpgm
	.section	.rodata,"a",@progbits
	.p2align	6, 0x0
	.amdhsa_kernel _ZN9rocsparseL19bsric0_17_32_kernelILi64ELi64ELi32E21rocsparse_complex_numIdEEEv20rocsparse_direction_iiPKiS5_PT2_S5_PiS5_S8_21rocsparse_index_base_
		.amdhsa_group_segment_fixed_size 51456
		.amdhsa_private_segment_fixed_size 0
		.amdhsa_kernarg_size 76
		.amdhsa_user_sgpr_count 15
		.amdhsa_user_sgpr_dispatch_ptr 0
		.amdhsa_user_sgpr_queue_ptr 0
		.amdhsa_user_sgpr_kernarg_segment_ptr 1
		.amdhsa_user_sgpr_dispatch_id 0
		.amdhsa_user_sgpr_private_segment_size 0
		.amdhsa_wavefront_size32 1
		.amdhsa_uses_dynamic_stack 0
		.amdhsa_enable_private_segment 0
		.amdhsa_system_sgpr_workgroup_id_x 1
		.amdhsa_system_sgpr_workgroup_id_y 0
		.amdhsa_system_sgpr_workgroup_id_z 0
		.amdhsa_system_sgpr_workgroup_info 0
		.amdhsa_system_vgpr_workitem_id 1
		.amdhsa_next_free_vgpr 37
		.amdhsa_next_free_sgpr 45
		.amdhsa_reserve_vcc 1
		.amdhsa_float_round_mode_32 0
		.amdhsa_float_round_mode_16_64 0
		.amdhsa_float_denorm_mode_32 3
		.amdhsa_float_denorm_mode_16_64 3
		.amdhsa_dx10_clamp 1
		.amdhsa_ieee_mode 1
		.amdhsa_fp16_overflow 0
		.amdhsa_workgroup_processor_mode 1
		.amdhsa_memory_ordered 1
		.amdhsa_forward_progress 0
		.amdhsa_shared_vgpr_count 0
		.amdhsa_exception_fp_ieee_invalid_op 0
		.amdhsa_exception_fp_denorm_src 0
		.amdhsa_exception_fp_ieee_div_zero 0
		.amdhsa_exception_fp_ieee_overflow 0
		.amdhsa_exception_fp_ieee_underflow 0
		.amdhsa_exception_fp_ieee_inexact 0
		.amdhsa_exception_int_div_zero 0
	.end_amdhsa_kernel
	.section	.text._ZN9rocsparseL19bsric0_17_32_kernelILi64ELi64ELi32E21rocsparse_complex_numIdEEEv20rocsparse_direction_iiPKiS5_PT2_S5_PiS5_S8_21rocsparse_index_base_,"axG",@progbits,_ZN9rocsparseL19bsric0_17_32_kernelILi64ELi64ELi32E21rocsparse_complex_numIdEEEv20rocsparse_direction_iiPKiS5_PT2_S5_PiS5_S8_21rocsparse_index_base_,comdat
.Lfunc_end72:
	.size	_ZN9rocsparseL19bsric0_17_32_kernelILi64ELi64ELi32E21rocsparse_complex_numIdEEEv20rocsparse_direction_iiPKiS5_PT2_S5_PiS5_S8_21rocsparse_index_base_, .Lfunc_end72-_ZN9rocsparseL19bsric0_17_32_kernelILi64ELi64ELi32E21rocsparse_complex_numIdEEEv20rocsparse_direction_iiPKiS5_PT2_S5_PiS5_S8_21rocsparse_index_base_
                                        ; -- End function
	.section	.AMDGPU.csdata,"",@progbits
; Kernel info:
; codeLenInByte = 5268
; NumSgprs: 47
; NumVgprs: 37
; ScratchSize: 0
; MemoryBound: 1
; FloatMode: 240
; IeeeMode: 1
; LDSByteSize: 51456 bytes/workgroup (compile time only)
; SGPRBlocks: 5
; VGPRBlocks: 4
; NumSGPRsForWavesPerEU: 47
; NumVGPRsForWavesPerEU: 37
; Occupancy: 1
; WaveLimiterHint : 1
; COMPUTE_PGM_RSRC2:SCRATCH_EN: 0
; COMPUTE_PGM_RSRC2:USER_SGPR: 15
; COMPUTE_PGM_RSRC2:TRAP_HANDLER: 0
; COMPUTE_PGM_RSRC2:TGID_X_EN: 1
; COMPUTE_PGM_RSRC2:TGID_Y_EN: 0
; COMPUTE_PGM_RSRC2:TGID_Z_EN: 0
; COMPUTE_PGM_RSRC2:TIDIG_COMP_CNT: 1
	.section	.text._ZN9rocsparseL17bsric0_2_8_kernelILi64ELi128ELi8E21rocsparse_complex_numIdEEEv20rocsparse_direction_iiPKiS5_PT2_S5_PiS5_S8_21rocsparse_index_base_,"axG",@progbits,_ZN9rocsparseL17bsric0_2_8_kernelILi64ELi128ELi8E21rocsparse_complex_numIdEEEv20rocsparse_direction_iiPKiS5_PT2_S5_PiS5_S8_21rocsparse_index_base_,comdat
	.globl	_ZN9rocsparseL17bsric0_2_8_kernelILi64ELi128ELi8E21rocsparse_complex_numIdEEEv20rocsparse_direction_iiPKiS5_PT2_S5_PiS5_S8_21rocsparse_index_base_ ; -- Begin function _ZN9rocsparseL17bsric0_2_8_kernelILi64ELi128ELi8E21rocsparse_complex_numIdEEEv20rocsparse_direction_iiPKiS5_PT2_S5_PiS5_S8_21rocsparse_index_base_
	.p2align	8
	.type	_ZN9rocsparseL17bsric0_2_8_kernelILi64ELi128ELi8E21rocsparse_complex_numIdEEEv20rocsparse_direction_iiPKiS5_PT2_S5_PiS5_S8_21rocsparse_index_base_,@function
_ZN9rocsparseL17bsric0_2_8_kernelILi64ELi128ELi8E21rocsparse_complex_numIdEEEv20rocsparse_direction_iiPKiS5_PT2_S5_PiS5_S8_21rocsparse_index_base_: ; @_ZN9rocsparseL17bsric0_2_8_kernelILi64ELi128ELi8E21rocsparse_complex_numIdEEEv20rocsparse_direction_iiPKiS5_PT2_S5_PiS5_S8_21rocsparse_index_base_
; %bb.0:
	s_load_b256 s[4:11], s[0:1], 0x28
	s_mov_b32 s2, s15
	s_mov_b32 s3, 0
	v_and_b32_e32 v19, 0x3ff, v0
	s_lshl_b64 s[12:13], s[2:3], 2
	v_bfe_u32 v20, v0, 10, 10
	s_waitcnt lgkmcnt(0)
	s_add_u32 s8, s8, s12
	s_addc_u32 s9, s9, s13
	s_load_b32 s16, s[8:9], 0x0
	s_waitcnt lgkmcnt(0)
	s_ashr_i32 s17, s16, 31
	s_delay_alu instid0(SALU_CYCLE_1) | instskip(NEXT) | instid1(SALU_CYCLE_1)
	s_lshl_b64 s[8:9], s[16:17], 2
	s_add_u32 s12, s4, s8
	s_addc_u32 s13, s5, s9
	s_load_b32 s28, s[12:13], 0x0
	s_load_b32 s17, s[0:1], 0x48
	s_waitcnt lgkmcnt(0)
	s_cmp_lg_u32 s28, -1
	s_cbranch_scc0 .LBB73_82
; %bb.1:
	s_clause 0x1
	s_load_b128 s[12:15], s[0:1], 0x10
	s_load_b64 s[18:19], s[0:1], 0x20
	v_lshlrev_b32_e32 v0, 3, v20
	s_waitcnt lgkmcnt(0)
	s_add_u32 s2, s12, s8
	s_addc_u32 s3, s13, s9
	s_load_b32 s2, s[2:3], 0x0
	s_mov_b32 s3, exec_lo
	s_waitcnt lgkmcnt(0)
	s_sub_i32 s30, s2, s17
	s_delay_alu instid0(SALU_CYCLE_1) | instskip(NEXT) | instid1(VALU_DEP_1)
	v_add3_u32 v0, v0, v19, s30
	v_cmpx_ge_i32_e64 s28, v0
	s_cbranch_execz .LBB73_4
; %bb.2:
	v_ashrrev_i32_e32 v1, 31, v0
	v_lshlrev_b32_e32 v3, 5, v20
	v_lshlrev_b32_e32 v4, 2, v19
	s_mov_b32 s20, 0
	s_delay_alu instid0(VALU_DEP_3) | instskip(NEXT) | instid1(VALU_DEP_2)
	v_lshlrev_b64 v[1:2], 2, v[0:1]
	v_add3_u32 v3, v3, v4, 0x1600
	s_delay_alu instid0(VALU_DEP_2) | instskip(NEXT) | instid1(VALU_DEP_3)
	v_add_co_u32 v1, vcc_lo, s14, v1
	v_add_co_ci_u32_e32 v2, vcc_lo, s15, v2, vcc_lo
	.p2align	6
.LBB73_3:                               ; =>This Inner Loop Header: Depth=1
	global_load_b32 v4, v[1:2], off
	v_add_nc_u32_e32 v0, 64, v0
	v_add_co_u32 v1, vcc_lo, 0x100, v1
	v_add_co_ci_u32_e32 v2, vcc_lo, 0, v2, vcc_lo
	s_delay_alu instid0(VALU_DEP_3) | instskip(NEXT) | instid1(VALU_DEP_1)
	v_cmp_lt_i32_e64 s2, s28, v0
	s_or_b32 s20, s2, s20
	s_waitcnt vmcnt(0)
	v_subrev_nc_u32_e32 v4, s17, v4
	ds_store_b32 v3, v4
	v_add_nc_u32_e32 v3, 0x100, v3
	s_and_not1_b32 exec_lo, exec_lo, s20
	s_cbranch_execnz .LBB73_3
.LBB73_4:
	s_or_b32 exec_lo, exec_lo, s3
	s_clause 0x1
	s_load_b32 s31, s[0:1], 0x0
	s_load_b32 s29, s[0:1], 0x8
	v_mov_b32_e32 v0, 0
	v_lshlrev_b32_e32 v4, 4, v19
	s_cmp_ge_i32 s30, s28
	s_delay_alu instid0(VALU_DEP_2) | instskip(NEXT) | instid1(VALU_DEP_2)
	v_mov_b32_e32 v1, v0
	v_mad_u32_u24 v21, 0x90, v20, v4
	v_mov_b32_e32 v2, v0
	s_delay_alu instid0(VALU_DEP_2)
	v_dual_mov_b32 v3, v0 :: v_dual_add_nc_u32 v22, 0xd80, v21
	ds_store_b128 v21, v[0:3] offset:3456
	s_waitcnt lgkmcnt(0)
	buffer_gl0_inv
	s_cbranch_scc1 .LBB73_58
; %bb.5:
	s_movk_i32 s2, 0x900
	v_cmp_gt_i32_e64 s0, s29, v19
	v_cmp_gt_i32_e64 s1, s29, v20
	v_mad_u32_u24 v23, 0x90, v20, s2
	v_or_b32_e32 v1, v19, v20
	s_cmp_eq_u32 s31, 0
	v_mul_lo_u32 v25, v19, s29
	v_mul_lo_u32 v26, v20, s29
	s_cselect_b32 vcc_lo, -1, 0
	s_cmp_lg_u32 s31, 0
	v_dual_cndmask_b32 v9, v20, v19 :: v_dual_add_nc_u32 v24, v23, v4
	s_cselect_b32 s33, -1, 0
	s_and_b32 s34, s0, s1
	v_dual_cndmask_b32 v10, v19, v20 :: v_dual_add_nc_u32 v27, 0x480, v21
	v_cmp_ne_u32_e64 s2, 0, v1
	s_cmp_gt_i32 s29, 0
	s_mul_i32 s36, s29, s29
	s_cselect_b32 s35, -1, 0
	s_mov_b32 s20, s30
	s_branch .LBB73_8
.LBB73_6:                               ;   in Loop: Header=BB73_8 Depth=1
	s_or_b32 exec_lo, exec_lo, s3
	s_add_i32 s20, s20, 1
	s_waitcnt_vscnt null, 0x0
	buffer_gl1_inv
	buffer_gl0_inv
	s_cmp_ge_i32 s20, s28
	s_cselect_b32 s25, -1, 0
.LBB73_7:                               ;   in Loop: Header=BB73_8 Depth=1
	s_delay_alu instid0(SALU_CYCLE_1)
	s_and_b32 vcc_lo, exec_lo, s25
	s_cbranch_vccnz .LBB73_58
.LBB73_8:                               ; =>This Loop Header: Depth=1
                                        ;     Child Loop BB73_13 Depth 2
                                        ;     Child Loop BB73_24 Depth 2
	;; [unrolled: 1-line block ×3, first 2 shown]
                                        ;       Child Loop BB73_55 Depth 3
	s_ashr_i32 s21, s20, 31
	s_delay_alu instid0(SALU_CYCLE_1) | instskip(NEXT) | instid1(SALU_CYCLE_1)
	s_lshl_b64 s[22:23], s[20:21], 2
	s_add_u32 s22, s14, s22
	s_addc_u32 s23, s15, s23
	s_load_b32 s21, s[22:23], 0x0
	s_waitcnt lgkmcnt(0)
	s_sub_i32 s24, s21, s17
	s_delay_alu instid0(SALU_CYCLE_1) | instskip(NEXT) | instid1(SALU_CYCLE_1)
	s_ashr_i32 s25, s24, 31
	s_lshl_b64 s[22:23], s[24:25], 2
	s_mov_b32 s25, -1
	s_add_u32 s26, s4, s22
	s_addc_u32 s27, s5, s23
	s_load_b32 s3, s[26:27], 0x0
	s_waitcnt lgkmcnt(0)
	s_cmp_eq_u32 s3, -1
	s_cbranch_scc1 .LBB73_7
; %bb.9:                                ;   in Loop: Header=BB73_8 Depth=1
	v_mov_b32_e32 v1, 0
	v_mov_b32_e32 v2, 0
	s_add_u32 s26, s12, s22
	s_addc_u32 s27, s13, s23
	s_delay_alu instid0(VALU_DEP_1)
	v_dual_mov_b32 v4, v2 :: v_dual_mov_b32 v3, v1
	s_and_saveexec_b32 s25, s34
	s_cbranch_execz .LBB73_11
; %bb.10:                               ;   in Loop: Header=BB73_8 Depth=1
	v_mad_u64_u32 v[1:2], null, s20, s29, v[10:11]
	s_delay_alu instid0(VALU_DEP_1) | instskip(NEXT) | instid1(VALU_DEP_1)
	v_mad_u64_u32 v[2:3], null, v1, s29, v[9:10]
	v_ashrrev_i32_e32 v3, 31, v2
	s_delay_alu instid0(VALU_DEP_1) | instskip(NEXT) | instid1(VALU_DEP_1)
	v_lshlrev_b64 v[1:2], 4, v[2:3]
	v_add_co_u32 v1, vcc_lo, s18, v1
	s_delay_alu instid0(VALU_DEP_2)
	v_add_co_ci_u32_e32 v2, vcc_lo, s19, v2, vcc_lo
	global_load_b128 v[1:4], v[1:2], off
.LBB73_11:                              ;   in Loop: Header=BB73_8 Depth=1
	s_or_b32 exec_lo, exec_lo, s25
	s_load_b32 s25, s[26:27], 0x0
	ds_load_b32 v5, v0 offset:5632
	s_waitcnt vmcnt(0)
	ds_store_b128 v24, v[1:4]
	s_waitcnt lgkmcnt(0)
	s_sub_i32 s26, s25, s17
	v_cmp_ge_i32_e32 vcc_lo, s24, v5
	s_cmp_le_i32 s26, s3
	s_cselect_b32 s25, -1, 0
	s_delay_alu instid0(SALU_CYCLE_1) | instskip(NEXT) | instid1(SALU_CYCLE_1)
	s_and_b32 s25, s25, vcc_lo
	s_and_not1_b32 vcc_lo, exec_lo, s25
	s_mov_b32 s25, 0
	s_cbranch_vccnz .LBB73_23
; %bb.12:                               ;   in Loop: Header=BB73_8 Depth=1
	s_mov_b32 s37, 0
	s_mov_b32 s38, 0
.LBB73_13:                              ;   Parent Loop BB73_8 Depth=1
                                        ; =>  This Inner Loop Header: Depth=2
	s_ashr_i32 s27, s26, 31
                                        ; implicit-def: $sgpr39
	s_delay_alu instid0(SALU_CYCLE_1) | instskip(NEXT) | instid1(SALU_CYCLE_1)
	s_lshl_b64 s[40:41], s[26:27], 2
	s_add_u32 s40, s14, s40
	s_addc_u32 s41, s15, s41
	s_lshl_b32 s25, s38, 2
	s_delay_alu instid0(SALU_CYCLE_1)
	v_mov_b32_e32 v1, s25
	s_load_b32 s25, s[40:41], 0x0
	s_mov_b32 s41, -1
                                        ; implicit-def: $sgpr40
	ds_load_b32 v1, v1 offset:5632
	s_waitcnt lgkmcnt(0)
	s_sub_i32 s42, s25, s17
                                        ; implicit-def: $sgpr25
	s_delay_alu instid0(SALU_CYCLE_1)
	v_cmp_ge_i32_e32 vcc_lo, s42, v1
	v_readfirstlane_b32 s27, v1
	s_cbranch_vccz .LBB73_19
; %bb.14:                               ;   in Loop: Header=BB73_13 Depth=2
	s_delay_alu instid0(VALU_DEP_1)
	s_cmp_le_i32 s42, s27
                                        ; implicit-def: $sgpr25
                                        ; implicit-def: $sgpr40
                                        ; implicit-def: $sgpr39
	s_cbranch_scc0 .LBB73_16
; %bb.15:                               ;   in Loop: Header=BB73_13 Depth=2
	s_add_i32 s25, s38, s30
	s_lshl_b32 s39, s37, 2
	s_mul_i32 s25, s25, s36
	s_delay_alu instid0(SALU_CYCLE_1)
	v_dual_mov_b32 v1, s39 :: v_dual_mov_b32 v2, s25
	s_mul_i32 s39, s26, s36
	s_add_i32 s40, s26, 1
	v_mov_b32_e32 v3, s39
	s_add_i32 s39, s38, 1
	s_add_i32 s25, s37, 1
	s_mov_b32 s41, 0
	ds_store_2addr_stride64_b32 v1, v3, v2 offset0:18 offset1:20
.LBB73_16:                              ;   in Loop: Header=BB73_13 Depth=2
	s_and_not1_b32 vcc_lo, exec_lo, s41
	s_cbranch_vccnz .LBB73_18
; %bb.17:                               ;   in Loop: Header=BB73_13 Depth=2
	s_add_i32 s39, s38, 1
	s_mov_b32 s25, s37
	s_mov_b32 s40, s26
.LBB73_18:                              ;   in Loop: Header=BB73_13 Depth=2
	s_mov_b32 s41, 0
.LBB73_19:                              ;   in Loop: Header=BB73_13 Depth=2
	s_delay_alu instid0(SALU_CYCLE_1)
	s_and_not1_b32 vcc_lo, exec_lo, s41
	s_cbranch_vccnz .LBB73_21
; %bb.20:                               ;   in Loop: Header=BB73_13 Depth=2
	s_add_i32 s40, s26, 1
	s_mov_b32 s39, s38
	s_mov_b32 s25, s37
.LBB73_21:                              ;   in Loop: Header=BB73_13 Depth=2
	s_cmp_le_i32 s40, s3
	s_cselect_b32 s26, -1, 0
	s_cmp_le_i32 s27, s24
	s_cselect_b32 s27, -1, 0
	s_delay_alu instid0(SALU_CYCLE_1) | instskip(NEXT) | instid1(SALU_CYCLE_1)
	s_and_b32 s26, s26, s27
	s_and_b32 vcc_lo, exec_lo, s26
	s_cbranch_vccz .LBB73_23
; %bb.22:                               ;   in Loop: Header=BB73_13 Depth=2
	s_mov_b32 s37, s25
	s_mov_b32 s26, s40
	;; [unrolled: 1-line block ×3, first 2 shown]
	s_branch .LBB73_13
.LBB73_23:                              ;   in Loop: Header=BB73_8 Depth=1
	s_add_u32 s22, s6, s22
	s_addc_u32 s23, s7, s23
	s_waitcnt lgkmcnt(0)
	buffer_gl0_inv
.LBB73_24:                              ;   Parent Loop BB73_8 Depth=1
                                        ; =>  This Inner Loop Header: Depth=2
	global_load_b32 v1, v0, s[22:23] glc
	s_waitcnt vmcnt(0)
	v_cmp_eq_u32_e32 vcc_lo, 0, v1
	s_cbranch_vccnz .LBB73_24
; %bb.25:                               ;   in Loop: Header=BB73_8 Depth=1
	v_mov_b32_e32 v3, 0
	v_mov_b32_e32 v4, 0
	buffer_gl1_inv
	buffer_gl0_inv
	v_dual_mov_b32 v6, v4 :: v_dual_mov_b32 v5, v3
	v_dual_mov_b32 v8, v4 :: v_dual_mov_b32 v7, v3
	s_and_saveexec_b32 s22, s34
	s_cbranch_execz .LBB73_27
; %bb.26:                               ;   in Loop: Header=BB73_8 Depth=1
	v_mad_u64_u32 v[1:2], null, s3, s29, v[10:11]
	s_delay_alu instid0(VALU_DEP_1) | instskip(NEXT) | instid1(VALU_DEP_1)
	v_mad_u64_u32 v[5:6], null, v1, s29, v[9:10]
	v_ashrrev_i32_e32 v6, 31, v5
	s_delay_alu instid0(VALU_DEP_1) | instskip(NEXT) | instid1(VALU_DEP_1)
	v_lshlrev_b64 v[1:2], 4, v[5:6]
	v_add_co_u32 v1, vcc_lo, s18, v1
	s_delay_alu instid0(VALU_DEP_2)
	v_add_co_ci_u32_e32 v2, vcc_lo, s19, v2, vcc_lo
	global_load_b128 v[5:8], v[1:2], off
.LBB73_27:                              ;   in Loop: Header=BB73_8 Depth=1
	s_or_b32 exec_lo, exec_lo, s22
	v_dual_mov_b32 v1, v3 :: v_dual_mov_b32 v2, v4
	s_cmp_lt_i32 s25, 2
	s_waitcnt vmcnt(0)
	ds_store_b128 v21, v[5:8]
	s_waitcnt lgkmcnt(0)
	buffer_gl0_inv
	s_cbranch_scc1 .LBB73_46
; %bb.28:                               ;   in Loop: Header=BB73_8 Depth=1
	v_mov_b32_e32 v11, 0
	v_mov_b32_e32 v12, 0
	s_add_i32 s3, s25, -2
	s_mov_b32 s22, 0
	s_delay_alu instid0(VALU_DEP_1)
	v_dual_mov_b32 v16, v12 :: v_dual_mov_b32 v15, v11
	s_and_not1_b32 vcc_lo, exec_lo, s35
	s_cbranch_vccnz .LBB73_43
.LBB73_29:                              ;   in Loop: Header=BB73_8 Depth=1
	s_lshl_b32 s23, s22, 2
	s_delay_alu instid0(SALU_CYCLE_1)
	v_mov_b32_e32 v1, s23
	s_mov_b32 s23, 0
	ds_load_2addr_stride64_b32 v[1:2], v1 offset0:18 offset1:20
	s_waitcnt lgkmcnt(0)
	v_add_nc_u32_e32 v28, v1, v25
	v_add_nc_u32_e32 v29, v2, v26
	;; [unrolled: 1-line block ×4, first 2 shown]
	s_and_b32 vcc_lo, exec_lo, s33
	s_cbranch_vccz .LBB73_35
.LBB73_30:                              ;   in Loop: Header=BB73_8 Depth=1
	v_mov_b32_e32 v1, 0
	v_mov_b32_e32 v2, 0
	s_delay_alu instid0(VALU_DEP_1)
	v_dual_mov_b32 v6, v2 :: v_dual_mov_b32 v5, v1
	v_dual_mov_b32 v8, v2 :: v_dual_mov_b32 v7, v1
	s_and_saveexec_b32 s24, s0
	s_cbranch_execz .LBB73_32
; %bb.31:                               ;   in Loop: Header=BB73_8 Depth=1
	v_ashrrev_i32_e32 v18, 31, v17
	s_delay_alu instid0(VALU_DEP_1) | instskip(NEXT) | instid1(VALU_DEP_1)
	v_lshlrev_b64 v[3:4], 4, v[17:18]
	v_add_co_u32 v3, vcc_lo, s18, v3
	s_delay_alu instid0(VALU_DEP_2)
	v_add_co_ci_u32_e32 v4, vcc_lo, s19, v4, vcc_lo
	global_load_b128 v[5:8], v[3:4], off
.LBB73_32:                              ;   in Loop: Header=BB73_8 Depth=1
	s_or_b32 exec_lo, exec_lo, s24
	v_dual_mov_b32 v4, v2 :: v_dual_mov_b32 v3, v1
	s_and_saveexec_b32 s24, s1
	s_cbranch_execz .LBB73_34
; %bb.33:                               ;   in Loop: Header=BB73_8 Depth=1
	v_ashrrev_i32_e32 v14, 31, v13
	s_delay_alu instid0(VALU_DEP_1) | instskip(NEXT) | instid1(VALU_DEP_1)
	v_lshlrev_b64 v[1:2], 4, v[13:14]
	v_add_co_u32 v1, vcc_lo, s18, v1
	s_delay_alu instid0(VALU_DEP_2)
	v_add_co_ci_u32_e32 v2, vcc_lo, s19, v2, vcc_lo
	global_load_b128 v[1:4], v[1:2], off
.LBB73_34:                              ;   in Loop: Header=BB73_8 Depth=1
	s_or_b32 exec_lo, exec_lo, s24
	s_waitcnt vmcnt(0)
	v_fma_f64 v[30:31], v[5:6], v[1:2], v[15:16]
	v_fma_f64 v[32:33], v[7:8], v[1:2], v[11:12]
	s_delay_alu instid0(VALU_DEP_2) | instskip(NEXT) | instid1(VALU_DEP_2)
	v_fma_f64 v[1:2], v[7:8], v[3:4], v[30:31]
	v_fma_f64 v[3:4], v[5:6], -v[3:4], v[32:33]
	s_branch .LBB73_41
.LBB73_35:                              ;   in Loop: Header=BB73_8 Depth=1
                                        ; implicit-def: $vgpr3_vgpr4
	s_cbranch_execz .LBB73_41
; %bb.36:                               ;   in Loop: Header=BB73_8 Depth=1
	v_mov_b32_e32 v1, 0
	v_mov_b32_e32 v2, 0
	s_delay_alu instid0(VALU_DEP_1)
	v_dual_mov_b32 v6, v2 :: v_dual_mov_b32 v5, v1
	v_dual_mov_b32 v8, v2 :: v_dual_mov_b32 v7, v1
	s_and_saveexec_b32 s24, s0
	s_cbranch_execz .LBB73_38
; %bb.37:                               ;   in Loop: Header=BB73_8 Depth=1
	v_add_nc_u32_e32 v3, s23, v28
	s_delay_alu instid0(VALU_DEP_1) | instskip(NEXT) | instid1(VALU_DEP_1)
	v_ashrrev_i32_e32 v4, 31, v3
	v_lshlrev_b64 v[3:4], 4, v[3:4]
	s_delay_alu instid0(VALU_DEP_1) | instskip(NEXT) | instid1(VALU_DEP_2)
	v_add_co_u32 v3, vcc_lo, s18, v3
	v_add_co_ci_u32_e32 v4, vcc_lo, s19, v4, vcc_lo
	global_load_b128 v[5:8], v[3:4], off
.LBB73_38:                              ;   in Loop: Header=BB73_8 Depth=1
	s_or_b32 exec_lo, exec_lo, s24
	v_dual_mov_b32 v4, v2 :: v_dual_mov_b32 v3, v1
	s_and_saveexec_b32 s24, s1
	s_cbranch_execz .LBB73_40
; %bb.39:                               ;   in Loop: Header=BB73_8 Depth=1
	v_add_nc_u32_e32 v1, s23, v29
	s_delay_alu instid0(VALU_DEP_1) | instskip(NEXT) | instid1(VALU_DEP_1)
	v_ashrrev_i32_e32 v2, 31, v1
	v_lshlrev_b64 v[1:2], 4, v[1:2]
	s_delay_alu instid0(VALU_DEP_1) | instskip(NEXT) | instid1(VALU_DEP_2)
	v_add_co_u32 v1, vcc_lo, s18, v1
	v_add_co_ci_u32_e32 v2, vcc_lo, s19, v2, vcc_lo
	global_load_b128 v[1:4], v[1:2], off
.LBB73_40:                              ;   in Loop: Header=BB73_8 Depth=1
	s_or_b32 exec_lo, exec_lo, s24
	s_waitcnt vmcnt(0)
	v_fma_f64 v[14:15], v[5:6], v[1:2], v[15:16]
	v_fma_f64 v[11:12], v[7:8], v[1:2], v[11:12]
	s_delay_alu instid0(VALU_DEP_2) | instskip(NEXT) | instid1(VALU_DEP_2)
	v_fma_f64 v[1:2], v[7:8], v[3:4], v[14:15]
	v_fma_f64 v[3:4], v[5:6], -v[3:4], v[11:12]
.LBB73_41:                              ;   in Loop: Header=BB73_8 Depth=1
	v_add_nc_u32_e32 v13, s29, v13
	v_add_nc_u32_e32 v17, s29, v17
	s_add_i32 s23, s23, 1
	s_delay_alu instid0(SALU_CYCLE_1)
	s_cmp_eq_u32 s29, s23
	s_cbranch_scc1 .LBB73_44
; %bb.42:                               ;   in Loop: Header=BB73_8 Depth=1
	s_delay_alu instid0(VALU_DEP_3)
	v_dual_mov_b32 v12, v4 :: v_dual_mov_b32 v11, v3
	v_dual_mov_b32 v16, v2 :: v_dual_mov_b32 v15, v1
	s_and_b32 vcc_lo, exec_lo, s33
	s_cbranch_vccz .LBB73_35
	s_branch .LBB73_30
.LBB73_43:                              ;   in Loop: Header=BB73_8 Depth=1
	v_dual_mov_b32 v3, v11 :: v_dual_mov_b32 v4, v12
	s_delay_alu instid0(VALU_DEP_2)
	v_dual_mov_b32 v1, v15 :: v_dual_mov_b32 v2, v16
.LBB73_44:                              ;   in Loop: Header=BB73_8 Depth=1
	s_add_i32 s23, s22, 1
	s_cmp_eq_u32 s22, s3
	s_cbranch_scc1 .LBB73_46
; %bb.45:                               ;   in Loop: Header=BB73_8 Depth=1
	s_delay_alu instid0(VALU_DEP_2) | instskip(NEXT) | instid1(VALU_DEP_2)
	v_dual_mov_b32 v12, v4 :: v_dual_mov_b32 v11, v3
	v_dual_mov_b32 v16, v2 :: v_dual_mov_b32 v15, v1
	s_mov_b32 s22, s23
	s_and_not1_b32 vcc_lo, exec_lo, s35
	s_cbranch_vccz .LBB73_29
	s_branch .LBB73_43
.LBB73_46:                              ;   in Loop: Header=BB73_8 Depth=1
	s_and_not1_b32 vcc_lo, exec_lo, s35
	ds_store_b128 v27, v[1:4]
	s_waitcnt lgkmcnt(0)
	buffer_gl0_inv
	s_cbranch_vccnz .LBB73_56
; %bb.47:                               ;   in Loop: Header=BB73_8 Depth=1
	s_mov_b32 s22, 0
	s_mov_b32 s23, 0
	s_branch .LBB73_49
.LBB73_48:                              ;   in Loop: Header=BB73_49 Depth=2
	v_mul_f64 v[16:17], v[11:12], v[11:12]
	s_waitcnt lgkmcnt(0)
	s_delay_alu instid0(VALU_DEP_2) | instskip(NEXT) | instid1(VALU_DEP_4)
	v_add_f64 v[3:4], v[3:4], -v[7:8]
	v_add_f64 v[1:2], v[1:2], -v[5:6]
	v_add_nc_u32_e32 v15, 0x900, v15
	s_addk_i32 s22, 0x90
	s_delay_alu instid0(VALU_DEP_4) | instskip(NEXT) | instid1(VALU_DEP_4)
	v_fma_f64 v[16:17], v[13:14], v[13:14], v[16:17]
	v_mul_f64 v[5:6], v[11:12], v[3:4]
	s_delay_alu instid0(VALU_DEP_4) | instskip(NEXT) | instid1(VALU_DEP_3)
	v_mul_f64 v[11:12], v[11:12], -v[1:2]
	v_div_scale_f64 v[28:29], null, v[16:17], v[16:17], 1.0
	v_div_scale_f64 v[34:35], vcc_lo, 1.0, v[16:17], 1.0
	s_delay_alu instid0(VALU_DEP_4) | instskip(NEXT) | instid1(VALU_DEP_4)
	v_fma_f64 v[1:2], v[1:2], v[13:14], v[5:6]
	v_fma_f64 v[3:4], v[3:4], v[13:14], v[11:12]
	s_delay_alu instid0(VALU_DEP_4) | instskip(SKIP_2) | instid1(VALU_DEP_1)
	v_rcp_f64_e32 v[30:31], v[28:29]
	s_waitcnt_depctr 0xfff
	v_fma_f64 v[32:33], -v[28:29], v[30:31], 1.0
	v_fma_f64 v[30:31], v[30:31], v[32:33], v[30:31]
	s_delay_alu instid0(VALU_DEP_1) | instskip(NEXT) | instid1(VALU_DEP_1)
	v_fma_f64 v[32:33], -v[28:29], v[30:31], 1.0
	v_fma_f64 v[30:31], v[30:31], v[32:33], v[30:31]
	s_delay_alu instid0(VALU_DEP_1) | instskip(NEXT) | instid1(VALU_DEP_1)
	v_mul_f64 v[32:33], v[34:35], v[30:31]
	v_fma_f64 v[7:8], -v[28:29], v[32:33], v[34:35]
	s_delay_alu instid0(VALU_DEP_1) | instskip(NEXT) | instid1(VALU_DEP_1)
	v_div_fmas_f64 v[7:8], v[7:8], v[30:31], v[32:33]
	v_div_fixup_f64 v[5:6], v[7:8], v[16:17], 1.0
	s_delay_alu instid0(VALU_DEP_1) | instskip(SKIP_2) | instid1(VALU_DEP_1)
	v_mul_f64 v[1:2], v[5:6], v[1:2]
	v_mul_f64 v[3:4], v[5:6], v[3:4]
	v_mul_u32_u24_e32 v5, 0x90, v19
	v_lshl_add_u32 v5, s23, 4, v5
	s_add_i32 s23, s23, 1
	s_delay_alu instid0(SALU_CYCLE_1)
	s_cmp_eq_u32 s23, s29
	ds_store_b128 v15, v[1:4]
	s_waitcnt lgkmcnt(0)
	s_waitcnt_vscnt null, 0x0
	buffer_gl0_inv
	ds_load_b128 v[5:8], v5 offset:2304
	ds_load_b128 v[11:14], v22
	s_waitcnt lgkmcnt(0)
	v_fma_f64 v[11:12], v[1:2], v[5:6], v[11:12]
	v_fma_f64 v[5:6], v[3:4], v[5:6], v[13:14]
	s_delay_alu instid0(VALU_DEP_2) | instskip(NEXT) | instid1(VALU_DEP_2)
	v_fma_f64 v[3:4], v[3:4], v[7:8], v[11:12]
	v_fma_f64 v[5:6], v[1:2], -v[7:8], v[5:6]
	ds_store_b128 v22, v[3:6]
	s_waitcnt lgkmcnt(0)
	buffer_gl0_inv
	s_cbranch_scc1 .LBB73_56
.LBB73_49:                              ;   Parent Loop BB73_8 Depth=1
                                        ; =>  This Loop Header: Depth=2
                                        ;       Child Loop BB73_55 Depth 3
	s_lshl_b32 s24, s23, 4
	s_mul_i32 s3, s23, 0x90
	v_mad_u32_u24 v15, 0x90, v20, s24
	s_add_i32 s3, s24, s3
	s_delay_alu instid0(SALU_CYCLE_1)
	v_mov_b32_e32 v1, s3
	ds_load_b128 v[5:8], v1
	ds_load_b128 v[1:4], v15 offset:2304
	s_waitcnt lgkmcnt(1)
	v_cmp_neq_f64_e32 vcc_lo, 0, v[5:6]
	v_cmp_neq_f64_e64 s3, 0, v[7:8]
	s_delay_alu instid0(VALU_DEP_1) | instskip(SKIP_4) | instid1(SALU_CYCLE_1)
	s_or_b32 vcc_lo, vcc_lo, s3
	v_dual_cndmask_b32 v12, 0, v8 :: v_dual_cndmask_b32 v11, 0, v7
	v_cndmask_b32_e32 v14, 0x3ff00000, v6, vcc_lo
	v_cndmask_b32_e32 v13, 0, v5, vcc_lo
	s_or_b32 s3, vcc_lo, s2
	s_xor_b32 s24, s3, -1
	s_delay_alu instid0(SALU_CYCLE_1)
	s_and_saveexec_b32 s3, s24
	s_cbranch_execz .LBB73_53
; %bb.50:                               ;   in Loop: Header=BB73_49 Depth=2
	v_mbcnt_lo_u32_b32 v5, exec_lo, 0
	s_mov_b32 s24, exec_lo
	s_delay_alu instid0(VALU_DEP_1)
	v_cmpx_eq_u32_e32 0, v5
	s_cbranch_execz .LBB73_52
; %bb.51:                               ;   in Loop: Header=BB73_49 Depth=2
	v_mov_b32_e32 v5, s21
	global_atomic_min_i32 v0, v5, s[10:11]
.LBB73_52:                              ;   in Loop: Header=BB73_49 Depth=2
	s_or_b32 exec_lo, exec_lo, s24
	v_mov_b32_e32 v11, 0
	v_dual_mov_b32 v12, 0 :: v_dual_mov_b32 v13, 0
	v_mov_b32_e32 v14, 0x3ff00000
.LBB73_53:                              ;   in Loop: Header=BB73_49 Depth=2
	s_or_b32 exec_lo, exec_lo, s3
	v_mul_u32_u24_e32 v5, 0x90, v20
	s_cmp_eq_u32 s23, 0
	s_delay_alu instid0(VALU_DEP_1)
	v_lshl_add_u32 v5, s23, 4, v5
	ds_load_b128 v[5:8], v5 offset:1152
	s_cbranch_scc1 .LBB73_48
; %bb.54:                               ;   in Loop: Header=BB73_49 Depth=2
	v_mov_b32_e32 v16, v23
	s_mov_b32 s3, 0
	s_mov_b32 s24, s22
	.p2align	6
.LBB73_55:                              ;   Parent Loop BB73_8 Depth=1
                                        ;     Parent Loop BB73_49 Depth=2
                                        ; =>    This Inner Loop Header: Depth=3
	s_delay_alu instid0(SALU_CYCLE_1)
	v_mov_b32_e32 v17, s24
	s_add_i32 s3, s3, 1
	s_add_i32 s24, s24, 16
	s_cmp_ge_u32 s3, s23
	ds_load_b128 v[28:31], v16
	ds_load_b128 v[32:35], v17
	v_add_nc_u32_e32 v16, 16, v16
	s_waitcnt lgkmcnt(0)
	v_fma_f64 v[5:6], v[32:33], v[28:29], v[5:6]
	v_fma_f64 v[7:8], v[34:35], v[28:29], v[7:8]
	s_delay_alu instid0(VALU_DEP_2) | instskip(NEXT) | instid1(VALU_DEP_2)
	v_fma_f64 v[5:6], v[34:35], v[30:31], v[5:6]
	v_fma_f64 v[7:8], v[32:33], -v[30:31], v[7:8]
	s_cbranch_scc0 .LBB73_55
	s_branch .LBB73_48
.LBB73_56:                              ;   in Loop: Header=BB73_8 Depth=1
	s_and_saveexec_b32 s3, s34
	s_cbranch_execz .LBB73_6
; %bb.57:                               ;   in Loop: Header=BB73_8 Depth=1
	v_mad_u64_u32 v[1:2], null, s20, s29, v[10:11]
	s_delay_alu instid0(VALU_DEP_1) | instskip(SKIP_2) | instid1(VALU_DEP_1)
	v_mad_u64_u32 v[5:6], null, v1, s29, v[9:10]
	ds_load_2addr_b64 v[1:4], v24 offset1:1
	v_ashrrev_i32_e32 v6, 31, v5
	v_lshlrev_b64 v[5:6], 4, v[5:6]
	s_delay_alu instid0(VALU_DEP_1) | instskip(NEXT) | instid1(VALU_DEP_2)
	v_add_co_u32 v5, vcc_lo, s18, v5
	v_add_co_ci_u32_e32 v6, vcc_lo, s19, v6, vcc_lo
	s_waitcnt lgkmcnt(0)
	global_store_b128 v[5:6], v[1:4], off
	s_branch .LBB73_6
.LBB73_58:
	s_cmp_eq_u32 s31, 0
	v_max_i32_e32 v2, v19, v20
	s_cselect_b32 vcc_lo, -1, 0
	v_dual_mov_b32 v0, 0 :: v_dual_cndmask_b32 v5, v19, v20
	v_dual_mov_b32 v1, 0 :: v_dual_cndmask_b32 v4, v20, v19
	s_delay_alu instid0(VALU_DEP_3) | instskip(NEXT) | instid1(VALU_DEP_2)
	v_cmp_gt_i32_e64 s0, s29, v2
	v_dual_mov_b32 v3, v1 :: v_dual_mov_b32 v2, v0
	s_delay_alu instid0(VALU_DEP_2)
	s_and_saveexec_b32 s1, s0
	s_cbranch_execz .LBB73_60
; %bb.59:
	v_mad_u64_u32 v[0:1], null, s28, s29, v[5:6]
	s_delay_alu instid0(VALU_DEP_1) | instskip(NEXT) | instid1(VALU_DEP_1)
	v_mad_u64_u32 v[1:2], null, v0, s29, v[4:5]
	v_ashrrev_i32_e32 v2, 31, v1
	s_delay_alu instid0(VALU_DEP_1) | instskip(NEXT) | instid1(VALU_DEP_1)
	v_lshlrev_b64 v[0:1], 4, v[1:2]
	v_add_co_u32 v0, vcc_lo, s18, v0
	s_delay_alu instid0(VALU_DEP_2)
	v_add_co_ci_u32_e32 v1, vcc_lo, s19, v1, vcc_lo
	global_load_b128 v[0:3], v[0:1], off
.LBB73_60:
	s_or_b32 exec_lo, exec_lo, s1
	s_movk_i32 s3, 0x900
	s_cmp_lt_i32 s29, 1
	s_waitcnt vmcnt(0)
	ds_store_b128 v21, v[0:3] offset:2304
	s_waitcnt lgkmcnt(0)
	buffer_gl0_inv
	s_cbranch_scc1 .LBB73_77
; %bb.61:
	v_or_b32_e32 v0, v19, v20
	v_lshlrev_b32_e32 v1, 4, v20
	v_mad_u32_u24 v12, 0x90, v20, s3
	v_mul_u32_u24_e32 v2, 0x90, v20
	v_mad_u32_u24 v15, 0x90, v19, s3
	v_cmp_ne_u32_e64 s1, 0, v0
	s_mov_b32 s4, 0
	s_add_i32 s5, s16, s17
	v_add3_u32 v14, v2, v1, 0xd80
	v_dual_mov_b32 v2, 0 :: v_dual_add_nc_u32 v13, v12, v1
	s_branch .LBB73_63
.LBB73_62:                              ;   in Loop: Header=BB73_63 Depth=1
	s_or_b32 exec_lo, exec_lo, s2
	v_add_nc_u32_e32 v12, 16, v12
	v_add_nc_u32_e32 v15, 16, v15
	s_add_i32 s4, s4, 1
	s_addk_i32 s3, 0xa0
	s_cmp_eq_u32 s29, s4
	s_waitcnt lgkmcnt(0)
	s_waitcnt_vscnt null, 0x0
	buffer_gl0_inv
	s_cbranch_scc1 .LBB73_77
.LBB73_63:                              ; =>This Inner Loop Header: Depth=1
	s_mov_b32 s12, exec_lo
	v_cmpx_eq_u32_e64 s4, v20
	s_cbranch_execz .LBB73_71
; %bb.64:                               ;   in Loop: Header=BB73_63 Depth=1
	ds_load_b128 v[6:9], v14
	ds_load_b128 v[23:26], v13
	s_waitcnt lgkmcnt(0)
	v_add_f64 v[0:1], v[23:24], -v[6:7]
	v_add_f64 v[10:11], v[25:26], -v[8:9]
                                        ; implicit-def: $vgpr8_vgpr9
	s_delay_alu instid0(VALU_DEP_2) | instskip(NEXT) | instid1(VALU_DEP_2)
	v_cmp_gt_f64_e32 vcc_lo, 0, v[0:1]
	v_cmp_gt_f64_e64 s2, 0, v[10:11]
	v_xor_b32_e32 v3, 0x80000000, v1
	v_xor_b32_e32 v6, 0x80000000, v11
	s_delay_alu instid0(VALU_DEP_2) | instskip(NEXT) | instid1(VALU_DEP_2)
	v_dual_cndmask_b32 v1, v1, v3 :: v_dual_cndmask_b32 v0, v0, v0
	v_cndmask_b32_e64 v7, v11, v6, s2
	v_cndmask_b32_e64 v6, v10, v10, s2
	s_mov_b32 s2, exec_lo
	s_delay_alu instid0(VALU_DEP_1)
	v_cmpx_ngt_f64_e32 v[0:1], v[6:7]
	s_xor_b32 s2, exec_lo, s2
	s_cbranch_execz .LBB73_68
; %bb.65:                               ;   in Loop: Header=BB73_63 Depth=1
	v_mov_b32_e32 v8, 0
	v_mov_b32_e32 v9, 0
	s_mov_b32 s13, exec_lo
	v_cmpx_neq_f64_e32 0, v[10:11]
	s_cbranch_execz .LBB73_67
; %bb.66:                               ;   in Loop: Header=BB73_63 Depth=1
	v_div_scale_f64 v[8:9], null, v[6:7], v[6:7], v[0:1]
	v_div_scale_f64 v[23:24], vcc_lo, v[0:1], v[6:7], v[0:1]
	s_delay_alu instid0(VALU_DEP_2) | instskip(SKIP_2) | instid1(VALU_DEP_1)
	v_rcp_f64_e32 v[10:11], v[8:9]
	s_waitcnt_depctr 0xfff
	v_fma_f64 v[16:17], -v[8:9], v[10:11], 1.0
	v_fma_f64 v[10:11], v[10:11], v[16:17], v[10:11]
	s_delay_alu instid0(VALU_DEP_1) | instskip(NEXT) | instid1(VALU_DEP_1)
	v_fma_f64 v[16:17], -v[8:9], v[10:11], 1.0
	v_fma_f64 v[10:11], v[10:11], v[16:17], v[10:11]
	s_delay_alu instid0(VALU_DEP_1) | instskip(NEXT) | instid1(VALU_DEP_1)
	v_mul_f64 v[16:17], v[23:24], v[10:11]
	v_fma_f64 v[8:9], -v[8:9], v[16:17], v[23:24]
	s_delay_alu instid0(VALU_DEP_1) | instskip(NEXT) | instid1(VALU_DEP_1)
	v_div_fmas_f64 v[8:9], v[8:9], v[10:11], v[16:17]
	v_div_fixup_f64 v[0:1], v[8:9], v[6:7], v[0:1]
	s_delay_alu instid0(VALU_DEP_1) | instskip(NEXT) | instid1(VALU_DEP_1)
	v_fma_f64 v[0:1], v[0:1], v[0:1], 1.0
	v_cmp_gt_f64_e32 vcc_lo, 0x10000000, v[0:1]
	v_cndmask_b32_e64 v3, 0, 1, vcc_lo
	s_delay_alu instid0(VALU_DEP_1) | instskip(NEXT) | instid1(VALU_DEP_1)
	v_lshlrev_b32_e32 v3, 8, v3
	v_ldexp_f64 v[0:1], v[0:1], v3
	v_cndmask_b32_e64 v3, 0, 0xffffff80, vcc_lo
	s_delay_alu instid0(VALU_DEP_2) | instskip(SKIP_4) | instid1(VALU_DEP_1)
	v_rsq_f64_e32 v[8:9], v[0:1]
	v_cmp_class_f64_e64 vcc_lo, v[0:1], 0x260
	s_waitcnt_depctr 0xfff
	v_mul_f64 v[10:11], v[0:1], v[8:9]
	v_mul_f64 v[8:9], v[8:9], 0.5
	v_fma_f64 v[16:17], -v[8:9], v[10:11], 0.5
	s_delay_alu instid0(VALU_DEP_1) | instskip(SKIP_1) | instid1(VALU_DEP_2)
	v_fma_f64 v[10:11], v[10:11], v[16:17], v[10:11]
	v_fma_f64 v[8:9], v[8:9], v[16:17], v[8:9]
	v_fma_f64 v[16:17], -v[10:11], v[10:11], v[0:1]
	s_delay_alu instid0(VALU_DEP_1) | instskip(NEXT) | instid1(VALU_DEP_1)
	v_fma_f64 v[10:11], v[16:17], v[8:9], v[10:11]
	v_fma_f64 v[16:17], -v[10:11], v[10:11], v[0:1]
	s_delay_alu instid0(VALU_DEP_1) | instskip(NEXT) | instid1(VALU_DEP_1)
	v_fma_f64 v[8:9], v[16:17], v[8:9], v[10:11]
	v_ldexp_f64 v[8:9], v[8:9], v3
	s_delay_alu instid0(VALU_DEP_1) | instskip(NEXT) | instid1(VALU_DEP_1)
	v_dual_cndmask_b32 v0, v8, v0 :: v_dual_cndmask_b32 v1, v9, v1
	v_mul_f64 v[8:9], v[6:7], v[0:1]
.LBB73_67:                              ;   in Loop: Header=BB73_63 Depth=1
	s_or_b32 exec_lo, exec_lo, s13
                                        ; implicit-def: $vgpr0_vgpr1
                                        ; implicit-def: $vgpr6_vgpr7
.LBB73_68:                              ;   in Loop: Header=BB73_63 Depth=1
	s_and_not1_saveexec_b32 s2, s2
	s_cbranch_execz .LBB73_70
; %bb.69:                               ;   in Loop: Header=BB73_63 Depth=1
	v_div_scale_f64 v[8:9], null, v[0:1], v[0:1], v[6:7]
	v_div_scale_f64 v[23:24], vcc_lo, v[6:7], v[0:1], v[6:7]
	s_delay_alu instid0(VALU_DEP_2) | instskip(SKIP_2) | instid1(VALU_DEP_1)
	v_rcp_f64_e32 v[10:11], v[8:9]
	s_waitcnt_depctr 0xfff
	v_fma_f64 v[16:17], -v[8:9], v[10:11], 1.0
	v_fma_f64 v[10:11], v[10:11], v[16:17], v[10:11]
	s_delay_alu instid0(VALU_DEP_1) | instskip(NEXT) | instid1(VALU_DEP_1)
	v_fma_f64 v[16:17], -v[8:9], v[10:11], 1.0
	v_fma_f64 v[10:11], v[10:11], v[16:17], v[10:11]
	s_delay_alu instid0(VALU_DEP_1) | instskip(NEXT) | instid1(VALU_DEP_1)
	v_mul_f64 v[16:17], v[23:24], v[10:11]
	v_fma_f64 v[8:9], -v[8:9], v[16:17], v[23:24]
	s_delay_alu instid0(VALU_DEP_1) | instskip(NEXT) | instid1(VALU_DEP_1)
	v_div_fmas_f64 v[8:9], v[8:9], v[10:11], v[16:17]
	v_div_fixup_f64 v[6:7], v[8:9], v[0:1], v[6:7]
	s_delay_alu instid0(VALU_DEP_1) | instskip(NEXT) | instid1(VALU_DEP_1)
	v_fma_f64 v[6:7], v[6:7], v[6:7], 1.0
	v_cmp_gt_f64_e32 vcc_lo, 0x10000000, v[6:7]
	v_cndmask_b32_e64 v3, 0, 1, vcc_lo
	s_delay_alu instid0(VALU_DEP_1) | instskip(NEXT) | instid1(VALU_DEP_1)
	v_lshlrev_b32_e32 v3, 8, v3
	v_ldexp_f64 v[6:7], v[6:7], v3
	v_cndmask_b32_e64 v3, 0, 0xffffff80, vcc_lo
	s_delay_alu instid0(VALU_DEP_2) | instskip(SKIP_4) | instid1(VALU_DEP_1)
	v_rsq_f64_e32 v[8:9], v[6:7]
	v_cmp_class_f64_e64 vcc_lo, v[6:7], 0x260
	s_waitcnt_depctr 0xfff
	v_mul_f64 v[10:11], v[6:7], v[8:9]
	v_mul_f64 v[8:9], v[8:9], 0.5
	v_fma_f64 v[16:17], -v[8:9], v[10:11], 0.5
	s_delay_alu instid0(VALU_DEP_1) | instskip(SKIP_1) | instid1(VALU_DEP_2)
	v_fma_f64 v[10:11], v[10:11], v[16:17], v[10:11]
	v_fma_f64 v[8:9], v[8:9], v[16:17], v[8:9]
	v_fma_f64 v[16:17], -v[10:11], v[10:11], v[6:7]
	s_delay_alu instid0(VALU_DEP_1) | instskip(NEXT) | instid1(VALU_DEP_1)
	v_fma_f64 v[10:11], v[16:17], v[8:9], v[10:11]
	v_fma_f64 v[16:17], -v[10:11], v[10:11], v[6:7]
	s_delay_alu instid0(VALU_DEP_1) | instskip(NEXT) | instid1(VALU_DEP_1)
	v_fma_f64 v[8:9], v[16:17], v[8:9], v[10:11]
	v_ldexp_f64 v[8:9], v[8:9], v3
	s_delay_alu instid0(VALU_DEP_1) | instskip(NEXT) | instid1(VALU_DEP_1)
	v_dual_cndmask_b32 v6, v8, v6 :: v_dual_cndmask_b32 v7, v9, v7
	v_mul_f64 v[8:9], v[0:1], v[6:7]
.LBB73_70:                              ;   in Loop: Header=BB73_63 Depth=1
	s_or_b32 exec_lo, exec_lo, s2
	s_delay_alu instid0(VALU_DEP_1) | instskip(SKIP_2) | instid1(VALU_DEP_2)
	v_cmp_gt_f64_e32 vcc_lo, 0x10000000, v[8:9]
	v_cndmask_b32_e64 v0, 0, 1, vcc_lo
	v_cndmask_b32_e64 v3, 0, 0xffffff80, vcc_lo
	v_lshlrev_b32_e32 v0, 8, v0
	s_delay_alu instid0(VALU_DEP_1) | instskip(NEXT) | instid1(VALU_DEP_1)
	v_ldexp_f64 v[0:1], v[8:9], v0
	v_rsq_f64_e32 v[6:7], v[0:1]
	v_cmp_class_f64_e64 vcc_lo, v[0:1], 0x260
	s_waitcnt_depctr 0xfff
	v_mul_f64 v[8:9], v[0:1], v[6:7]
	v_mul_f64 v[6:7], v[6:7], 0.5
	s_delay_alu instid0(VALU_DEP_1) | instskip(NEXT) | instid1(VALU_DEP_1)
	v_fma_f64 v[10:11], -v[6:7], v[8:9], 0.5
	v_fma_f64 v[8:9], v[8:9], v[10:11], v[8:9]
	v_fma_f64 v[6:7], v[6:7], v[10:11], v[6:7]
	s_delay_alu instid0(VALU_DEP_2) | instskip(NEXT) | instid1(VALU_DEP_1)
	v_fma_f64 v[10:11], -v[8:9], v[8:9], v[0:1]
	v_fma_f64 v[8:9], v[10:11], v[6:7], v[8:9]
	s_delay_alu instid0(VALU_DEP_1) | instskip(NEXT) | instid1(VALU_DEP_1)
	v_fma_f64 v[10:11], -v[8:9], v[8:9], v[0:1]
	v_fma_f64 v[6:7], v[10:11], v[6:7], v[8:9]
	s_delay_alu instid0(VALU_DEP_1) | instskip(SKIP_1) | instid1(VALU_DEP_2)
	v_ldexp_f64 v[6:7], v[6:7], v3
	v_mov_b32_e32 v3, v2
	v_dual_cndmask_b32 v1, v7, v1 :: v_dual_cndmask_b32 v0, v6, v0
	ds_store_b128 v13, v[0:3]
.LBB73_71:                              ;   in Loop: Header=BB73_63 Depth=1
	s_or_b32 exec_lo, exec_lo, s12
	v_mov_b32_e32 v0, s3
	s_waitcnt lgkmcnt(0)
	buffer_gl0_inv
	ds_load_b128 v[6:9], v0
	s_waitcnt lgkmcnt(0)
	v_cmp_neq_f64_e32 vcc_lo, 0, v[6:7]
	v_cmp_neq_f64_e64 s2, 0, v[8:9]
	s_delay_alu instid0(VALU_DEP_1) | instskip(SKIP_4) | instid1(SALU_CYCLE_1)
	s_or_b32 vcc_lo, vcc_lo, s2
	v_dual_cndmask_b32 v1, 0, v9 :: v_dual_cndmask_b32 v0, 0, v8
	v_cndmask_b32_e32 v7, 0x3ff00000, v7, vcc_lo
	v_cndmask_b32_e32 v6, 0, v6, vcc_lo
	s_or_b32 s2, vcc_lo, s1
	s_xor_b32 s12, s2, -1
	s_delay_alu instid0(SALU_CYCLE_1)
	s_and_saveexec_b32 s2, s12
	s_cbranch_execz .LBB73_75
; %bb.72:                               ;   in Loop: Header=BB73_63 Depth=1
	v_mbcnt_lo_u32_b32 v0, exec_lo, 0
	s_mov_b32 s12, exec_lo
	s_delay_alu instid0(VALU_DEP_1)
	v_cmpx_eq_u32_e32 0, v0
	s_cbranch_execz .LBB73_74
; %bb.73:                               ;   in Loop: Header=BB73_63 Depth=1
	v_mov_b32_e32 v0, s5
	global_atomic_min_i32 v2, v0, s[10:11]
.LBB73_74:                              ;   in Loop: Header=BB73_63 Depth=1
	s_or_b32 exec_lo, exec_lo, s12
	v_mov_b32_e32 v0, 0
	v_dual_mov_b32 v1, 0 :: v_dual_mov_b32 v6, 0
	v_mov_b32_e32 v7, 0x3ff00000
.LBB73_75:                              ;   in Loop: Header=BB73_63 Depth=1
	s_or_b32 exec_lo, exec_lo, s2
	s_delay_alu instid0(SALU_CYCLE_1)
	s_mov_b32 s2, exec_lo
	v_cmpx_lt_u32_e64 s4, v20
	s_cbranch_execz .LBB73_62
; %bb.76:                               ;   in Loop: Header=BB73_63 Depth=1
	v_mul_f64 v[8:9], v[0:1], v[0:1]
	s_delay_alu instid0(VALU_DEP_1) | instskip(NEXT) | instid1(VALU_DEP_1)
	v_fma_f64 v[16:17], v[6:7], v[6:7], v[8:9]
	v_div_scale_f64 v[27:28], null, v[16:17], v[16:17], 1.0
	v_div_scale_f64 v[29:30], vcc_lo, 1.0, v[16:17], 1.0
	s_delay_alu instid0(VALU_DEP_2) | instskip(SKIP_2) | instid1(VALU_DEP_1)
	v_rcp_f64_e32 v[8:9], v[27:28]
	s_waitcnt_depctr 0xfff
	v_fma_f64 v[10:11], -v[27:28], v[8:9], 1.0
	v_fma_f64 v[8:9], v[8:9], v[10:11], v[8:9]
	s_delay_alu instid0(VALU_DEP_1) | instskip(NEXT) | instid1(VALU_DEP_1)
	v_fma_f64 v[10:11], -v[27:28], v[8:9], 1.0
	v_fma_f64 v[31:32], v[8:9], v[10:11], v[8:9]
	ds_load_b128 v[8:11], v12
	ds_load_b128 v[23:26], v12 offset:1152
	s_waitcnt lgkmcnt(0)
	v_add_f64 v[10:11], v[10:11], -v[25:26]
	v_add_f64 v[8:9], v[8:9], -v[23:24]
	v_mul_f64 v[33:34], v[29:30], v[31:32]
	s_delay_alu instid0(VALU_DEP_3) | instskip(NEXT) | instid1(VALU_DEP_3)
	v_mul_f64 v[23:24], v[0:1], v[10:11]
	v_mul_f64 v[0:1], v[0:1], -v[8:9]
	s_delay_alu instid0(VALU_DEP_3) | instskip(NEXT) | instid1(VALU_DEP_3)
	v_fma_f64 v[25:26], -v[27:28], v[33:34], v[29:30]
	v_fma_f64 v[8:9], v[8:9], v[6:7], v[23:24]
	s_delay_alu instid0(VALU_DEP_3) | instskip(NEXT) | instid1(VALU_DEP_3)
	v_fma_f64 v[0:1], v[10:11], v[6:7], v[0:1]
	v_div_fmas_f64 v[25:26], v[25:26], v[31:32], v[33:34]
	s_delay_alu instid0(VALU_DEP_1) | instskip(NEXT) | instid1(VALU_DEP_1)
	v_div_fixup_f64 v[16:17], v[25:26], v[16:17], 1.0
	v_mul_f64 v[6:7], v[16:17], v[8:9]
	s_delay_alu instid0(VALU_DEP_4)
	v_mul_f64 v[8:9], v[16:17], v[0:1]
	ds_store_b128 v12, v[6:9]
	s_waitcnt lgkmcnt(0)
	s_waitcnt_vscnt null, 0x0
	buffer_gl0_inv
	ds_load_b128 v[23:26], v15
	ds_load_b128 v[27:30], v22
	s_waitcnt lgkmcnt(0)
	v_fma_f64 v[0:1], v[6:7], v[23:24], v[27:28]
	v_fma_f64 v[10:11], v[8:9], v[23:24], v[29:30]
	s_delay_alu instid0(VALU_DEP_2) | instskip(NEXT) | instid1(VALU_DEP_2)
	v_fma_f64 v[8:9], v[8:9], v[25:26], v[0:1]
	v_fma_f64 v[10:11], v[6:7], -v[25:26], v[10:11]
	ds_store_b128 v22, v[8:11]
	s_branch .LBB73_62
.LBB73_77:
	s_and_saveexec_b32 s1, s0
	s_cbranch_execz .LBB73_79
; %bb.78:
	v_mad_u64_u32 v[0:1], null, s28, s29, v[5:6]
	s_delay_alu instid0(VALU_DEP_1) | instskip(SKIP_3) | instid1(VALU_DEP_1)
	v_mad_u64_u32 v[5:6], null, v0, s29, v[4:5]
	v_add_nc_u32_e32 v0, 0x900, v21
	ds_load_2addr_b64 v[0:3], v0 offset1:1
	v_ashrrev_i32_e32 v6, 31, v5
	v_lshlrev_b64 v[4:5], 4, v[5:6]
	s_delay_alu instid0(VALU_DEP_1) | instskip(NEXT) | instid1(VALU_DEP_2)
	v_add_co_u32 v4, vcc_lo, s18, v4
	v_add_co_ci_u32_e32 v5, vcc_lo, s19, v5, vcc_lo
	s_waitcnt lgkmcnt(0)
	global_store_b128 v[4:5], v[0:3], off
.LBB73_79:
	s_or_b32 exec_lo, exec_lo, s1
	v_or_b32_e32 v0, v19, v20
	s_delay_alu instid0(VALU_DEP_1)
	v_cmp_eq_u32_e64 s3, 0, v0
.LBB73_80:
	s_delay_alu instid0(VALU_DEP_1)
	s_and_saveexec_b32 s0, s3
	s_cbranch_execnz .LBB73_88
.LBB73_81:
	s_nop 0
	s_sendmsg sendmsg(MSG_DEALLOC_VGPRS)
	s_endpgm
.LBB73_82:
	s_cbranch_execz .LBB73_80
; %bb.83:
	v_or_b32_e32 v0, v19, v20
	s_mov_b32 s0, exec_lo
	s_delay_alu instid0(VALU_DEP_1)
	v_cmpx_eq_u32_e32 0, v0
	s_cbranch_execz .LBB73_87
; %bb.84:
	v_mbcnt_lo_u32_b32 v0, exec_lo, 0
	s_mov_b32 s1, exec_lo
	s_delay_alu instid0(VALU_DEP_1)
	v_cmpx_eq_u32_e32 0, v0
	s_cbranch_execz .LBB73_86
; %bb.85:
	s_add_i32 s2, s16, s17
	s_delay_alu instid0(SALU_CYCLE_1)
	v_dual_mov_b32 v0, 0 :: v_dual_mov_b32 v1, s2
	global_atomic_min_i32 v0, v1, s[10:11]
.LBB73_86:
	s_or_b32 exec_lo, exec_lo, s1
	s_delay_alu instid0(SALU_CYCLE_1)
	s_or_b32 s3, s3, exec_lo
.LBB73_87:
	s_or_b32 exec_lo, exec_lo, s0
	s_and_saveexec_b32 s0, s3
	s_cbranch_execz .LBB73_81
.LBB73_88:
	v_dual_mov_b32 v0, 0 :: v_dual_mov_b32 v1, 1
	s_add_u32 s0, s6, s8
	s_addc_u32 s1, s7, s9
	s_waitcnt_vscnt null, 0x0
	global_store_b32 v0, v1, s[0:1]
	s_nop 0
	s_sendmsg sendmsg(MSG_DEALLOC_VGPRS)
	s_endpgm
	.section	.rodata,"a",@progbits
	.p2align	6, 0x0
	.amdhsa_kernel _ZN9rocsparseL17bsric0_2_8_kernelILi64ELi128ELi8E21rocsparse_complex_numIdEEEv20rocsparse_direction_iiPKiS5_PT2_S5_PiS5_S8_21rocsparse_index_base_
		.amdhsa_group_segment_fixed_size 6144
		.amdhsa_private_segment_fixed_size 0
		.amdhsa_kernarg_size 76
		.amdhsa_user_sgpr_count 15
		.amdhsa_user_sgpr_dispatch_ptr 0
		.amdhsa_user_sgpr_queue_ptr 0
		.amdhsa_user_sgpr_kernarg_segment_ptr 1
		.amdhsa_user_sgpr_dispatch_id 0
		.amdhsa_user_sgpr_private_segment_size 0
		.amdhsa_wavefront_size32 1
		.amdhsa_uses_dynamic_stack 0
		.amdhsa_enable_private_segment 0
		.amdhsa_system_sgpr_workgroup_id_x 1
		.amdhsa_system_sgpr_workgroup_id_y 0
		.amdhsa_system_sgpr_workgroup_id_z 0
		.amdhsa_system_sgpr_workgroup_info 0
		.amdhsa_system_vgpr_workitem_id 1
		.amdhsa_next_free_vgpr 36
		.amdhsa_next_free_sgpr 43
		.amdhsa_reserve_vcc 1
		.amdhsa_float_round_mode_32 0
		.amdhsa_float_round_mode_16_64 0
		.amdhsa_float_denorm_mode_32 3
		.amdhsa_float_denorm_mode_16_64 3
		.amdhsa_dx10_clamp 1
		.amdhsa_ieee_mode 1
		.amdhsa_fp16_overflow 0
		.amdhsa_workgroup_processor_mode 1
		.amdhsa_memory_ordered 1
		.amdhsa_forward_progress 0
		.amdhsa_shared_vgpr_count 0
		.amdhsa_exception_fp_ieee_invalid_op 0
		.amdhsa_exception_fp_denorm_src 0
		.amdhsa_exception_fp_ieee_div_zero 0
		.amdhsa_exception_fp_ieee_overflow 0
		.amdhsa_exception_fp_ieee_underflow 0
		.amdhsa_exception_fp_ieee_inexact 0
		.amdhsa_exception_int_div_zero 0
	.end_amdhsa_kernel
	.section	.text._ZN9rocsparseL17bsric0_2_8_kernelILi64ELi128ELi8E21rocsparse_complex_numIdEEEv20rocsparse_direction_iiPKiS5_PT2_S5_PiS5_S8_21rocsparse_index_base_,"axG",@progbits,_ZN9rocsparseL17bsric0_2_8_kernelILi64ELi128ELi8E21rocsparse_complex_numIdEEEv20rocsparse_direction_iiPKiS5_PT2_S5_PiS5_S8_21rocsparse_index_base_,comdat
.Lfunc_end73:
	.size	_ZN9rocsparseL17bsric0_2_8_kernelILi64ELi128ELi8E21rocsparse_complex_numIdEEEv20rocsparse_direction_iiPKiS5_PT2_S5_PiS5_S8_21rocsparse_index_base_, .Lfunc_end73-_ZN9rocsparseL17bsric0_2_8_kernelILi64ELi128ELi8E21rocsparse_complex_numIdEEEv20rocsparse_direction_iiPKiS5_PT2_S5_PiS5_S8_21rocsparse_index_base_
                                        ; -- End function
	.section	.AMDGPU.csdata,"",@progbits
; Kernel info:
; codeLenInByte = 4632
; NumSgprs: 45
; NumVgprs: 36
; ScratchSize: 0
; MemoryBound: 1
; FloatMode: 240
; IeeeMode: 1
; LDSByteSize: 6144 bytes/workgroup (compile time only)
; SGPRBlocks: 5
; VGPRBlocks: 4
; NumSGPRsForWavesPerEU: 45
; NumVGPRsForWavesPerEU: 36
; Occupancy: 11
; WaveLimiterHint : 1
; COMPUTE_PGM_RSRC2:SCRATCH_EN: 0
; COMPUTE_PGM_RSRC2:USER_SGPR: 15
; COMPUTE_PGM_RSRC2:TRAP_HANDLER: 0
; COMPUTE_PGM_RSRC2:TGID_X_EN: 1
; COMPUTE_PGM_RSRC2:TGID_Y_EN: 0
; COMPUTE_PGM_RSRC2:TGID_Z_EN: 0
; COMPUTE_PGM_RSRC2:TIDIG_COMP_CNT: 1
	.section	.text._ZN9rocsparseL18bsric0_9_16_kernelILi64ELi128ELi16E21rocsparse_complex_numIdEEEv20rocsparse_direction_iiPKiS5_PT2_S5_PiS5_S8_21rocsparse_index_base_,"axG",@progbits,_ZN9rocsparseL18bsric0_9_16_kernelILi64ELi128ELi16E21rocsparse_complex_numIdEEEv20rocsparse_direction_iiPKiS5_PT2_S5_PiS5_S8_21rocsparse_index_base_,comdat
	.globl	_ZN9rocsparseL18bsric0_9_16_kernelILi64ELi128ELi16E21rocsparse_complex_numIdEEEv20rocsparse_direction_iiPKiS5_PT2_S5_PiS5_S8_21rocsparse_index_base_ ; -- Begin function _ZN9rocsparseL18bsric0_9_16_kernelILi64ELi128ELi16E21rocsparse_complex_numIdEEEv20rocsparse_direction_iiPKiS5_PT2_S5_PiS5_S8_21rocsparse_index_base_
	.p2align	8
	.type	_ZN9rocsparseL18bsric0_9_16_kernelILi64ELi128ELi16E21rocsparse_complex_numIdEEEv20rocsparse_direction_iiPKiS5_PT2_S5_PiS5_S8_21rocsparse_index_base_,@function
_ZN9rocsparseL18bsric0_9_16_kernelILi64ELi128ELi16E21rocsparse_complex_numIdEEEv20rocsparse_direction_iiPKiS5_PT2_S5_PiS5_S8_21rocsparse_index_base_: ; @_ZN9rocsparseL18bsric0_9_16_kernelILi64ELi128ELi16E21rocsparse_complex_numIdEEEv20rocsparse_direction_iiPKiS5_PT2_S5_PiS5_S8_21rocsparse_index_base_
; %bb.0:
	s_load_b256 s[4:11], s[0:1], 0x28
	s_mov_b32 s2, s15
	s_mov_b32 s3, 0
	v_and_b32_e32 v18, 0x3ff, v0
	s_lshl_b64 s[12:13], s[2:3], 2
	v_bfe_u32 v9, v0, 10, 10
	s_waitcnt lgkmcnt(0)
	s_add_u32 s8, s8, s12
	s_addc_u32 s9, s9, s13
	s_load_b32 s16, s[8:9], 0x0
	s_waitcnt lgkmcnt(0)
	s_ashr_i32 s17, s16, 31
	s_delay_alu instid0(SALU_CYCLE_1) | instskip(NEXT) | instid1(SALU_CYCLE_1)
	s_lshl_b64 s[8:9], s[16:17], 2
	s_add_u32 s12, s4, s8
	s_addc_u32 s13, s5, s9
	s_load_b32 s28, s[12:13], 0x0
	s_load_b32 s17, s[0:1], 0x48
	s_waitcnt lgkmcnt(0)
	s_cmp_lg_u32 s28, -1
	s_cbranch_scc0 .LBB74_137
; %bb.1:
	s_clause 0x1
	s_load_b128 s[12:15], s[0:1], 0x10
	s_load_b64 s[18:19], s[0:1], 0x20
	v_lshlrev_b32_e32 v0, 2, v9
	v_lshlrev_b32_e32 v21, 4, v9
	s_waitcnt lgkmcnt(0)
	s_add_u32 s2, s12, s8
	s_addc_u32 s3, s13, s9
	s_load_b32 s2, s[2:3], 0x0
	s_waitcnt lgkmcnt(0)
	s_sub_i32 s31, s2, s17
	s_mov_b32 s2, exec_lo
	v_add3_u32 v0, v0, v18, s31
	s_delay_alu instid0(VALU_DEP_1)
	v_cmpx_ge_i32_e64 s28, v0
	s_cbranch_execz .LBB74_4
; %bb.2:
	v_lshlrev_b32_e32 v1, 2, v18
	s_mov_b32 s3, 0
	s_delay_alu instid0(VALU_DEP_1)
	v_add3_u32 v2, v21, v1, 0x4800
	.p2align	6
.LBB74_3:                               ; =>This Inner Loop Header: Depth=1
	v_ashrrev_i32_e32 v1, 31, v0
	s_delay_alu instid0(VALU_DEP_1) | instskip(SKIP_1) | instid1(VALU_DEP_2)
	v_lshlrev_b64 v[3:4], 2, v[0:1]
	v_add_nc_u32_e32 v0, 64, v0
	v_add_co_u32 v3, vcc_lo, s14, v3
	s_delay_alu instid0(VALU_DEP_3) | instskip(NEXT) | instid1(VALU_DEP_3)
	v_add_co_ci_u32_e32 v4, vcc_lo, s15, v4, vcc_lo
	v_cmp_lt_i32_e32 vcc_lo, s28, v0
	global_load_b32 v1, v[3:4], off
	s_or_b32 s3, vcc_lo, s3
	s_waitcnt vmcnt(0)
	v_subrev_nc_u32_e32 v1, s17, v1
	ds_store_b32 v2, v1
	v_add_nc_u32_e32 v2, 0x100, v2
	s_and_not1_b32 exec_lo, exec_lo, s3
	s_cbranch_execnz .LBB74_3
.LBB74_4:
	s_or_b32 exec_lo, exec_lo, s2
	v_mul_u32_u24_e32 v19, 0x110, v9
	v_lshlrev_b32_e32 v20, 4, v18
	s_mov_b32 s2, exec_lo
	v_cmpx_gt_u32_e32 16, v18
	s_cbranch_execz .LBB74_7
; %bb.5:
	v_mov_b32_e32 v0, 0
	v_add_nc_u32_e32 v4, -4, v18
	v_add3_u32 v5, v19, v20, 0x3300
	s_mov_b32 s3, 0
	s_delay_alu instid0(VALU_DEP_3)
	v_mov_b32_e32 v1, v0
	v_mov_b32_e32 v2, v0
	;; [unrolled: 1-line block ×3, first 2 shown]
.LBB74_6:                               ; =>This Inner Loop Header: Depth=1
	v_add_nc_u32_e32 v4, 4, v4
	ds_store_b128 v5, v[0:3]
	v_add_nc_u32_e32 v5, 64, v5
	v_cmp_lt_u32_e32 vcc_lo, 11, v4
	s_or_b32 s3, vcc_lo, s3
	s_delay_alu instid0(SALU_CYCLE_1)
	s_and_not1_b32 exec_lo, exec_lo, s3
	s_cbranch_execnz .LBB74_6
.LBB74_7:
	s_or_b32 exec_lo, exec_lo, s2
	s_clause 0x1
	s_load_b32 s29, s[0:1], 0x8
	s_load_b32 s30, s[0:1], 0x0
	s_cmp_ge_i32 s31, s28
	s_waitcnt lgkmcnt(0)
	buffer_gl0_inv
	v_cmp_gt_i32_e64 s0, s29, v18
	s_cbranch_scc1 .LBB74_92
; %bb.8:
	v_mad_u64_u32 v[0:1], null, s29, s31, v[9:10]
	v_or_b32_e32 v1, v18, v9
	v_mad_u32_u24 v22, 0x110, v9, v20
	v_mul_lo_u32 v23, v9, s29
	v_mul_lo_u32 v25, v18, s29
	s_movk_i32 s3, 0x2200
	s_cmp_lg_u32 s30, 0
	v_mul_lo_u32 v27, s29, v0
	v_cmp_gt_i32_e64 s1, s29, v9
	v_cmp_ne_u32_e64 s2, 0, v1
	v_add_nc_u32_e32 v24, 0x1100, v22
	v_mad_u32_u24 v26, 0x110, v9, s3
	v_mad_u32_u24 v28, 0x110, v18, s3
	v_dual_mov_b32 v0, 0 :: v_dual_add_nc_u32 v29, 0x3300, v22
	v_add_nc_u32_e32 v30, 0x2200, v22
	s_cselect_b32 s33, -1, 0
	s_cmp_gt_i32 s29, 0
	s_mul_i32 s35, s29, s29
	s_cselect_b32 s34, -1, 0
	s_lshl_b32 s36, s29, 2
	s_mov_b32 s20, s31
	s_branch .LBB74_10
.LBB74_9:                               ;   in Loop: Header=BB74_10 Depth=1
	s_set_inst_prefetch_distance 0x2
	s_or_b32 exec_lo, exec_lo, s3
	s_add_i32 s20, s20, 1
	v_add_nc_u32_e32 v27, s35, v27
	s_cmp_ge_i32 s20, s28
	s_waitcnt_vscnt null, 0x0
	buffer_gl1_inv
	buffer_gl0_inv
	s_cselect_b32 s3, -1, 0
	s_delay_alu instid0(SALU_CYCLE_1)
	s_and_b32 vcc_lo, exec_lo, s3
	s_cbranch_vccnz .LBB74_92
.LBB74_10:                              ; =>This Loop Header: Depth=1
                                        ;     Child Loop BB74_14 Depth 2
                                        ;     Child Loop BB74_27 Depth 2
	;; [unrolled: 1-line block ×5, first 2 shown]
                                        ;       Child Loop BB74_59 Depth 3
                                        ;     Child Loop BB74_72 Depth 2
                                        ;       Child Loop BB74_78 Depth 3
                                        ;       Child Loop BB74_81 Depth 3
                                        ;     Child Loop BB74_86 Depth 2
	s_ashr_i32 s21, s20, 31
	s_delay_alu instid0(SALU_CYCLE_1) | instskip(NEXT) | instid1(SALU_CYCLE_1)
	s_lshl_b64 s[22:23], s[20:21], 2
	s_add_u32 s22, s14, s22
	s_addc_u32 s23, s15, s23
	s_load_b32 s37, s[22:23], 0x0
	s_waitcnt lgkmcnt(0)
	s_sub_i32 s24, s37, s17
	s_delay_alu instid0(SALU_CYCLE_1) | instskip(NEXT) | instid1(SALU_CYCLE_1)
	s_ashr_i32 s25, s24, 31
	s_lshl_b64 s[22:23], s[24:25], 2
	s_delay_alu instid0(SALU_CYCLE_1)
	s_add_u32 s26, s4, s22
	s_addc_u32 s27, s5, s23
	s_load_b32 s3, s[26:27], 0x0
	s_waitcnt lgkmcnt(0)
	s_cmp_eq_u32 s3, -1
	s_cbranch_scc1 .LBB74_91
; %bb.11:                               ;   in Loop: Header=BB74_10 Depth=1
	s_add_u32 s26, s12, s22
	s_addc_u32 s27, s13, s23
	s_mul_i32 s21, s20, s29
	s_load_b32 s25, s[26:27], 0x0
	s_and_saveexec_b32 s38, s0
	s_cbranch_execz .LBB74_24
; %bb.12:                               ;   in Loop: Header=BB74_10 Depth=1
	v_mov_b32_e32 v8, v24
	v_mov_b32_e32 v10, v18
	s_mov_b32 s39, 0
	s_branch .LBB74_14
.LBB74_13:                              ;   in Loop: Header=BB74_14 Depth=2
	s_or_b32 exec_lo, exec_lo, s26
	v_dual_mov_b32 v1, v0 :: v_dual_add_nc_u32 v10, 4, v10
	v_mov_b32_e32 v2, v0
	v_mov_b32_e32 v3, v0
	s_waitcnt vmcnt(0)
	ds_store_b128 v8, v[4:7] offset:4352
	ds_store_b128 v8, v[0:3]
	v_add_nc_u32_e32 v8, 64, v8
	v_cmp_le_i32_e32 vcc_lo, s29, v10
	s_or_b32 s39, vcc_lo, s39
	s_delay_alu instid0(SALU_CYCLE_1)
	s_and_not1_b32 exec_lo, exec_lo, s39
	s_cbranch_execz .LBB74_24
.LBB74_14:                              ;   Parent Loop BB74_10 Depth=1
                                        ; =>  This Inner Loop Header: Depth=2
	s_and_b32 vcc_lo, exec_lo, s33
	s_cbranch_vccz .LBB74_18
; %bb.15:                               ;   in Loop: Header=BB74_14 Depth=2
	s_mov_b32 s41, 0
	s_mov_b32 s40, 0
                                        ; implicit-def: $vgpr1
	s_and_saveexec_b32 s26, s1
	s_delay_alu instid0(SALU_CYCLE_1)
	s_xor_b32 s26, exec_lo, s26
; %bb.16:                               ;   in Loop: Header=BB74_14 Depth=2
	v_add_nc_u32_e32 v3, s21, v10
	s_mov_b32 s40, exec_lo
	s_delay_alu instid0(VALU_DEP_1)
	v_mad_u64_u32 v[1:2], null, v3, s29, v[9:10]
; %bb.17:                               ;   in Loop: Header=BB74_14 Depth=2
	s_or_b32 exec_lo, exec_lo, s26
	s_mov_b64 s[26:27], 0
	s_and_b32 vcc_lo, exec_lo, s41
	s_cbranch_vccnz .LBB74_19
	s_branch .LBB74_22
.LBB74_18:                              ;   in Loop: Header=BB74_14 Depth=2
	s_mov_b32 s40, 0
                                        ; implicit-def: $vgpr1
                                        ; implicit-def: $sgpr26_sgpr27
	s_cbranch_execz .LBB74_22
.LBB74_19:                              ;   in Loop: Header=BB74_14 Depth=2
                                        ; implicit-def: $vgpr1
	s_and_saveexec_b32 s26, s1
; %bb.20:                               ;   in Loop: Header=BB74_14 Depth=2
	v_add_nc_u32_e32 v1, v27, v10
	s_or_b32 s40, s40, exec_lo
; %bb.21:                               ;   in Loop: Header=BB74_14 Depth=2
	s_or_b32 exec_lo, exec_lo, s26
	s_mov_b64 s[26:27], 0
.LBB74_22:                              ;   in Loop: Header=BB74_14 Depth=2
	s_delay_alu instid0(SALU_CYCLE_1)
	v_dual_mov_b32 v4, s26 :: v_dual_mov_b32 v5, s27
	v_dual_mov_b32 v6, s26 :: v_dual_mov_b32 v7, s27
	s_and_saveexec_b32 s26, s40
	s_cbranch_execz .LBB74_13
; %bb.23:                               ;   in Loop: Header=BB74_14 Depth=2
	v_ashrrev_i32_e32 v2, 31, v1
	s_delay_alu instid0(VALU_DEP_1) | instskip(NEXT) | instid1(VALU_DEP_1)
	v_lshlrev_b64 v[1:2], 4, v[1:2]
	v_add_co_u32 v1, vcc_lo, s18, v1
	s_delay_alu instid0(VALU_DEP_2)
	v_add_co_ci_u32_e32 v2, vcc_lo, s19, v2, vcc_lo
	global_load_b128 v[4:7], v[1:2], off
	s_branch .LBB74_13
.LBB74_24:                              ;   in Loop: Header=BB74_10 Depth=1
	s_or_b32 exec_lo, exec_lo, s38
; %bb.25:                               ;   in Loop: Header=BB74_10 Depth=1
	ds_load_b32 v1, v0 offset:18432
	s_waitcnt lgkmcnt(0)
	s_sub_i32 s26, s25, s17
	s_delay_alu instid0(SALU_CYCLE_1) | instskip(SKIP_3) | instid1(SALU_CYCLE_1)
	s_cmp_le_i32 s26, s3
	s_cselect_b32 s25, -1, 0
	v_cmp_ge_i32_e32 vcc_lo, s24, v1
	s_and_b32 s25, s25, vcc_lo
	s_and_not1_b32 vcc_lo, exec_lo, s25
	s_mov_b32 s25, 0
	s_cbranch_vccnz .LBB74_37
; %bb.26:                               ;   in Loop: Header=BB74_10 Depth=1
	s_mov_b32 s38, 0
	s_mov_b32 s39, 0
.LBB74_27:                              ;   Parent Loop BB74_10 Depth=1
                                        ; =>  This Inner Loop Header: Depth=2
	s_ashr_i32 s27, s26, 31
	s_mov_b32 s42, -1
	s_lshl_b64 s[40:41], s[26:27], 2
	s_delay_alu instid0(SALU_CYCLE_1) | instskip(SKIP_2) | instid1(SALU_CYCLE_1)
	s_add_u32 s40, s14, s40
	s_addc_u32 s41, s15, s41
	s_lshl_b32 s25, s39, 2
	v_mov_b32_e32 v1, s25
	s_load_b32 s25, s[40:41], 0x0
                                        ; implicit-def: $sgpr41
                                        ; implicit-def: $sgpr40
	ds_load_b32 v1, v1 offset:18432
	s_waitcnt lgkmcnt(0)
	s_sub_i32 s43, s25, s17
                                        ; implicit-def: $sgpr25
	s_delay_alu instid0(SALU_CYCLE_1)
	v_cmp_ge_i32_e32 vcc_lo, s43, v1
	v_readfirstlane_b32 s27, v1
	s_cbranch_vccz .LBB74_33
; %bb.28:                               ;   in Loop: Header=BB74_27 Depth=2
	s_delay_alu instid0(VALU_DEP_1)
	s_cmp_le_i32 s43, s27
                                        ; implicit-def: $sgpr25
                                        ; implicit-def: $sgpr41
                                        ; implicit-def: $sgpr40
	s_cbranch_scc0 .LBB74_30
; %bb.29:                               ;   in Loop: Header=BB74_27 Depth=2
	s_add_i32 s25, s39, s31
	s_lshl_b32 s40, s38, 2
	s_mul_i32 s25, s25, s35
	s_delay_alu instid0(SALU_CYCLE_1)
	v_dual_mov_b32 v1, s40 :: v_dual_mov_b32 v2, s25
	s_mul_i32 s40, s26, s35
	s_add_i32 s41, s26, 1
	v_mov_b32_e32 v3, s40
	s_add_i32 s40, s39, 1
	s_add_i32 s25, s38, 1
	s_mov_b32 s42, 0
	ds_store_2addr_stride64_b32 v1, v3, v2 offset0:68 offset1:70
.LBB74_30:                              ;   in Loop: Header=BB74_27 Depth=2
	s_and_not1_b32 vcc_lo, exec_lo, s42
	s_cbranch_vccnz .LBB74_32
; %bb.31:                               ;   in Loop: Header=BB74_27 Depth=2
	s_add_i32 s40, s39, 1
	s_mov_b32 s25, s38
	s_mov_b32 s41, s26
.LBB74_32:                              ;   in Loop: Header=BB74_27 Depth=2
	s_mov_b32 s42, 0
.LBB74_33:                              ;   in Loop: Header=BB74_27 Depth=2
	s_delay_alu instid0(SALU_CYCLE_1)
	s_and_not1_b32 vcc_lo, exec_lo, s42
	s_cbranch_vccnz .LBB74_35
; %bb.34:                               ;   in Loop: Header=BB74_27 Depth=2
	s_add_i32 s41, s26, 1
	s_mov_b32 s40, s39
	s_mov_b32 s25, s38
.LBB74_35:                              ;   in Loop: Header=BB74_27 Depth=2
	s_cmp_le_i32 s41, s3
	s_cselect_b32 s26, -1, 0
	s_cmp_le_i32 s27, s24
	s_cselect_b32 s27, -1, 0
	s_delay_alu instid0(SALU_CYCLE_1) | instskip(NEXT) | instid1(SALU_CYCLE_1)
	s_and_b32 s26, s26, s27
	s_and_b32 vcc_lo, exec_lo, s26
	s_cbranch_vccz .LBB74_37
; %bb.36:                               ;   in Loop: Header=BB74_27 Depth=2
	s_mov_b32 s38, s25
	s_mov_b32 s26, s41
	;; [unrolled: 1-line block ×3, first 2 shown]
	s_branch .LBB74_27
.LBB74_37:                              ;   in Loop: Header=BB74_10 Depth=1
	s_add_u32 s22, s6, s22
	s_addc_u32 s23, s7, s23
	s_waitcnt lgkmcnt(0)
	buffer_gl0_inv
.LBB74_38:                              ;   Parent Loop BB74_10 Depth=1
                                        ; =>  This Inner Loop Header: Depth=2
	global_load_b32 v1, v0, s[22:23] glc
	s_waitcnt vmcnt(0)
	v_cmp_eq_u32_e32 vcc_lo, 0, v1
	s_cbranch_vccnz .LBB74_38
; %bb.39:                               ;   in Loop: Header=BB74_10 Depth=1
	buffer_gl1_inv
	buffer_gl0_inv
	s_and_saveexec_b32 s24, s0
	s_cbranch_execz .LBB74_52
; %bb.40:                               ;   in Loop: Header=BB74_10 Depth=1
	s_mul_i32 s3, s3, s29
	s_delay_alu instid0(SALU_CYCLE_1) | instskip(SKIP_2) | instid1(VALU_DEP_2)
	v_dual_mov_b32 v10, v18 :: v_dual_add_nc_u32 v1, s3, v9
	v_mov_b32_e32 v8, v22
	s_mov_b32 s26, 0
	v_mul_lo_u32 v7, v1, s29
	s_branch .LBB74_42
.LBB74_41:                              ;   in Loop: Header=BB74_42 Depth=2
	s_or_b32 exec_lo, exec_lo, s22
	v_add_nc_u32_e32 v10, 4, v10
	s_waitcnt vmcnt(0)
	ds_store_b128 v8, v[1:4]
	v_add_nc_u32_e32 v8, 64, v8
	v_cmp_le_i32_e32 vcc_lo, s29, v10
	s_or_b32 s26, vcc_lo, s26
	s_delay_alu instid0(SALU_CYCLE_1)
	s_and_not1_b32 exec_lo, exec_lo, s26
	s_cbranch_execz .LBB74_52
.LBB74_42:                              ;   Parent Loop BB74_10 Depth=1
                                        ; =>  This Inner Loop Header: Depth=2
	s_and_b32 vcc_lo, exec_lo, s33
	s_cbranch_vccz .LBB74_46
; %bb.43:                               ;   in Loop: Header=BB74_42 Depth=2
	s_mov_b32 s38, 0
	s_mov_b32 s27, 0
                                        ; implicit-def: $vgpr5
	s_and_saveexec_b32 s22, s1
	s_delay_alu instid0(SALU_CYCLE_1)
	s_xor_b32 s22, exec_lo, s22
; %bb.44:                               ;   in Loop: Header=BB74_42 Depth=2
	v_add_nc_u32_e32 v1, s3, v10
	s_mov_b32 s27, exec_lo
	s_delay_alu instid0(VALU_DEP_1)
	v_mad_u64_u32 v[5:6], null, v1, s29, v[9:10]
; %bb.45:                               ;   in Loop: Header=BB74_42 Depth=2
	s_or_b32 exec_lo, exec_lo, s22
	s_mov_b64 s[22:23], 0
	s_and_b32 vcc_lo, exec_lo, s38
	s_cbranch_vccnz .LBB74_47
	s_branch .LBB74_50
.LBB74_46:                              ;   in Loop: Header=BB74_42 Depth=2
	s_mov_b32 s27, 0
                                        ; implicit-def: $vgpr5
                                        ; implicit-def: $sgpr22_sgpr23
	s_cbranch_execz .LBB74_50
.LBB74_47:                              ;   in Loop: Header=BB74_42 Depth=2
                                        ; implicit-def: $vgpr5
	s_and_saveexec_b32 s22, s1
; %bb.48:                               ;   in Loop: Header=BB74_42 Depth=2
	s_delay_alu instid0(VALU_DEP_1)
	v_add_nc_u32_e32 v5, v7, v10
	s_or_b32 s27, s27, exec_lo
; %bb.49:                               ;   in Loop: Header=BB74_42 Depth=2
	s_or_b32 exec_lo, exec_lo, s22
	s_mov_b64 s[22:23], 0
.LBB74_50:                              ;   in Loop: Header=BB74_42 Depth=2
	s_delay_alu instid0(SALU_CYCLE_1)
	v_dual_mov_b32 v1, s22 :: v_dual_mov_b32 v2, s23
	v_dual_mov_b32 v3, s22 :: v_dual_mov_b32 v4, s23
	s_and_saveexec_b32 s22, s27
	s_cbranch_execz .LBB74_41
; %bb.51:                               ;   in Loop: Header=BB74_42 Depth=2
	v_ashrrev_i32_e32 v6, 31, v5
	s_delay_alu instid0(VALU_DEP_1) | instskip(NEXT) | instid1(VALU_DEP_1)
	v_lshlrev_b64 v[1:2], 4, v[5:6]
	v_add_co_u32 v1, vcc_lo, s18, v1
	s_delay_alu instid0(VALU_DEP_2)
	v_add_co_ci_u32_e32 v2, vcc_lo, s19, v2, vcc_lo
	global_load_b128 v[1:4], v[1:2], off
	s_branch .LBB74_41
.LBB74_52:                              ;   in Loop: Header=BB74_10 Depth=1
	s_or_b32 exec_lo, exec_lo, s24
; %bb.53:                               ;   in Loop: Header=BB74_10 Depth=1
	s_cmp_lt_i32 s25, 2
	s_cbranch_scc1 .LBB74_69
; %bb.54:                               ;   in Loop: Header=BB74_10 Depth=1
	s_add_i32 s3, s25, -2
	s_mov_b32 s22, 0
	s_branch .LBB74_56
.LBB74_55:                              ;   in Loop: Header=BB74_56 Depth=2
	s_or_b32 exec_lo, exec_lo, s23
	s_add_i32 s23, s22, 1
	s_cmp_eq_u32 s22, s3
	s_mov_b32 s22, s23
	s_cbranch_scc1 .LBB74_69
.LBB74_56:                              ;   Parent Loop BB74_10 Depth=1
                                        ; =>  This Loop Header: Depth=2
                                        ;       Child Loop BB74_59 Depth 3
	s_and_saveexec_b32 s23, s0
	s_cbranch_execz .LBB74_55
; %bb.57:                               ;   in Loop: Header=BB74_56 Depth=2
	s_lshl_b32 s24, s22, 2
	v_mov_b32_e32 v35, v18
	v_mov_b32_e32 v1, s24
	s_mov_b32 s24, 0
	ds_load_2addr_stride64_b32 v[1:2], v1 offset0:68 offset1:70
	s_waitcnt lgkmcnt(0)
	v_add_nc_u32_e32 v32, v9, v2
	v_add_nc_u32_e32 v31, v2, v23
	;; [unrolled: 1-line block ×4, first 2 shown]
	s_branch .LBB74_59
.LBB74_58:                              ;   in Loop: Header=BB74_59 Depth=3
	v_lshlrev_b32_e32 v5, 4, v35
	v_add_nc_u32_e32 v35, 4, v35
	v_add_nc_u32_e32 v33, 4, v33
	;; [unrolled: 1-line block ×3, first 2 shown]
	s_delay_alu instid0(VALU_DEP_4) | instskip(NEXT) | instid1(VALU_DEP_4)
	v_mad_u32_u24 v10, 0x110, v9, v5
	v_cmp_le_i32_e32 vcc_lo, s29, v35
	ds_load_b128 v[5:8], v10 offset:4352
	s_or_b32 s24, vcc_lo, s24
	s_waitcnt lgkmcnt(0)
	v_add_f64 v[3:4], v[3:4], v[5:6]
	v_add_f64 v[5:6], v[1:2], v[7:8]
	ds_store_b128 v10, v[3:6] offset:4352
	s_and_not1_b32 exec_lo, exec_lo, s24
	s_cbranch_execz .LBB74_55
.LBB74_59:                              ;   Parent Loop BB74_10 Depth=1
                                        ;     Parent Loop BB74_56 Depth=2
                                        ; =>    This Inner Loop Header: Depth=3
	v_mov_b32_e32 v14, 0
	s_delay_alu instid0(VALU_DEP_3) | instskip(SKIP_2) | instid1(VALU_DEP_2)
	v_dual_mov_b32 v15, 0 :: v_dual_mov_b32 v10, v33
	v_mov_b32_e32 v12, v32
	s_mov_b32 s25, 0
	v_dual_mov_b32 v17, v15 :: v_dual_mov_b32 v16, v14
	s_and_b32 vcc_lo, exec_lo, s33
	s_cbranch_vccz .LBB74_63
.LBB74_60:                              ;   in Loop: Header=BB74_59 Depth=3
	v_ashrrev_i32_e32 v11, 31, v10
	v_mov_b32_e32 v5, 0
	v_mov_b32_e32 v6, 0
	s_delay_alu instid0(VALU_DEP_3) | instskip(NEXT) | instid1(VALU_DEP_2)
	v_lshlrev_b64 v[1:2], 4, v[10:11]
	v_dual_mov_b32 v8, v6 :: v_dual_mov_b32 v7, v5
	s_delay_alu instid0(VALU_DEP_2) | instskip(NEXT) | instid1(VALU_DEP_3)
	v_add_co_u32 v1, vcc_lo, s18, v1
	v_add_co_ci_u32_e32 v2, vcc_lo, s19, v2, vcc_lo
	global_load_b128 v[1:4], v[1:2], off
	s_and_saveexec_b32 s26, s1
	s_cbranch_execz .LBB74_62
; %bb.61:                               ;   in Loop: Header=BB74_59 Depth=3
	v_ashrrev_i32_e32 v13, 31, v12
	s_delay_alu instid0(VALU_DEP_1) | instskip(NEXT) | instid1(VALU_DEP_1)
	v_lshlrev_b64 v[5:6], 4, v[12:13]
	v_add_co_u32 v5, vcc_lo, s18, v5
	s_delay_alu instid0(VALU_DEP_2)
	v_add_co_ci_u32_e32 v6, vcc_lo, s19, v6, vcc_lo
	global_load_b128 v[5:8], v[5:6], off
.LBB74_62:                              ;   in Loop: Header=BB74_59 Depth=3
	s_or_b32 exec_lo, exec_lo, s26
	s_waitcnt vmcnt(0)
	v_fma_f64 v[36:37], v[1:2], v[5:6], v[16:17]
	v_fma_f64 v[5:6], v[3:4], v[5:6], v[14:15]
	s_delay_alu instid0(VALU_DEP_2) | instskip(NEXT) | instid1(VALU_DEP_2)
	v_fma_f64 v[3:4], v[3:4], v[7:8], v[36:37]
	v_fma_f64 v[1:2], v[1:2], -v[7:8], v[5:6]
	s_branch .LBB74_67
.LBB74_63:                              ;   in Loop: Header=BB74_59 Depth=3
                                        ; implicit-def: $vgpr1_vgpr2
                                        ; implicit-def: $vgpr3_vgpr4
	s_cbranch_execz .LBB74_67
; %bb.64:                               ;   in Loop: Header=BB74_59 Depth=3
	v_add_nc_u32_e32 v1, s25, v34
	v_mov_b32_e32 v5, 0
	v_mov_b32_e32 v6, 0
	s_delay_alu instid0(VALU_DEP_3) | instskip(NEXT) | instid1(VALU_DEP_2)
	v_ashrrev_i32_e32 v2, 31, v1
	v_dual_mov_b32 v8, v6 :: v_dual_mov_b32 v7, v5
	s_delay_alu instid0(VALU_DEP_2) | instskip(NEXT) | instid1(VALU_DEP_1)
	v_lshlrev_b64 v[1:2], 4, v[1:2]
	v_add_co_u32 v1, vcc_lo, s18, v1
	s_delay_alu instid0(VALU_DEP_2)
	v_add_co_ci_u32_e32 v2, vcc_lo, s19, v2, vcc_lo
	global_load_b128 v[1:4], v[1:2], off
	s_and_saveexec_b32 s26, s1
	s_cbranch_execz .LBB74_66
; %bb.65:                               ;   in Loop: Header=BB74_59 Depth=3
	v_add_nc_u32_e32 v5, s25, v31
	s_delay_alu instid0(VALU_DEP_1) | instskip(NEXT) | instid1(VALU_DEP_1)
	v_ashrrev_i32_e32 v6, 31, v5
	v_lshlrev_b64 v[5:6], 4, v[5:6]
	s_delay_alu instid0(VALU_DEP_1) | instskip(NEXT) | instid1(VALU_DEP_2)
	v_add_co_u32 v5, vcc_lo, s18, v5
	v_add_co_ci_u32_e32 v6, vcc_lo, s19, v6, vcc_lo
	global_load_b128 v[5:8], v[5:6], off
.LBB74_66:                              ;   in Loop: Header=BB74_59 Depth=3
	s_or_b32 exec_lo, exec_lo, s26
	s_waitcnt vmcnt(0)
	v_fma_f64 v[16:17], v[1:2], v[5:6], v[16:17]
	v_fma_f64 v[5:6], v[3:4], v[5:6], v[14:15]
	s_delay_alu instid0(VALU_DEP_2) | instskip(NEXT) | instid1(VALU_DEP_2)
	v_fma_f64 v[3:4], v[3:4], v[7:8], v[16:17]
	v_fma_f64 v[1:2], v[1:2], -v[7:8], v[5:6]
.LBB74_67:                              ;   in Loop: Header=BB74_59 Depth=3
	v_add_nc_u32_e32 v12, s29, v12
	v_add_nc_u32_e32 v10, s29, v10
	s_add_i32 s25, s25, 1
	s_delay_alu instid0(SALU_CYCLE_1)
	s_cmp_eq_u32 s29, s25
	s_cbranch_scc1 .LBB74_58
; %bb.68:                               ;   in Loop: Header=BB74_59 Depth=3
	s_delay_alu instid0(VALU_DEP_3)
	v_dual_mov_b32 v15, v2 :: v_dual_mov_b32 v14, v1
	v_dual_mov_b32 v17, v4 :: v_dual_mov_b32 v16, v3
	s_and_b32 vcc_lo, exec_lo, s33
	s_cbranch_vccnz .LBB74_60
	s_branch .LBB74_63
.LBB74_69:                              ;   in Loop: Header=BB74_10 Depth=1
	s_and_not1_b32 vcc_lo, exec_lo, s34
	s_waitcnt lgkmcnt(0)
	buffer_gl0_inv
	s_cbranch_vccnz .LBB74_82
; %bb.70:                               ;   in Loop: Header=BB74_10 Depth=1
	v_mov_b32_e32 v14, v28
	s_mov_b32 s22, 0
	s_mov_b32 s23, 0
	s_branch .LBB74_72
.LBB74_71:                              ;   in Loop: Header=BB74_72 Depth=2
	s_or_b32 exec_lo, exec_lo, s3
	v_add_nc_u32_e32 v14, 16, v14
	s_add_i32 s23, s23, 1
	s_addk_i32 s22, 0x110
	s_cmp_eq_u32 s23, s29
	s_waitcnt lgkmcnt(0)
	buffer_gl0_inv
	s_cbranch_scc1 .LBB74_82
.LBB74_72:                              ;   Parent Loop BB74_10 Depth=1
                                        ; =>  This Loop Header: Depth=2
                                        ;       Child Loop BB74_78 Depth 3
                                        ;       Child Loop BB74_81 Depth 3
	s_lshl_b32 s24, s23, 4
	s_mul_i32 s3, s23, 0x110
	v_mad_u32_u24 v15, 0x110, v9, s24
	s_add_i32 s3, s24, s3
	s_delay_alu instid0(SALU_CYCLE_1)
	v_mov_b32_e32 v1, s3
	ds_load_b128 v[5:8], v1
	ds_load_b128 v[1:4], v15 offset:8704
	s_waitcnt lgkmcnt(1)
	v_cmp_neq_f64_e32 vcc_lo, 0, v[5:6]
	v_cmp_neq_f64_e64 s3, 0, v[7:8]
	s_delay_alu instid0(VALU_DEP_1) | instskip(SKIP_4) | instid1(SALU_CYCLE_1)
	s_or_b32 vcc_lo, vcc_lo, s3
	v_cndmask_b32_e32 v10, 0, v5, vcc_lo
	v_cndmask_b32_e32 v11, 0x3ff00000, v6, vcc_lo
	v_dual_cndmask_b32 v13, 0, v8 :: v_dual_cndmask_b32 v12, 0, v7
	s_or_b32 s3, vcc_lo, s2
	s_xor_b32 s24, s3, -1
	s_delay_alu instid0(SALU_CYCLE_1)
	s_and_saveexec_b32 s3, s24
	s_cbranch_execz .LBB74_76
; %bb.73:                               ;   in Loop: Header=BB74_72 Depth=2
	v_mbcnt_lo_u32_b32 v5, exec_lo, 0
	s_mov_b32 s24, exec_lo
	s_delay_alu instid0(VALU_DEP_1)
	v_cmpx_eq_u32_e32 0, v5
	s_cbranch_execz .LBB74_75
; %bb.74:                               ;   in Loop: Header=BB74_72 Depth=2
	v_mov_b32_e32 v5, s37
	global_atomic_min_i32 v0, v5, s[10:11]
.LBB74_75:                              ;   in Loop: Header=BB74_72 Depth=2
	s_or_b32 exec_lo, exec_lo, s24
	v_mov_b32_e32 v10, 0
	v_dual_mov_b32 v11, 0x3ff00000 :: v_dual_mov_b32 v12, 0
	v_mov_b32_e32 v13, 0
.LBB74_76:                              ;   in Loop: Header=BB74_72 Depth=2
	s_or_b32 exec_lo, exec_lo, s3
	v_lshl_add_u32 v5, s23, 4, v19
	s_cmp_eq_u32 s23, 0
	ds_load_b128 v[5:8], v5 offset:4352
	s_cbranch_scc1 .LBB74_79
; %bb.77:                               ;   in Loop: Header=BB74_72 Depth=2
	v_mov_b32_e32 v16, v26
	s_mov_b32 s3, 0
	s_mov_b32 s24, s22
	.p2align	6
.LBB74_78:                              ;   Parent Loop BB74_10 Depth=1
                                        ;     Parent Loop BB74_72 Depth=2
                                        ; =>    This Inner Loop Header: Depth=3
	s_delay_alu instid0(SALU_CYCLE_1)
	v_mov_b32_e32 v17, s24
	s_add_i32 s3, s3, 1
	s_add_i32 s24, s24, 16
	s_cmp_ge_u32 s3, s23
	ds_load_b128 v[31:34], v16
	ds_load_b128 v[35:38], v17
	v_add_nc_u32_e32 v16, 16, v16
	s_waitcnt lgkmcnt(0)
	v_fma_f64 v[5:6], v[35:36], v[31:32], v[5:6]
	v_fma_f64 v[7:8], v[37:38], v[31:32], v[7:8]
	s_delay_alu instid0(VALU_DEP_2) | instskip(NEXT) | instid1(VALU_DEP_2)
	v_fma_f64 v[5:6], v[37:38], v[33:34], v[5:6]
	v_fma_f64 v[7:8], v[35:36], -v[33:34], v[7:8]
	s_cbranch_scc0 .LBB74_78
.LBB74_79:                              ;   in Loop: Header=BB74_72 Depth=2
	v_mul_f64 v[16:17], v[12:13], v[12:13]
	s_waitcnt lgkmcnt(0)
	s_delay_alu instid0(VALU_DEP_2) | instskip(NEXT) | instid1(VALU_DEP_4)
	v_add_f64 v[3:4], v[3:4], -v[7:8]
	v_add_f64 v[1:2], v[1:2], -v[5:6]
	v_add_nc_u32_e32 v15, 0x2200, v15
	s_delay_alu instid0(VALU_DEP_4) | instskip(NEXT) | instid1(VALU_DEP_4)
	v_fma_f64 v[16:17], v[10:11], v[10:11], v[16:17]
	v_mul_f64 v[5:6], v[12:13], v[3:4]
	s_delay_alu instid0(VALU_DEP_4) | instskip(NEXT) | instid1(VALU_DEP_3)
	v_mul_f64 v[12:13], v[12:13], -v[1:2]
	v_div_scale_f64 v[31:32], null, v[16:17], v[16:17], 1.0
	v_div_scale_f64 v[37:38], vcc_lo, 1.0, v[16:17], 1.0
	s_delay_alu instid0(VALU_DEP_4) | instskip(NEXT) | instid1(VALU_DEP_4)
	v_fma_f64 v[1:2], v[1:2], v[10:11], v[5:6]
	v_fma_f64 v[3:4], v[3:4], v[10:11], v[12:13]
	s_delay_alu instid0(VALU_DEP_4) | instskip(SKIP_2) | instid1(VALU_DEP_1)
	v_rcp_f64_e32 v[33:34], v[31:32]
	s_waitcnt_depctr 0xfff
	v_fma_f64 v[35:36], -v[31:32], v[33:34], 1.0
	v_fma_f64 v[33:34], v[33:34], v[35:36], v[33:34]
	s_delay_alu instid0(VALU_DEP_1) | instskip(NEXT) | instid1(VALU_DEP_1)
	v_fma_f64 v[35:36], -v[31:32], v[33:34], 1.0
	v_fma_f64 v[33:34], v[33:34], v[35:36], v[33:34]
	s_delay_alu instid0(VALU_DEP_1) | instskip(NEXT) | instid1(VALU_DEP_1)
	v_mul_f64 v[35:36], v[37:38], v[33:34]
	v_fma_f64 v[7:8], -v[31:32], v[35:36], v[37:38]
	s_delay_alu instid0(VALU_DEP_1) | instskip(NEXT) | instid1(VALU_DEP_1)
	v_div_fmas_f64 v[7:8], v[7:8], v[33:34], v[35:36]
	v_div_fixup_f64 v[5:6], v[7:8], v[16:17], 1.0
	s_delay_alu instid0(VALU_DEP_1)
	v_mul_f64 v[1:2], v[5:6], v[1:2]
	v_mul_f64 v[3:4], v[5:6], v[3:4]
	ds_store_b128 v15, v[1:4]
	s_waitcnt lgkmcnt(0)
	s_waitcnt_vscnt null, 0x0
	buffer_gl0_inv
	s_and_saveexec_b32 s3, s0
	s_cbranch_execz .LBB74_71
; %bb.80:                               ;   in Loop: Header=BB74_72 Depth=2
	v_dual_mov_b32 v5, v29 :: v_dual_mov_b32 v6, v14
	v_mov_b32_e32 v7, v18
	s_mov_b32 s24, 0
	.p2align	6
.LBB74_81:                              ;   Parent Loop BB74_10 Depth=1
                                        ;     Parent Loop BB74_72 Depth=2
                                        ; =>    This Inner Loop Header: Depth=3
	ds_load_b128 v[10:13], v6
	ds_load_b128 v[31:34], v5
	v_add_nc_u32_e32 v7, 4, v7
	v_add_nc_u32_e32 v6, 0x440, v6
	s_delay_alu instid0(VALU_DEP_2) | instskip(SKIP_4) | instid1(VALU_DEP_2)
	v_cmp_le_i32_e32 vcc_lo, s29, v7
	s_or_b32 s24, vcc_lo, s24
	s_waitcnt lgkmcnt(0)
	v_fma_f64 v[15:16], v[1:2], v[10:11], v[31:32]
	v_fma_f64 v[31:32], v[3:4], v[10:11], v[33:34]
	;; [unrolled: 1-line block ×3, first 2 shown]
	s_delay_alu instid0(VALU_DEP_2)
	v_fma_f64 v[12:13], v[1:2], -v[12:13], v[31:32]
	ds_store_b128 v5, v[10:13]
	v_add_nc_u32_e32 v5, 64, v5
	s_and_not1_b32 exec_lo, exec_lo, s24
	s_cbranch_execnz .LBB74_81
	s_branch .LBB74_71
.LBB74_82:                              ;   in Loop: Header=BB74_10 Depth=1
	s_and_saveexec_b32 s3, s0
	s_cbranch_execz .LBB74_9
; %bb.83:                               ;   in Loop: Header=BB74_10 Depth=1
	v_mov_b32_e32 v3, v30
	v_mov_b32_e32 v4, v18
	s_mov_b32 s22, 0
	s_set_inst_prefetch_distance 0x1
	s_branch .LBB74_86
	.p2align	6
.LBB74_84:                              ;   in Loop: Header=BB74_86 Depth=2
	ds_load_2addr_b64 v[5:8], v3 offset1:1
	v_ashrrev_i32_e32 v2, 31, v1
	s_delay_alu instid0(VALU_DEP_1) | instskip(NEXT) | instid1(VALU_DEP_1)
	v_lshlrev_b64 v[1:2], 4, v[1:2]
	v_add_co_u32 v1, vcc_lo, s18, v1
	s_delay_alu instid0(VALU_DEP_2)
	v_add_co_ci_u32_e32 v2, vcc_lo, s19, v2, vcc_lo
	s_waitcnt lgkmcnt(0)
	global_store_b128 v[1:2], v[5:8], off
.LBB74_85:                              ;   in Loop: Header=BB74_86 Depth=2
	s_or_b32 exec_lo, exec_lo, s23
	v_add_nc_u32_e32 v4, 4, v4
	v_add_nc_u32_e32 v3, 64, v3
	s_delay_alu instid0(VALU_DEP_2) | instskip(SKIP_1) | instid1(SALU_CYCLE_1)
	v_cmp_le_i32_e32 vcc_lo, s29, v4
	s_or_b32 s22, vcc_lo, s22
	s_and_not1_b32 exec_lo, exec_lo, s22
	s_cbranch_execz .LBB74_9
.LBB74_86:                              ;   Parent Loop BB74_10 Depth=1
                                        ; =>  This Inner Loop Header: Depth=2
	s_and_saveexec_b32 s23, s1
	s_cbranch_execz .LBB74_85
; %bb.87:                               ;   in Loop: Header=BB74_86 Depth=2
	s_and_b32 vcc_lo, exec_lo, s33
	s_cbranch_vccz .LBB74_89
; %bb.88:                               ;   in Loop: Header=BB74_86 Depth=2
	v_add_nc_u32_e32 v5, s21, v4
	s_delay_alu instid0(VALU_DEP_1)
	v_mad_u64_u32 v[1:2], null, v5, s29, v[9:10]
	s_cbranch_execnz .LBB74_84
	s_branch .LBB74_90
.LBB74_89:                              ;   in Loop: Header=BB74_86 Depth=2
                                        ; implicit-def: $vgpr1
.LBB74_90:                              ;   in Loop: Header=BB74_86 Depth=2
	v_add_nc_u32_e32 v1, v27, v4
	s_branch .LBB74_84
.LBB74_91:                              ;   in Loop: Header=BB74_10 Depth=1
                                        ; implicit-def: $sgpr20
                                        ; implicit-def: $vgpr27
	s_cbranch_execz .LBB74_10
.LBB74_92:
	v_cmp_gt_i32_e64 s0, s29, v18
	s_delay_alu instid0(VALU_DEP_1)
	s_and_saveexec_b32 s4, s0
	s_cbranch_execz .LBB74_105
; %bb.93:
	s_mul_i32 s5, s28, s29
	v_cmp_gt_i32_e64 s1, s29, v9
	v_add_nc_u32_e32 v0, s5, v9
	v_add3_u32 v7, v19, v20, 0x2200
	v_mov_b32_e32 v8, v18
	s_cmp_lg_u32 s30, 0
	s_mov_b32 s12, 0
	v_mul_lo_u32 v6, v0, s29
	s_cselect_b32 s13, -1, 0
	s_branch .LBB74_95
.LBB74_94:                              ;   in Loop: Header=BB74_95 Depth=1
	s_or_b32 exec_lo, exec_lo, s2
	v_add_nc_u32_e32 v8, 4, v8
	s_waitcnt vmcnt(0)
	ds_store_b128 v7, v[0:3]
	v_add_nc_u32_e32 v7, 64, v7
	v_cmp_le_i32_e32 vcc_lo, s29, v8
	s_or_b32 s12, vcc_lo, s12
	s_delay_alu instid0(SALU_CYCLE_1)
	s_and_not1_b32 exec_lo, exec_lo, s12
	s_cbranch_execz .LBB74_105
.LBB74_95:                              ; =>This Inner Loop Header: Depth=1
	s_and_b32 vcc_lo, exec_lo, s13
	s_cbranch_vccz .LBB74_99
; %bb.96:                               ;   in Loop: Header=BB74_95 Depth=1
	s_mov_b32 s15, 0
	s_mov_b32 s14, 0
                                        ; implicit-def: $vgpr4
	s_and_saveexec_b32 s2, s1
	s_delay_alu instid0(SALU_CYCLE_1)
	s_xor_b32 s2, exec_lo, s2
; %bb.97:                               ;   in Loop: Header=BB74_95 Depth=1
	v_add_nc_u32_e32 v0, s5, v8
	s_mov_b32 s14, exec_lo
	s_delay_alu instid0(VALU_DEP_1)
	v_mad_u64_u32 v[4:5], null, v0, s29, v[9:10]
; %bb.98:                               ;   in Loop: Header=BB74_95 Depth=1
	s_or_b32 exec_lo, exec_lo, s2
	s_mov_b64 s[2:3], 0
	s_and_b32 vcc_lo, exec_lo, s15
	s_cbranch_vccnz .LBB74_100
	s_branch .LBB74_103
.LBB74_99:                              ;   in Loop: Header=BB74_95 Depth=1
	s_mov_b32 s14, 0
                                        ; implicit-def: $vgpr4
                                        ; implicit-def: $sgpr2_sgpr3
	s_cbranch_execz .LBB74_103
.LBB74_100:                             ;   in Loop: Header=BB74_95 Depth=1
                                        ; implicit-def: $vgpr4
	s_and_saveexec_b32 s2, s1
; %bb.101:                              ;   in Loop: Header=BB74_95 Depth=1
	v_add_nc_u32_e32 v4, v6, v8
	s_or_b32 s14, s14, exec_lo
; %bb.102:                              ;   in Loop: Header=BB74_95 Depth=1
	s_or_b32 exec_lo, exec_lo, s2
	s_mov_b64 s[2:3], 0
.LBB74_103:                             ;   in Loop: Header=BB74_95 Depth=1
	s_delay_alu instid0(SALU_CYCLE_1)
	v_dual_mov_b32 v0, s2 :: v_dual_mov_b32 v1, s3
	v_dual_mov_b32 v2, s2 :: v_dual_mov_b32 v3, s3
	s_and_saveexec_b32 s2, s14
	s_cbranch_execz .LBB74_94
; %bb.104:                              ;   in Loop: Header=BB74_95 Depth=1
	v_ashrrev_i32_e32 v5, 31, v4
	s_delay_alu instid0(VALU_DEP_1) | instskip(NEXT) | instid1(VALU_DEP_1)
	v_lshlrev_b64 v[0:1], 4, v[4:5]
	v_add_co_u32 v0, vcc_lo, s18, v0
	s_delay_alu instid0(VALU_DEP_2)
	v_add_co_ci_u32_e32 v1, vcc_lo, s19, v1, vcc_lo
	global_load_b128 v[0:3], v[0:1], off
	s_branch .LBB74_94
.LBB74_105:
	s_or_b32 exec_lo, exec_lo, s4
; %bb.106:
	s_cmp_lt_i32 s29, 1
	s_waitcnt lgkmcnt(0)
	buffer_gl0_inv
	s_cbranch_scc1 .LBB74_125
; %bb.107:
	v_or_b32_e32 v0, v18, v9
	v_mad_u32_u24 v1, 0x110, v9, v21
	s_movk_i32 s2, 0x2200
	v_add3_u32 v13, v19, v20, 0x3300
	v_mad_u32_u24 v12, 0x110, v18, s2
	v_cmp_ne_u32_e64 s1, 0, v0
	v_add_nc_u32_e32 v10, 0x2200, v1
	v_dual_mov_b32 v2, 0 :: v_dual_add_nc_u32 v11, 0x3300, v1
	s_mov_b32 s3, 0
	s_add_i32 s4, s16, s17
	s_branch .LBB74_109
.LBB74_108:                             ;   in Loop: Header=BB74_109 Depth=1
	s_or_b32 exec_lo, exec_lo, s2
	v_add_nc_u32_e32 v12, 16, v12
	s_add_i32 s3, s3, 1
	s_waitcnt lgkmcnt(0)
	s_waitcnt_vscnt null, 0x0
	buffer_gl0_inv
	s_cmp_eq_u32 s3, s29
	s_cbranch_scc1 .LBB74_125
.LBB74_109:                             ; =>This Loop Header: Depth=1
                                        ;     Child Loop BB74_124 Depth 2
	s_mov_b32 s5, exec_lo
	v_cmpx_eq_u32_e64 s3, v9
	s_cbranch_execz .LBB74_117
; %bb.110:                              ;   in Loop: Header=BB74_109 Depth=1
	ds_load_b128 v[3:6], v11
	ds_load_b128 v[14:17], v10
	s_waitcnt lgkmcnt(0)
	v_add_f64 v[0:1], v[14:15], -v[3:4]
	v_add_f64 v[7:8], v[16:17], -v[5:6]
                                        ; implicit-def: $vgpr5_vgpr6
	s_delay_alu instid0(VALU_DEP_2) | instskip(NEXT) | instid1(VALU_DEP_2)
	v_cmp_gt_f64_e32 vcc_lo, 0, v[0:1]
	v_cmp_gt_f64_e64 s2, 0, v[7:8]
	v_xor_b32_e32 v3, 0x80000000, v1
	v_xor_b32_e32 v4, 0x80000000, v8
	s_delay_alu instid0(VALU_DEP_2) | instskip(NEXT) | instid1(VALU_DEP_2)
	v_dual_cndmask_b32 v1, v1, v3 :: v_dual_cndmask_b32 v0, v0, v0
	v_cndmask_b32_e64 v4, v8, v4, s2
	v_cndmask_b32_e64 v3, v7, v7, s2
	s_mov_b32 s2, exec_lo
	s_delay_alu instid0(VALU_DEP_1)
	v_cmpx_ngt_f64_e32 v[0:1], v[3:4]
	s_xor_b32 s2, exec_lo, s2
	s_cbranch_execz .LBB74_114
; %bb.111:                              ;   in Loop: Header=BB74_109 Depth=1
	v_mov_b32_e32 v5, 0
	v_mov_b32_e32 v6, 0
	s_mov_b32 s12, exec_lo
	v_cmpx_neq_f64_e32 0, v[7:8]
	s_cbranch_execz .LBB74_113
; %bb.112:                              ;   in Loop: Header=BB74_109 Depth=1
	v_div_scale_f64 v[5:6], null, v[3:4], v[3:4], v[0:1]
	v_div_scale_f64 v[16:17], vcc_lo, v[0:1], v[3:4], v[0:1]
	s_delay_alu instid0(VALU_DEP_2) | instskip(SKIP_2) | instid1(VALU_DEP_1)
	v_rcp_f64_e32 v[7:8], v[5:6]
	s_waitcnt_depctr 0xfff
	v_fma_f64 v[14:15], -v[5:6], v[7:8], 1.0
	v_fma_f64 v[7:8], v[7:8], v[14:15], v[7:8]
	s_delay_alu instid0(VALU_DEP_1) | instskip(NEXT) | instid1(VALU_DEP_1)
	v_fma_f64 v[14:15], -v[5:6], v[7:8], 1.0
	v_fma_f64 v[7:8], v[7:8], v[14:15], v[7:8]
	s_delay_alu instid0(VALU_DEP_1) | instskip(NEXT) | instid1(VALU_DEP_1)
	v_mul_f64 v[14:15], v[16:17], v[7:8]
	v_fma_f64 v[5:6], -v[5:6], v[14:15], v[16:17]
	s_delay_alu instid0(VALU_DEP_1) | instskip(NEXT) | instid1(VALU_DEP_1)
	v_div_fmas_f64 v[5:6], v[5:6], v[7:8], v[14:15]
	v_div_fixup_f64 v[0:1], v[5:6], v[3:4], v[0:1]
	s_delay_alu instid0(VALU_DEP_1) | instskip(NEXT) | instid1(VALU_DEP_1)
	v_fma_f64 v[0:1], v[0:1], v[0:1], 1.0
	v_cmp_gt_f64_e32 vcc_lo, 0x10000000, v[0:1]
	v_cndmask_b32_e64 v5, 0, 1, vcc_lo
	s_delay_alu instid0(VALU_DEP_1) | instskip(NEXT) | instid1(VALU_DEP_1)
	v_lshlrev_b32_e32 v5, 8, v5
	v_ldexp_f64 v[0:1], v[0:1], v5
	s_delay_alu instid0(VALU_DEP_1) | instskip(SKIP_3) | instid1(VALU_DEP_1)
	v_rsq_f64_e32 v[5:6], v[0:1]
	s_waitcnt_depctr 0xfff
	v_mul_f64 v[7:8], v[0:1], v[5:6]
	v_mul_f64 v[5:6], v[5:6], 0.5
	v_fma_f64 v[14:15], -v[5:6], v[7:8], 0.5
	s_delay_alu instid0(VALU_DEP_1) | instskip(SKIP_1) | instid1(VALU_DEP_2)
	v_fma_f64 v[7:8], v[7:8], v[14:15], v[7:8]
	v_fma_f64 v[5:6], v[5:6], v[14:15], v[5:6]
	v_fma_f64 v[14:15], -v[7:8], v[7:8], v[0:1]
	s_delay_alu instid0(VALU_DEP_1) | instskip(NEXT) | instid1(VALU_DEP_1)
	v_fma_f64 v[7:8], v[14:15], v[5:6], v[7:8]
	v_fma_f64 v[14:15], -v[7:8], v[7:8], v[0:1]
	s_delay_alu instid0(VALU_DEP_1) | instskip(SKIP_2) | instid1(VALU_DEP_2)
	v_fma_f64 v[5:6], v[14:15], v[5:6], v[7:8]
	v_cndmask_b32_e64 v7, 0, 0xffffff80, vcc_lo
	v_cmp_class_f64_e64 vcc_lo, v[0:1], 0x260
	v_ldexp_f64 v[5:6], v[5:6], v7
	s_delay_alu instid0(VALU_DEP_1) | instskip(NEXT) | instid1(VALU_DEP_1)
	v_dual_cndmask_b32 v1, v6, v1 :: v_dual_cndmask_b32 v0, v5, v0
	v_mul_f64 v[5:6], v[3:4], v[0:1]
.LBB74_113:                             ;   in Loop: Header=BB74_109 Depth=1
	s_or_b32 exec_lo, exec_lo, s12
                                        ; implicit-def: $vgpr0_vgpr1
                                        ; implicit-def: $vgpr3_vgpr4
.LBB74_114:                             ;   in Loop: Header=BB74_109 Depth=1
	s_and_not1_saveexec_b32 s2, s2
	s_cbranch_execz .LBB74_116
; %bb.115:                              ;   in Loop: Header=BB74_109 Depth=1
	v_div_scale_f64 v[5:6], null, v[0:1], v[0:1], v[3:4]
	v_div_scale_f64 v[16:17], vcc_lo, v[3:4], v[0:1], v[3:4]
	s_delay_alu instid0(VALU_DEP_2) | instskip(SKIP_2) | instid1(VALU_DEP_1)
	v_rcp_f64_e32 v[7:8], v[5:6]
	s_waitcnt_depctr 0xfff
	v_fma_f64 v[14:15], -v[5:6], v[7:8], 1.0
	v_fma_f64 v[7:8], v[7:8], v[14:15], v[7:8]
	s_delay_alu instid0(VALU_DEP_1) | instskip(NEXT) | instid1(VALU_DEP_1)
	v_fma_f64 v[14:15], -v[5:6], v[7:8], 1.0
	v_fma_f64 v[7:8], v[7:8], v[14:15], v[7:8]
	s_delay_alu instid0(VALU_DEP_1) | instskip(NEXT) | instid1(VALU_DEP_1)
	v_mul_f64 v[14:15], v[16:17], v[7:8]
	v_fma_f64 v[5:6], -v[5:6], v[14:15], v[16:17]
	s_delay_alu instid0(VALU_DEP_1) | instskip(NEXT) | instid1(VALU_DEP_1)
	v_div_fmas_f64 v[5:6], v[5:6], v[7:8], v[14:15]
	v_div_fixup_f64 v[3:4], v[5:6], v[0:1], v[3:4]
	s_delay_alu instid0(VALU_DEP_1) | instskip(NEXT) | instid1(VALU_DEP_1)
	v_fma_f64 v[3:4], v[3:4], v[3:4], 1.0
	v_cmp_gt_f64_e32 vcc_lo, 0x10000000, v[3:4]
	v_cndmask_b32_e64 v5, 0, 1, vcc_lo
	s_delay_alu instid0(VALU_DEP_1) | instskip(NEXT) | instid1(VALU_DEP_1)
	v_lshlrev_b32_e32 v5, 8, v5
	v_ldexp_f64 v[3:4], v[3:4], v5
	s_delay_alu instid0(VALU_DEP_1) | instskip(SKIP_3) | instid1(VALU_DEP_1)
	v_rsq_f64_e32 v[5:6], v[3:4]
	s_waitcnt_depctr 0xfff
	v_mul_f64 v[7:8], v[3:4], v[5:6]
	v_mul_f64 v[5:6], v[5:6], 0.5
	v_fma_f64 v[14:15], -v[5:6], v[7:8], 0.5
	s_delay_alu instid0(VALU_DEP_1) | instskip(SKIP_1) | instid1(VALU_DEP_2)
	v_fma_f64 v[7:8], v[7:8], v[14:15], v[7:8]
	v_fma_f64 v[5:6], v[5:6], v[14:15], v[5:6]
	v_fma_f64 v[14:15], -v[7:8], v[7:8], v[3:4]
	s_delay_alu instid0(VALU_DEP_1) | instskip(NEXT) | instid1(VALU_DEP_1)
	v_fma_f64 v[7:8], v[14:15], v[5:6], v[7:8]
	v_fma_f64 v[14:15], -v[7:8], v[7:8], v[3:4]
	s_delay_alu instid0(VALU_DEP_1) | instskip(SKIP_2) | instid1(VALU_DEP_2)
	v_fma_f64 v[5:6], v[14:15], v[5:6], v[7:8]
	v_cndmask_b32_e64 v7, 0, 0xffffff80, vcc_lo
	v_cmp_class_f64_e64 vcc_lo, v[3:4], 0x260
	v_ldexp_f64 v[5:6], v[5:6], v7
	s_delay_alu instid0(VALU_DEP_1) | instskip(NEXT) | instid1(VALU_DEP_1)
	v_dual_cndmask_b32 v4, v6, v4 :: v_dual_cndmask_b32 v3, v5, v3
	v_mul_f64 v[5:6], v[0:1], v[3:4]
.LBB74_116:                             ;   in Loop: Header=BB74_109 Depth=1
	s_or_b32 exec_lo, exec_lo, s2
	s_delay_alu instid0(VALU_DEP_1) | instskip(SKIP_1) | instid1(VALU_DEP_1)
	v_cmp_gt_f64_e32 vcc_lo, 0x10000000, v[5:6]
	v_cndmask_b32_e64 v0, 0, 1, vcc_lo
	v_lshlrev_b32_e32 v0, 8, v0
	s_delay_alu instid0(VALU_DEP_1) | instskip(NEXT) | instid1(VALU_DEP_1)
	v_ldexp_f64 v[0:1], v[5:6], v0
	v_rsq_f64_e32 v[3:4], v[0:1]
	s_waitcnt_depctr 0xfff
	v_mul_f64 v[5:6], v[0:1], v[3:4]
	v_mul_f64 v[3:4], v[3:4], 0.5
	s_delay_alu instid0(VALU_DEP_1) | instskip(NEXT) | instid1(VALU_DEP_1)
	v_fma_f64 v[7:8], -v[3:4], v[5:6], 0.5
	v_fma_f64 v[5:6], v[5:6], v[7:8], v[5:6]
	v_fma_f64 v[3:4], v[3:4], v[7:8], v[3:4]
	s_delay_alu instid0(VALU_DEP_2) | instskip(NEXT) | instid1(VALU_DEP_1)
	v_fma_f64 v[7:8], -v[5:6], v[5:6], v[0:1]
	v_fma_f64 v[5:6], v[7:8], v[3:4], v[5:6]
	s_delay_alu instid0(VALU_DEP_1) | instskip(NEXT) | instid1(VALU_DEP_1)
	v_fma_f64 v[7:8], -v[5:6], v[5:6], v[0:1]
	v_fma_f64 v[3:4], v[7:8], v[3:4], v[5:6]
	v_cndmask_b32_e64 v5, 0, 0xffffff80, vcc_lo
	v_cmp_class_f64_e64 vcc_lo, v[0:1], 0x260
	s_delay_alu instid0(VALU_DEP_2) | instskip(NEXT) | instid1(VALU_DEP_1)
	v_ldexp_f64 v[3:4], v[3:4], v5
	v_dual_cndmask_b32 v1, v4, v1 :: v_dual_cndmask_b32 v0, v3, v0
	v_mov_b32_e32 v3, v2
	ds_store_b128 v10, v[0:3]
.LBB74_117:                             ;   in Loop: Header=BB74_109 Depth=1
	s_or_b32 exec_lo, exec_lo, s5
	s_lshl_b32 s5, s3, 4
	s_mul_i32 s2, s3, 0x110
	s_waitcnt lgkmcnt(0)
	buffer_gl0_inv
	s_add_i32 s2, s2, s5
	v_mad_u32_u24 v14, 0x110, v9, s5
	v_mov_b32_e32 v0, s2
	ds_load_b128 v[3:6], v14 offset:8704
	ds_load_b128 v[21:24], v0 offset:8704
	s_waitcnt lgkmcnt(0)
	v_cmp_neq_f64_e32 vcc_lo, 0, v[21:22]
	v_cmp_neq_f64_e64 s2, 0, v[23:24]
	s_delay_alu instid0(VALU_DEP_1) | instskip(SKIP_4) | instid1(SALU_CYCLE_1)
	s_or_b32 vcc_lo, vcc_lo, s2
	v_dual_cndmask_b32 v1, 0, v24 :: v_dual_cndmask_b32 v0, 0, v23
	v_cndmask_b32_e32 v7, 0, v21, vcc_lo
	v_cndmask_b32_e32 v8, 0x3ff00000, v22, vcc_lo
	s_or_b32 s2, vcc_lo, s1
	s_xor_b32 s5, s2, -1
	s_delay_alu instid0(SALU_CYCLE_1)
	s_and_saveexec_b32 s2, s5
	s_cbranch_execz .LBB74_121
; %bb.118:                              ;   in Loop: Header=BB74_109 Depth=1
	v_mbcnt_lo_u32_b32 v0, exec_lo, 0
	s_mov_b32 s5, exec_lo
	s_delay_alu instid0(VALU_DEP_1)
	v_cmpx_eq_u32_e32 0, v0
	s_cbranch_execz .LBB74_120
; %bb.119:                              ;   in Loop: Header=BB74_109 Depth=1
	v_mov_b32_e32 v0, s4
	global_atomic_min_i32 v2, v0, s[10:11]
.LBB74_120:                             ;   in Loop: Header=BB74_109 Depth=1
	s_or_b32 exec_lo, exec_lo, s5
	v_dual_mov_b32 v0, 0 :: v_dual_mov_b32 v7, 0
	v_dual_mov_b32 v1, 0 :: v_dual_mov_b32 v8, 0x3ff00000
.LBB74_121:                             ;   in Loop: Header=BB74_109 Depth=1
	s_or_b32 exec_lo, exec_lo, s2
	s_delay_alu instid0(SALU_CYCLE_1)
	s_mov_b32 s2, exec_lo
	v_cmpx_lt_u32_e64 s3, v9
	s_cbranch_execz .LBB74_108
; %bb.122:                              ;   in Loop: Header=BB74_109 Depth=1
	v_mul_f64 v[15:16], v[0:1], v[0:1]
	v_lshl_add_u32 v17, s3, 4, v19
	s_delay_alu instid0(VALU_DEP_2) | instskip(NEXT) | instid1(VALU_DEP_1)
	v_fma_f64 v[15:16], v[7:8], v[7:8], v[15:16]
	v_div_scale_f64 v[25:26], null, v[15:16], v[15:16], 1.0
	v_div_scale_f64 v[27:28], vcc_lo, 1.0, v[15:16], 1.0
	s_delay_alu instid0(VALU_DEP_2) | instskip(SKIP_2) | instid1(VALU_DEP_1)
	v_rcp_f64_e32 v[21:22], v[25:26]
	s_waitcnt_depctr 0xfff
	v_fma_f64 v[23:24], -v[25:26], v[21:22], 1.0
	v_fma_f64 v[21:22], v[21:22], v[23:24], v[21:22]
	s_delay_alu instid0(VALU_DEP_1) | instskip(NEXT) | instid1(VALU_DEP_1)
	v_fma_f64 v[23:24], -v[25:26], v[21:22], 1.0
	v_fma_f64 v[29:30], v[21:22], v[23:24], v[21:22]
	ds_load_b128 v[21:24], v17 offset:13056
	s_waitcnt lgkmcnt(0)
	v_add_f64 v[5:6], v[5:6], -v[23:24]
	v_add_f64 v[3:4], v[3:4], -v[21:22]
	v_mul_f64 v[31:32], v[27:28], v[29:30]
	s_delay_alu instid0(VALU_DEP_3) | instskip(NEXT) | instid1(VALU_DEP_3)
	v_mul_f64 v[21:22], v[0:1], v[5:6]
	v_mul_f64 v[0:1], v[0:1], -v[3:4]
	s_delay_alu instid0(VALU_DEP_3) | instskip(NEXT) | instid1(VALU_DEP_3)
	v_fma_f64 v[23:24], -v[25:26], v[31:32], v[27:28]
	v_fma_f64 v[3:4], v[3:4], v[7:8], v[21:22]
	s_delay_alu instid0(VALU_DEP_3) | instskip(NEXT) | instid1(VALU_DEP_3)
	v_fma_f64 v[0:1], v[5:6], v[7:8], v[0:1]
	v_div_fmas_f64 v[23:24], v[23:24], v[29:30], v[31:32]
	s_delay_alu instid0(VALU_DEP_1) | instskip(NEXT) | instid1(VALU_DEP_1)
	v_div_fixup_f64 v[15:16], v[23:24], v[15:16], 1.0
	v_mul_f64 v[3:4], v[15:16], v[3:4]
	s_delay_alu instid0(VALU_DEP_4)
	v_mul_f64 v[5:6], v[15:16], v[0:1]
	v_add_nc_u32_e32 v0, 0x2200, v14
	ds_store_b128 v0, v[3:6]
	s_waitcnt lgkmcnt(0)
	s_waitcnt_vscnt null, 0x0
	buffer_gl0_inv
	s_and_b32 exec_lo, exec_lo, s0
	s_cbranch_execz .LBB74_108
; %bb.123:                              ;   in Loop: Header=BB74_109 Depth=1
	v_dual_mov_b32 v0, v13 :: v_dual_mov_b32 v1, v12
	v_mov_b32_e32 v7, v18
	s_mov_b32 s5, 0
	.p2align	6
.LBB74_124:                             ;   Parent Loop BB74_109 Depth=1
                                        ; =>  This Inner Loop Header: Depth=2
	ds_load_b128 v[14:17], v1
	ds_load_b128 v[21:24], v0
	v_add_nc_u32_e32 v7, 4, v7
	v_add_nc_u32_e32 v1, 0x440, v1
	s_delay_alu instid0(VALU_DEP_2) | instskip(SKIP_4) | instid1(VALU_DEP_2)
	v_cmp_le_i32_e32 vcc_lo, s29, v7
	s_or_b32 s5, vcc_lo, s5
	s_waitcnt lgkmcnt(0)
	v_fma_f64 v[21:22], v[3:4], v[14:15], v[21:22]
	v_fma_f64 v[23:24], v[5:6], v[14:15], v[23:24]
	;; [unrolled: 1-line block ×3, first 2 shown]
	s_delay_alu instid0(VALU_DEP_2)
	v_fma_f64 v[16:17], v[3:4], -v[16:17], v[23:24]
	ds_store_b128 v0, v[14:17]
	v_add_nc_u32_e32 v0, 64, v0
	s_and_not1_b32 exec_lo, exec_lo, s5
	s_cbranch_execnz .LBB74_124
	s_branch .LBB74_108
.LBB74_125:
	s_and_saveexec_b32 s1, s0
	s_cbranch_execz .LBB74_134
; %bb.126:
	s_mul_i32 s28, s28, s29
	v_cmp_gt_i32_e64 s0, s29, v9
	v_add_nc_u32_e32 v0, s28, v9
	v_add3_u32 v3, v19, v20, 0x2200
	v_mov_b32_e32 v4, v18
	s_cmp_lg_u32 s30, 0
	s_mov_b32 s2, 0
	v_mul_lo_u32 v2, v0, s29
	s_cselect_b32 s3, -1, 0
	s_set_inst_prefetch_distance 0x1
	s_branch .LBB74_129
	.p2align	6
.LBB74_127:                             ;   in Loop: Header=BB74_129 Depth=1
	ds_load_2addr_b64 v[5:8], v3 offset1:1
	v_ashrrev_i32_e32 v1, 31, v0
	s_delay_alu instid0(VALU_DEP_1) | instskip(NEXT) | instid1(VALU_DEP_1)
	v_lshlrev_b64 v[0:1], 4, v[0:1]
	v_add_co_u32 v0, vcc_lo, s18, v0
	s_delay_alu instid0(VALU_DEP_2)
	v_add_co_ci_u32_e32 v1, vcc_lo, s19, v1, vcc_lo
	s_waitcnt lgkmcnt(0)
	global_store_b128 v[0:1], v[5:8], off
.LBB74_128:                             ;   in Loop: Header=BB74_129 Depth=1
	s_or_b32 exec_lo, exec_lo, s4
	v_add_nc_u32_e32 v4, 4, v4
	v_add_nc_u32_e32 v3, 64, v3
	s_delay_alu instid0(VALU_DEP_2) | instskip(SKIP_1) | instid1(SALU_CYCLE_1)
	v_cmp_le_i32_e32 vcc_lo, s29, v4
	s_or_b32 s2, vcc_lo, s2
	s_and_not1_b32 exec_lo, exec_lo, s2
	s_cbranch_execz .LBB74_134
.LBB74_129:                             ; =>This Inner Loop Header: Depth=1
	s_and_saveexec_b32 s4, s0
	s_cbranch_execz .LBB74_128
; %bb.130:                              ;   in Loop: Header=BB74_129 Depth=1
	s_and_b32 vcc_lo, exec_lo, s3
	s_cbranch_vccz .LBB74_132
; %bb.131:                              ;   in Loop: Header=BB74_129 Depth=1
	v_add_nc_u32_e32 v5, s28, v4
	s_delay_alu instid0(VALU_DEP_1)
	v_mad_u64_u32 v[0:1], null, v5, s29, v[9:10]
	s_cbranch_execnz .LBB74_127
	s_branch .LBB74_133
.LBB74_132:                             ;   in Loop: Header=BB74_129 Depth=1
                                        ; implicit-def: $vgpr0
.LBB74_133:                             ;   in Loop: Header=BB74_129 Depth=1
	v_add_nc_u32_e32 v0, v2, v4
	s_branch .LBB74_127
.LBB74_134:
	s_set_inst_prefetch_distance 0x2
	s_or_b32 exec_lo, exec_lo, s1
	v_or_b32_e32 v0, v18, v9
	s_delay_alu instid0(VALU_DEP_1)
	v_cmp_eq_u32_e64 s3, 0, v0
.LBB74_135:
	s_delay_alu instid0(VALU_DEP_1)
	s_and_saveexec_b32 s0, s3
	s_cbranch_execnz .LBB74_143
.LBB74_136:
	s_nop 0
	s_sendmsg sendmsg(MSG_DEALLOC_VGPRS)
	s_endpgm
.LBB74_137:
	s_cbranch_execz .LBB74_135
; %bb.138:
	v_or_b32_e32 v0, v18, v9
	s_mov_b32 s0, exec_lo
	s_delay_alu instid0(VALU_DEP_1)
	v_cmpx_eq_u32_e32 0, v0
	s_cbranch_execz .LBB74_142
; %bb.139:
	v_mbcnt_lo_u32_b32 v0, exec_lo, 0
	s_mov_b32 s1, exec_lo
	s_delay_alu instid0(VALU_DEP_1)
	v_cmpx_eq_u32_e32 0, v0
	s_cbranch_execz .LBB74_141
; %bb.140:
	s_add_i32 s2, s16, s17
	s_delay_alu instid0(SALU_CYCLE_1)
	v_dual_mov_b32 v0, 0 :: v_dual_mov_b32 v1, s2
	global_atomic_min_i32 v0, v1, s[10:11]
.LBB74_141:
	s_or_b32 exec_lo, exec_lo, s1
	s_delay_alu instid0(SALU_CYCLE_1)
	s_or_b32 s3, s3, exec_lo
.LBB74_142:
	s_or_b32 exec_lo, exec_lo, s0
	s_and_saveexec_b32 s0, s3
	s_cbranch_execz .LBB74_136
.LBB74_143:
	v_dual_mov_b32 v0, 0 :: v_dual_mov_b32 v1, 1
	s_add_u32 s0, s6, s8
	s_addc_u32 s1, s7, s9
	s_waitcnt_vscnt null, 0x0
	global_store_b32 v0, v1, s[0:1]
	s_nop 0
	s_sendmsg sendmsg(MSG_DEALLOC_VGPRS)
	s_endpgm
	.section	.rodata,"a",@progbits
	.p2align	6, 0x0
	.amdhsa_kernel _ZN9rocsparseL18bsric0_9_16_kernelILi64ELi128ELi16E21rocsparse_complex_numIdEEEv20rocsparse_direction_iiPKiS5_PT2_S5_PiS5_S8_21rocsparse_index_base_
		.amdhsa_group_segment_fixed_size 18944
		.amdhsa_private_segment_fixed_size 0
		.amdhsa_kernarg_size 76
		.amdhsa_user_sgpr_count 15
		.amdhsa_user_sgpr_dispatch_ptr 0
		.amdhsa_user_sgpr_queue_ptr 0
		.amdhsa_user_sgpr_kernarg_segment_ptr 1
		.amdhsa_user_sgpr_dispatch_id 0
		.amdhsa_user_sgpr_private_segment_size 0
		.amdhsa_wavefront_size32 1
		.amdhsa_uses_dynamic_stack 0
		.amdhsa_enable_private_segment 0
		.amdhsa_system_sgpr_workgroup_id_x 1
		.amdhsa_system_sgpr_workgroup_id_y 0
		.amdhsa_system_sgpr_workgroup_id_z 0
		.amdhsa_system_sgpr_workgroup_info 0
		.amdhsa_system_vgpr_workitem_id 1
		.amdhsa_next_free_vgpr 39
		.amdhsa_next_free_sgpr 44
		.amdhsa_reserve_vcc 1
		.amdhsa_float_round_mode_32 0
		.amdhsa_float_round_mode_16_64 0
		.amdhsa_float_denorm_mode_32 3
		.amdhsa_float_denorm_mode_16_64 3
		.amdhsa_dx10_clamp 1
		.amdhsa_ieee_mode 1
		.amdhsa_fp16_overflow 0
		.amdhsa_workgroup_processor_mode 1
		.amdhsa_memory_ordered 1
		.amdhsa_forward_progress 0
		.amdhsa_shared_vgpr_count 0
		.amdhsa_exception_fp_ieee_invalid_op 0
		.amdhsa_exception_fp_denorm_src 0
		.amdhsa_exception_fp_ieee_div_zero 0
		.amdhsa_exception_fp_ieee_overflow 0
		.amdhsa_exception_fp_ieee_underflow 0
		.amdhsa_exception_fp_ieee_inexact 0
		.amdhsa_exception_int_div_zero 0
	.end_amdhsa_kernel
	.section	.text._ZN9rocsparseL18bsric0_9_16_kernelILi64ELi128ELi16E21rocsparse_complex_numIdEEEv20rocsparse_direction_iiPKiS5_PT2_S5_PiS5_S8_21rocsparse_index_base_,"axG",@progbits,_ZN9rocsparseL18bsric0_9_16_kernelILi64ELi128ELi16E21rocsparse_complex_numIdEEEv20rocsparse_direction_iiPKiS5_PT2_S5_PiS5_S8_21rocsparse_index_base_,comdat
.Lfunc_end74:
	.size	_ZN9rocsparseL18bsric0_9_16_kernelILi64ELi128ELi16E21rocsparse_complex_numIdEEEv20rocsparse_direction_iiPKiS5_PT2_S5_PiS5_S8_21rocsparse_index_base_, .Lfunc_end74-_ZN9rocsparseL18bsric0_9_16_kernelILi64ELi128ELi16E21rocsparse_complex_numIdEEEv20rocsparse_direction_iiPKiS5_PT2_S5_PiS5_S8_21rocsparse_index_base_
                                        ; -- End function
	.section	.AMDGPU.csdata,"",@progbits
; Kernel info:
; codeLenInByte = 5484
; NumSgprs: 46
; NumVgprs: 39
; ScratchSize: 0
; MemoryBound: 1
; FloatMode: 240
; IeeeMode: 1
; LDSByteSize: 18944 bytes/workgroup (compile time only)
; SGPRBlocks: 5
; VGPRBlocks: 4
; NumSGPRsForWavesPerEU: 46
; NumVGPRsForWavesPerEU: 39
; Occupancy: 3
; WaveLimiterHint : 1
; COMPUTE_PGM_RSRC2:SCRATCH_EN: 0
; COMPUTE_PGM_RSRC2:USER_SGPR: 15
; COMPUTE_PGM_RSRC2:TRAP_HANDLER: 0
; COMPUTE_PGM_RSRC2:TGID_X_EN: 1
; COMPUTE_PGM_RSRC2:TGID_Y_EN: 0
; COMPUTE_PGM_RSRC2:TGID_Z_EN: 0
; COMPUTE_PGM_RSRC2:TIDIG_COMP_CNT: 1
	.section	.text._ZN9rocsparseL19bsric0_17_32_kernelILi64ELi128ELi32E21rocsparse_complex_numIdEEEv20rocsparse_direction_iiPKiS5_PT2_S5_PiS5_S8_21rocsparse_index_base_,"axG",@progbits,_ZN9rocsparseL19bsric0_17_32_kernelILi64ELi128ELi32E21rocsparse_complex_numIdEEEv20rocsparse_direction_iiPKiS5_PT2_S5_PiS5_S8_21rocsparse_index_base_,comdat
	.globl	_ZN9rocsparseL19bsric0_17_32_kernelILi64ELi128ELi32E21rocsparse_complex_numIdEEEv20rocsparse_direction_iiPKiS5_PT2_S5_PiS5_S8_21rocsparse_index_base_ ; -- Begin function _ZN9rocsparseL19bsric0_17_32_kernelILi64ELi128ELi32E21rocsparse_complex_numIdEEEv20rocsparse_direction_iiPKiS5_PT2_S5_PiS5_S8_21rocsparse_index_base_
	.p2align	8
	.type	_ZN9rocsparseL19bsric0_17_32_kernelILi64ELi128ELi32E21rocsparse_complex_numIdEEEv20rocsparse_direction_iiPKiS5_PT2_S5_PiS5_S8_21rocsparse_index_base_,@function
_ZN9rocsparseL19bsric0_17_32_kernelILi64ELi128ELi32E21rocsparse_complex_numIdEEEv20rocsparse_direction_iiPKiS5_PT2_S5_PiS5_S8_21rocsparse_index_base_: ; @_ZN9rocsparseL19bsric0_17_32_kernelILi64ELi128ELi32E21rocsparse_complex_numIdEEEv20rocsparse_direction_iiPKiS5_PT2_S5_PiS5_S8_21rocsparse_index_base_
; %bb.0:
	s_load_b256 s[4:11], s[0:1], 0x28
	s_mov_b32 s2, s15
	s_mov_b32 s3, 0
	v_and_b32_e32 v18, 0x3ff, v0
	s_lshl_b64 s[12:13], s[2:3], 2
	v_bfe_u32 v9, v0, 10, 10
	s_waitcnt lgkmcnt(0)
	s_add_u32 s8, s8, s12
	s_addc_u32 s9, s9, s13
	s_load_b32 s16, s[8:9], 0x0
	s_waitcnt lgkmcnt(0)
	s_ashr_i32 s17, s16, 31
	s_delay_alu instid0(SALU_CYCLE_1) | instskip(NEXT) | instid1(SALU_CYCLE_1)
	s_lshl_b64 s[8:9], s[16:17], 2
	s_add_u32 s12, s4, s8
	s_addc_u32 s13, s5, s9
	s_load_b32 s28, s[12:13], 0x0
	s_load_b32 s17, s[0:1], 0x48
	s_waitcnt lgkmcnt(0)
	s_cmp_lg_u32 s28, -1
	s_cbranch_scc0 .LBB75_125
; %bb.1:
	s_clause 0x1
	s_load_b128 s[12:15], s[0:1], 0x10
	s_load_b64 s[18:19], s[0:1], 0x20
	v_lshlrev_b32_e32 v0, 1, v9
	s_waitcnt lgkmcnt(0)
	s_add_u32 s2, s12, s8
	s_addc_u32 s3, s13, s9
	s_load_b32 s2, s[2:3], 0x0
	s_waitcnt lgkmcnt(0)
	s_sub_i32 s31, s2, s17
	s_mov_b32 s2, exec_lo
	v_add3_u32 v0, v0, v18, s31
	s_delay_alu instid0(VALU_DEP_1)
	v_cmpx_ge_i32_e64 s28, v0
	s_cbranch_execz .LBB75_4
; %bb.2:
	v_lshlrev_b32_e32 v1, 3, v9
	v_lshlrev_b32_e32 v2, 2, v18
	s_mov_b32 s3, 0
	s_delay_alu instid0(VALU_DEP_1)
	v_add3_u32 v2, v1, v2, 0xca00
	.p2align	6
.LBB75_3:                               ; =>This Inner Loop Header: Depth=1
	v_ashrrev_i32_e32 v1, 31, v0
	s_delay_alu instid0(VALU_DEP_1) | instskip(SKIP_1) | instid1(VALU_DEP_2)
	v_lshlrev_b64 v[3:4], 2, v[0:1]
	v_add_nc_u32_e32 v0, 64, v0
	v_add_co_u32 v3, vcc_lo, s14, v3
	s_delay_alu instid0(VALU_DEP_3) | instskip(NEXT) | instid1(VALU_DEP_3)
	v_add_co_ci_u32_e32 v4, vcc_lo, s15, v4, vcc_lo
	v_cmp_lt_i32_e32 vcc_lo, s28, v0
	global_load_b32 v1, v[3:4], off
	s_or_b32 s3, vcc_lo, s3
	s_waitcnt vmcnt(0)
	v_subrev_nc_u32_e32 v1, s17, v1
	ds_store_b32 v2, v1
	v_add_nc_u32_e32 v2, 0x100, v2
	s_and_not1_b32 exec_lo, exec_lo, s3
	s_cbranch_execnz .LBB75_3
.LBB75_4:
	s_or_b32 exec_lo, exec_lo, s2
	v_mul_u32_u24_e32 v19, 0x210, v9
	v_lshlrev_b32_e32 v20, 4, v18
	s_mov_b32 s2, exec_lo
	v_cmpx_gt_u32_e32 32, v18
	s_cbranch_execz .LBB75_7
; %bb.5:
	v_mov_b32_e32 v0, 0
	v_add_nc_u32_e32 v4, -2, v18
	v_add3_u32 v5, v19, v20, 0x8400
	s_mov_b32 s3, 0
	s_delay_alu instid0(VALU_DEP_3)
	v_mov_b32_e32 v1, v0
	v_mov_b32_e32 v2, v0
	;; [unrolled: 1-line block ×3, first 2 shown]
.LBB75_6:                               ; =>This Inner Loop Header: Depth=1
	v_add_nc_u32_e32 v4, 2, v4
	ds_store_b128 v5, v[0:3]
	v_add_nc_u32_e32 v5, 32, v5
	v_cmp_lt_u32_e32 vcc_lo, 29, v4
	s_or_b32 s3, vcc_lo, s3
	s_delay_alu instid0(SALU_CYCLE_1)
	s_and_not1_b32 exec_lo, exec_lo, s3
	s_cbranch_execnz .LBB75_6
.LBB75_7:
	s_or_b32 exec_lo, exec_lo, s2
	s_clause 0x1
	s_load_b32 s29, s[0:1], 0x8
	s_load_b32 s30, s[0:1], 0x0
	s_cmp_ge_i32 s31, s28
	s_waitcnt lgkmcnt(0)
	buffer_gl0_inv
	v_cmp_gt_i32_e64 s0, s29, v18
	s_cbranch_scc1 .LBB75_80
; %bb.8:
	v_mad_u64_u32 v[0:1], null, s29, s31, v[9:10]
	v_or_b32_e32 v1, v18, v9
	v_mad_u32_u24 v22, 0x210, v9, v20
	s_cmp_eq_u32 s30, 0
	v_mul_lo_u32 v21, v9, s29
	v_mul_lo_u32 v23, v18, s29
	s_movk_i32 s3, 0x4200
	v_mul_lo_u32 v25, s29, v0
	s_cselect_b32 s33, -1, 0
	s_cmp_lg_u32 s30, 0
	v_cmp_gt_i32_e64 s1, s29, v9
	v_cmp_ne_u32_e64 s2, 0, v1
	v_mad_u32_u24 v24, 0x210, v9, s3
	v_mad_u32_u24 v26, 0x210, v18, s3
	v_dual_mov_b32 v0, 0 :: v_dual_add_nc_u32 v27, 0x8400, v22
	v_add_nc_u32_e32 v28, 0x4200, v22
	s_cselect_b32 s34, -1, 0
	s_cmp_gt_i32 s29, 0
	s_mul_i32 s36, s29, s29
	s_cselect_b32 s35, -1, 0
	s_lshl_b32 s37, s29, 1
	s_mov_b32 s20, s31
	s_branch .LBB75_10
.LBB75_9:                               ;   in Loop: Header=BB75_10 Depth=1
	s_set_inst_prefetch_distance 0x2
	s_or_b32 exec_lo, exec_lo, s3
	s_add_i32 s20, s20, 1
	v_add_nc_u32_e32 v25, s36, v25
	s_cmp_ge_i32 s20, s28
	s_waitcnt_vscnt null, 0x0
	buffer_gl1_inv
	buffer_gl0_inv
	s_cselect_b32 s3, -1, 0
	s_delay_alu instid0(SALU_CYCLE_1)
	s_and_b32 vcc_lo, exec_lo, s3
	s_cbranch_vccnz .LBB75_80
.LBB75_10:                              ; =>This Loop Header: Depth=1
                                        ;     Child Loop BB75_14 Depth 2
                                        ;     Child Loop BB75_27 Depth 2
	;; [unrolled: 1-line block ×4, first 2 shown]
                                        ;       Child Loop BB75_45 Depth 3
                                        ;     Child Loop BB75_58 Depth 2
                                        ;       Child Loop BB75_65 Depth 3
                                        ;       Child Loop BB75_69 Depth 3
                                        ;     Child Loop BB75_74 Depth 2
	s_ashr_i32 s21, s20, 31
	s_delay_alu instid0(SALU_CYCLE_1) | instskip(NEXT) | instid1(SALU_CYCLE_1)
	s_lshl_b64 s[22:23], s[20:21], 2
	s_add_u32 s22, s14, s22
	s_addc_u32 s23, s15, s23
	s_load_b32 s38, s[22:23], 0x0
	s_waitcnt lgkmcnt(0)
	s_sub_i32 s24, s38, s17
	s_delay_alu instid0(SALU_CYCLE_1) | instskip(NEXT) | instid1(SALU_CYCLE_1)
	s_ashr_i32 s25, s24, 31
	s_lshl_b64 s[22:23], s[24:25], 2
	s_delay_alu instid0(SALU_CYCLE_1)
	s_add_u32 s26, s4, s22
	s_addc_u32 s27, s5, s23
	s_load_b32 s3, s[26:27], 0x0
	s_waitcnt lgkmcnt(0)
	s_cmp_eq_u32 s3, -1
	s_cbranch_scc1 .LBB75_79
; %bb.11:                               ;   in Loop: Header=BB75_10 Depth=1
	s_add_u32 s26, s12, s22
	s_addc_u32 s27, s13, s23
	s_mul_i32 s21, s20, s29
	s_load_b32 s25, s[26:27], 0x0
	s_and_saveexec_b32 s39, s0
	s_cbranch_execz .LBB75_24
; %bb.12:                               ;   in Loop: Header=BB75_10 Depth=1
	v_mov_b32_e32 v8, v22
	v_mov_b32_e32 v10, v18
	s_mov_b32 s40, 0
	s_branch .LBB75_14
.LBB75_13:                              ;   in Loop: Header=BB75_14 Depth=2
	s_or_b32 exec_lo, exec_lo, s26
	v_dual_mov_b32 v1, v0 :: v_dual_add_nc_u32 v10, 2, v10
	v_mov_b32_e32 v2, v0
	v_mov_b32_e32 v3, v0
	s_waitcnt vmcnt(0)
	ds_store_b128 v8, v[4:7] offset:16896
	ds_store_b128 v8, v[0:3]
	v_add_nc_u32_e32 v8, 32, v8
	v_cmp_le_i32_e32 vcc_lo, s29, v10
	s_or_b32 s40, vcc_lo, s40
	s_delay_alu instid0(SALU_CYCLE_1)
	s_and_not1_b32 exec_lo, exec_lo, s40
	s_cbranch_execz .LBB75_24
.LBB75_14:                              ;   Parent Loop BB75_10 Depth=1
                                        ; =>  This Inner Loop Header: Depth=2
	s_and_b32 vcc_lo, exec_lo, s34
	s_cbranch_vccz .LBB75_18
; %bb.15:                               ;   in Loop: Header=BB75_14 Depth=2
	s_mov_b32 s42, 0
	s_mov_b32 s41, 0
                                        ; implicit-def: $vgpr1
	s_and_saveexec_b32 s26, s1
	s_delay_alu instid0(SALU_CYCLE_1)
	s_xor_b32 s26, exec_lo, s26
; %bb.16:                               ;   in Loop: Header=BB75_14 Depth=2
	v_add_nc_u32_e32 v3, s21, v10
	s_mov_b32 s41, exec_lo
	s_delay_alu instid0(VALU_DEP_1)
	v_mad_u64_u32 v[1:2], null, v3, s29, v[9:10]
; %bb.17:                               ;   in Loop: Header=BB75_14 Depth=2
	s_or_b32 exec_lo, exec_lo, s26
	s_mov_b64 s[26:27], 0
	s_and_b32 vcc_lo, exec_lo, s42
	s_cbranch_vccnz .LBB75_19
	s_branch .LBB75_22
.LBB75_18:                              ;   in Loop: Header=BB75_14 Depth=2
	s_mov_b32 s41, 0
                                        ; implicit-def: $vgpr1
                                        ; implicit-def: $sgpr26_sgpr27
	s_cbranch_execz .LBB75_22
.LBB75_19:                              ;   in Loop: Header=BB75_14 Depth=2
                                        ; implicit-def: $vgpr1
	s_and_saveexec_b32 s26, s1
; %bb.20:                               ;   in Loop: Header=BB75_14 Depth=2
	v_add_nc_u32_e32 v1, v25, v10
	s_or_b32 s41, s41, exec_lo
; %bb.21:                               ;   in Loop: Header=BB75_14 Depth=2
	s_or_b32 exec_lo, exec_lo, s26
	s_mov_b64 s[26:27], 0
.LBB75_22:                              ;   in Loop: Header=BB75_14 Depth=2
	s_delay_alu instid0(SALU_CYCLE_1)
	v_dual_mov_b32 v4, s26 :: v_dual_mov_b32 v5, s27
	v_dual_mov_b32 v6, s26 :: v_dual_mov_b32 v7, s27
	s_and_saveexec_b32 s26, s41
	s_cbranch_execz .LBB75_13
; %bb.23:                               ;   in Loop: Header=BB75_14 Depth=2
	v_ashrrev_i32_e32 v2, 31, v1
	s_delay_alu instid0(VALU_DEP_1) | instskip(NEXT) | instid1(VALU_DEP_1)
	v_lshlrev_b64 v[1:2], 4, v[1:2]
	v_add_co_u32 v1, vcc_lo, s18, v1
	s_delay_alu instid0(VALU_DEP_2)
	v_add_co_ci_u32_e32 v2, vcc_lo, s19, v2, vcc_lo
	global_load_b128 v[4:7], v[1:2], off
	s_branch .LBB75_13
.LBB75_24:                              ;   in Loop: Header=BB75_10 Depth=1
	s_or_b32 exec_lo, exec_lo, s39
; %bb.25:                               ;   in Loop: Header=BB75_10 Depth=1
	ds_load_b32 v1, v0 offset:51712
	s_waitcnt lgkmcnt(0)
	s_sub_i32 s26, s25, s17
	s_mov_b32 s27, 0
	s_cmp_le_i32 s26, s3
	s_cselect_b32 s25, -1, 0
	v_cmp_ge_i32_e32 vcc_lo, s24, v1
	s_and_b32 s25, s25, vcc_lo
	s_delay_alu instid0(SALU_CYCLE_1)
	s_and_not1_b32 vcc_lo, exec_lo, s25
	s_cbranch_vccnz .LBB75_37
; %bb.26:                               ;   in Loop: Header=BB75_10 Depth=1
	s_mov_b32 s25, 0
	s_mov_b32 s39, 0
.LBB75_27:                              ;   Parent Loop BB75_10 Depth=1
                                        ; =>  This Inner Loop Header: Depth=2
	s_ashr_i32 s27, s26, 31
	s_mov_b32 s43, -1
	s_lshl_b64 s[40:41], s[26:27], 2
                                        ; implicit-def: $sgpr42
	s_delay_alu instid0(SALU_CYCLE_1) | instskip(SKIP_2) | instid1(SALU_CYCLE_1)
	s_add_u32 s40, s14, s40
	s_addc_u32 s41, s15, s41
	s_lshl_b32 s27, s39, 2
	v_mov_b32_e32 v1, s27
	s_load_b32 s27, s[40:41], 0x0
                                        ; implicit-def: $sgpr41
	ds_load_b32 v1, v1 offset:51712
	s_waitcnt lgkmcnt(0)
	s_sub_i32 s44, s27, s17
                                        ; implicit-def: $sgpr27
	s_delay_alu instid0(SALU_CYCLE_1)
	v_cmp_ge_i32_e32 vcc_lo, s44, v1
	v_readfirstlane_b32 s40, v1
	s_cbranch_vccz .LBB75_33
; %bb.28:                               ;   in Loop: Header=BB75_27 Depth=2
	s_delay_alu instid0(VALU_DEP_1)
	s_cmp_le_i32 s44, s40
                                        ; implicit-def: $sgpr27
                                        ; implicit-def: $sgpr42
                                        ; implicit-def: $sgpr41
	s_cbranch_scc0 .LBB75_30
; %bb.29:                               ;   in Loop: Header=BB75_27 Depth=2
	s_add_i32 s27, s39, s31
	s_lshl_b32 s41, s25, 2
	s_mul_i32 s27, s27, s36
	s_delay_alu instid0(SALU_CYCLE_1)
	v_dual_mov_b32 v1, s41 :: v_dual_mov_b32 v2, s27
	s_mul_i32 s41, s26, s36
	s_add_i32 s42, s26, 1
	v_mov_b32_e32 v3, s41
	s_add_i32 s41, s39, 1
	s_add_i32 s27, s25, 1
	s_mov_b32 s43, 0
	ds_store_2addr_stride64_b32 v1, v3, v2 offset0:198 offset1:200
.LBB75_30:                              ;   in Loop: Header=BB75_27 Depth=2
	s_and_not1_b32 vcc_lo, exec_lo, s43
	s_cbranch_vccnz .LBB75_32
; %bb.31:                               ;   in Loop: Header=BB75_27 Depth=2
	s_add_i32 s41, s39, 1
	s_mov_b32 s27, s25
	s_mov_b32 s42, s26
.LBB75_32:                              ;   in Loop: Header=BB75_27 Depth=2
	s_mov_b32 s43, 0
.LBB75_33:                              ;   in Loop: Header=BB75_27 Depth=2
	s_delay_alu instid0(SALU_CYCLE_1)
	s_and_not1_b32 vcc_lo, exec_lo, s43
	s_cbranch_vccnz .LBB75_35
; %bb.34:                               ;   in Loop: Header=BB75_27 Depth=2
	s_add_i32 s42, s26, 1
	s_mov_b32 s41, s39
	s_mov_b32 s27, s25
.LBB75_35:                              ;   in Loop: Header=BB75_27 Depth=2
	s_cmp_le_i32 s42, s3
	s_cselect_b32 s25, -1, 0
	s_cmp_le_i32 s40, s24
	s_cselect_b32 s26, -1, 0
	s_delay_alu instid0(SALU_CYCLE_1) | instskip(NEXT) | instid1(SALU_CYCLE_1)
	s_and_b32 s25, s25, s26
	s_and_b32 vcc_lo, exec_lo, s25
	s_cbranch_vccz .LBB75_37
; %bb.36:                               ;   in Loop: Header=BB75_27 Depth=2
	s_mov_b32 s25, s27
	s_mov_b32 s26, s42
	;; [unrolled: 1-line block ×3, first 2 shown]
	s_branch .LBB75_27
.LBB75_37:                              ;   in Loop: Header=BB75_10 Depth=1
	s_add_u32 s22, s6, s22
	s_addc_u32 s23, s7, s23
	s_waitcnt lgkmcnt(0)
	buffer_gl0_inv
.LBB75_38:                              ;   Parent Loop BB75_10 Depth=1
                                        ; =>  This Inner Loop Header: Depth=2
	global_load_b32 v1, v0, s[22:23] glc
	s_waitcnt vmcnt(0)
	v_cmp_eq_u32_e32 vcc_lo, 0, v1
	s_cbranch_vccnz .LBB75_38
; %bb.39:                               ;   in Loop: Header=BB75_10 Depth=1
	s_cmp_lt_i32 s27, 2
	buffer_gl1_inv
	buffer_gl0_inv
	s_cbranch_scc1 .LBB75_55
; %bb.40:                               ;   in Loop: Header=BB75_10 Depth=1
	s_add_i32 s22, s27, -2
	s_mov_b32 s23, 0
	s_branch .LBB75_42
.LBB75_41:                              ;   in Loop: Header=BB75_42 Depth=2
	s_or_b32 exec_lo, exec_lo, s24
	s_add_i32 s24, s23, 1
	s_cmp_eq_u32 s23, s22
	s_mov_b32 s23, s24
	s_cbranch_scc1 .LBB75_55
.LBB75_42:                              ;   Parent Loop BB75_10 Depth=1
                                        ; =>  This Loop Header: Depth=2
                                        ;       Child Loop BB75_45 Depth 3
	s_and_saveexec_b32 s24, s0
	s_cbranch_execz .LBB75_41
; %bb.43:                               ;   in Loop: Header=BB75_42 Depth=2
	s_lshl_b32 s25, s23, 2
	v_mov_b32_e32 v33, v18
	v_mov_b32_e32 v1, s25
	s_mov_b32 s25, 0
	ds_load_2addr_stride64_b32 v[1:2], v1 offset0:198 offset1:200
	s_waitcnt lgkmcnt(0)
	v_add_nc_u32_e32 v30, v9, v2
	v_add_nc_u32_e32 v29, v2, v21
	;; [unrolled: 1-line block ×4, first 2 shown]
	s_branch .LBB75_45
.LBB75_44:                              ;   in Loop: Header=BB75_45 Depth=3
	v_lshlrev_b32_e32 v5, 4, v33
	v_add_nc_u32_e32 v33, 2, v33
	v_add_nc_u32_e32 v31, 2, v31
	;; [unrolled: 1-line block ×3, first 2 shown]
	s_delay_alu instid0(VALU_DEP_4) | instskip(NEXT) | instid1(VALU_DEP_4)
	v_mad_u32_u24 v10, 0x210, v9, v5
	v_cmp_le_i32_e32 vcc_lo, s29, v33
	ds_load_b128 v[5:8], v10
	s_or_b32 s25, vcc_lo, s25
	s_waitcnt lgkmcnt(0)
	v_add_f64 v[3:4], v[3:4], v[5:6]
	v_add_f64 v[5:6], v[1:2], v[7:8]
	ds_store_b128 v10, v[3:6]
	s_and_not1_b32 exec_lo, exec_lo, s25
	s_cbranch_execz .LBB75_41
.LBB75_45:                              ;   Parent Loop BB75_10 Depth=1
                                        ;     Parent Loop BB75_42 Depth=2
                                        ; =>    This Inner Loop Header: Depth=3
	v_mov_b32_e32 v14, 0
	s_delay_alu instid0(VALU_DEP_3) | instskip(SKIP_2) | instid1(VALU_DEP_2)
	v_dual_mov_b32 v15, 0 :: v_dual_mov_b32 v10, v31
	v_mov_b32_e32 v12, v30
	s_mov_b32 s26, 0
	v_dual_mov_b32 v17, v15 :: v_dual_mov_b32 v16, v14
	s_and_b32 vcc_lo, exec_lo, s34
	s_cbranch_vccz .LBB75_49
.LBB75_46:                              ;   in Loop: Header=BB75_45 Depth=3
	v_ashrrev_i32_e32 v11, 31, v10
	v_mov_b32_e32 v5, 0
	v_mov_b32_e32 v6, 0
	s_delay_alu instid0(VALU_DEP_3) | instskip(NEXT) | instid1(VALU_DEP_2)
	v_lshlrev_b64 v[1:2], 4, v[10:11]
	v_dual_mov_b32 v8, v6 :: v_dual_mov_b32 v7, v5
	s_delay_alu instid0(VALU_DEP_2) | instskip(NEXT) | instid1(VALU_DEP_3)
	v_add_co_u32 v1, vcc_lo, s18, v1
	v_add_co_ci_u32_e32 v2, vcc_lo, s19, v2, vcc_lo
	global_load_b128 v[1:4], v[1:2], off
	s_and_saveexec_b32 s27, s1
	s_cbranch_execz .LBB75_48
; %bb.47:                               ;   in Loop: Header=BB75_45 Depth=3
	v_ashrrev_i32_e32 v13, 31, v12
	s_delay_alu instid0(VALU_DEP_1) | instskip(NEXT) | instid1(VALU_DEP_1)
	v_lshlrev_b64 v[5:6], 4, v[12:13]
	v_add_co_u32 v5, vcc_lo, s18, v5
	s_delay_alu instid0(VALU_DEP_2)
	v_add_co_ci_u32_e32 v6, vcc_lo, s19, v6, vcc_lo
	global_load_b128 v[5:8], v[5:6], off
.LBB75_48:                              ;   in Loop: Header=BB75_45 Depth=3
	s_or_b32 exec_lo, exec_lo, s27
	s_waitcnt vmcnt(0)
	v_fma_f64 v[34:35], v[1:2], v[5:6], v[16:17]
	v_fma_f64 v[5:6], v[3:4], v[5:6], v[14:15]
	s_delay_alu instid0(VALU_DEP_2) | instskip(NEXT) | instid1(VALU_DEP_2)
	v_fma_f64 v[3:4], v[3:4], v[7:8], v[34:35]
	v_fma_f64 v[1:2], v[1:2], -v[7:8], v[5:6]
	s_branch .LBB75_53
.LBB75_49:                              ;   in Loop: Header=BB75_45 Depth=3
                                        ; implicit-def: $vgpr1_vgpr2
                                        ; implicit-def: $vgpr3_vgpr4
	s_cbranch_execz .LBB75_53
; %bb.50:                               ;   in Loop: Header=BB75_45 Depth=3
	v_add_nc_u32_e32 v1, s26, v32
	v_mov_b32_e32 v5, 0
	v_mov_b32_e32 v6, 0
	s_delay_alu instid0(VALU_DEP_3) | instskip(NEXT) | instid1(VALU_DEP_2)
	v_ashrrev_i32_e32 v2, 31, v1
	v_dual_mov_b32 v8, v6 :: v_dual_mov_b32 v7, v5
	s_delay_alu instid0(VALU_DEP_2) | instskip(NEXT) | instid1(VALU_DEP_1)
	v_lshlrev_b64 v[1:2], 4, v[1:2]
	v_add_co_u32 v1, vcc_lo, s18, v1
	s_delay_alu instid0(VALU_DEP_2)
	v_add_co_ci_u32_e32 v2, vcc_lo, s19, v2, vcc_lo
	global_load_b128 v[1:4], v[1:2], off
	s_and_saveexec_b32 s27, s1
	s_cbranch_execz .LBB75_52
; %bb.51:                               ;   in Loop: Header=BB75_45 Depth=3
	v_add_nc_u32_e32 v5, s26, v29
	s_delay_alu instid0(VALU_DEP_1) | instskip(NEXT) | instid1(VALU_DEP_1)
	v_ashrrev_i32_e32 v6, 31, v5
	v_lshlrev_b64 v[5:6], 4, v[5:6]
	s_delay_alu instid0(VALU_DEP_1) | instskip(NEXT) | instid1(VALU_DEP_2)
	v_add_co_u32 v5, vcc_lo, s18, v5
	v_add_co_ci_u32_e32 v6, vcc_lo, s19, v6, vcc_lo
	global_load_b128 v[5:8], v[5:6], off
.LBB75_52:                              ;   in Loop: Header=BB75_45 Depth=3
	s_or_b32 exec_lo, exec_lo, s27
	s_waitcnt vmcnt(0)
	v_fma_f64 v[16:17], v[1:2], v[5:6], v[16:17]
	v_fma_f64 v[5:6], v[3:4], v[5:6], v[14:15]
	s_delay_alu instid0(VALU_DEP_2) | instskip(NEXT) | instid1(VALU_DEP_2)
	v_fma_f64 v[3:4], v[3:4], v[7:8], v[16:17]
	v_fma_f64 v[1:2], v[1:2], -v[7:8], v[5:6]
.LBB75_53:                              ;   in Loop: Header=BB75_45 Depth=3
	v_add_nc_u32_e32 v12, s29, v12
	v_add_nc_u32_e32 v10, s29, v10
	s_add_i32 s26, s26, 1
	s_delay_alu instid0(SALU_CYCLE_1)
	s_cmp_eq_u32 s29, s26
	s_cbranch_scc1 .LBB75_44
; %bb.54:                               ;   in Loop: Header=BB75_45 Depth=3
	s_delay_alu instid0(VALU_DEP_3)
	v_dual_mov_b32 v15, v2 :: v_dual_mov_b32 v14, v1
	v_dual_mov_b32 v17, v4 :: v_dual_mov_b32 v16, v3
	s_and_b32 vcc_lo, exec_lo, s34
	s_cbranch_vccz .LBB75_49
	s_branch .LBB75_46
.LBB75_55:                              ;   in Loop: Header=BB75_10 Depth=1
	s_and_not1_b32 vcc_lo, exec_lo, s35
	s_waitcnt lgkmcnt(0)
	buffer_gl0_inv
	s_cbranch_vccnz .LBB75_70
; %bb.56:                               ;   in Loop: Header=BB75_10 Depth=1
	v_mov_b32_e32 v14, v26
	s_mul_i32 s24, s36, s3
	s_mov_b32 s25, 0
	s_mov_b32 s26, s24
	s_branch .LBB75_58
.LBB75_57:                              ;   in Loop: Header=BB75_58 Depth=2
	s_or_b32 exec_lo, exec_lo, s3
	v_add_nc_u32_e32 v14, 16, v14
	s_add_i32 s25, s25, 1
	s_add_i32 s26, s26, 1
	s_cmp_eq_u32 s25, s29
	s_waitcnt lgkmcnt(0)
	buffer_gl0_inv
	s_cbranch_scc1 .LBB75_70
.LBB75_58:                              ;   Parent Loop BB75_10 Depth=1
                                        ; =>  This Loop Header: Depth=2
                                        ;       Child Loop BB75_65 Depth 3
                                        ;       Child Loop BB75_69 Depth 3
	s_mul_i32 s27, s25, s29
	v_lshl_add_u32 v15, s25, 4, v19
	s_add_i32 s27, s27, s24
	s_delay_alu instid0(SALU_CYCLE_1) | instskip(SKIP_2) | instid1(SALU_CYCLE_1)
	s_add_i32 s22, s27, s25
	ds_load_b128 v[1:4], v15 offset:16896
	s_ashr_i32 s23, s22, 31
	s_lshl_b64 s[22:23], s[22:23], 4
	s_delay_alu instid0(SALU_CYCLE_1)
	s_add_u32 s22, s18, s22
	s_addc_u32 s23, s19, s23
	global_load_b128 v[5:8], v0, s[22:23]
	s_waitcnt vmcnt(0)
	v_cmp_neq_f64_e32 vcc_lo, 0, v[5:6]
	v_cmp_neq_f64_e64 s3, 0, v[7:8]
	s_delay_alu instid0(VALU_DEP_1) | instskip(SKIP_4) | instid1(SALU_CYCLE_1)
	s_or_b32 vcc_lo, vcc_lo, s3
	v_cndmask_b32_e32 v11, 0x3ff00000, v6, vcc_lo
	v_dual_cndmask_b32 v10, 0, v5 :: v_dual_cndmask_b32 v13, 0, v8
	v_cndmask_b32_e32 v12, 0, v7, vcc_lo
	s_or_b32 s3, vcc_lo, s2
	s_xor_b32 s22, s3, -1
	s_delay_alu instid0(SALU_CYCLE_1)
	s_and_saveexec_b32 s3, s22
	s_cbranch_execz .LBB75_62
; %bb.59:                               ;   in Loop: Header=BB75_58 Depth=2
	v_mbcnt_lo_u32_b32 v5, exec_lo, 0
	s_mov_b32 s22, exec_lo
	s_delay_alu instid0(VALU_DEP_1)
	v_cmpx_eq_u32_e32 0, v5
	s_cbranch_execz .LBB75_61
; %bb.60:                               ;   in Loop: Header=BB75_58 Depth=2
	v_mov_b32_e32 v5, s38
	global_atomic_min_i32 v0, v5, s[10:11]
.LBB75_61:                              ;   in Loop: Header=BB75_58 Depth=2
	s_or_b32 exec_lo, exec_lo, s22
	v_mov_b32_e32 v10, 0
	v_dual_mov_b32 v11, 0x3ff00000 :: v_dual_mov_b32 v12, 0
	v_mov_b32_e32 v13, 0
.LBB75_62:                              ;   in Loop: Header=BB75_58 Depth=2
	s_or_b32 exec_lo, exec_lo, s3
	ds_load_b128 v[5:8], v15
	s_cmp_eq_u32 s25, 0
	s_cbranch_scc1 .LBB75_67
; %bb.63:                               ;   in Loop: Header=BB75_58 Depth=2
	v_mov_b32_e32 v16, v24
	s_mov_b32 s3, 0
	s_mov_b32 s39, s26
	s_set_inst_prefetch_distance 0x1
	s_branch .LBB75_65
	.p2align	6
.LBB75_64:                              ;   in Loop: Header=BB75_65 Depth=3
	s_ashr_i32 s23, s22, 31
	ds_load_b128 v[33:36], v16
	s_lshl_b64 s[22:23], s[22:23], 4
	v_add_nc_u32_e32 v16, 16, v16
	s_add_u32 s22, s18, s22
	s_addc_u32 s23, s19, s23
	s_add_i32 s3, s3, 1
	global_load_b128 v[29:32], v0, s[22:23]
	s_add_i32 s39, s39, s29
	s_cmp_ge_u32 s3, s25
	s_waitcnt vmcnt(0) lgkmcnt(0)
	v_fma_f64 v[5:6], v[29:30], v[33:34], v[5:6]
	v_fma_f64 v[7:8], v[31:32], v[33:34], v[7:8]
	s_delay_alu instid0(VALU_DEP_2) | instskip(NEXT) | instid1(VALU_DEP_2)
	v_fma_f64 v[5:6], v[31:32], v[35:36], v[5:6]
	v_fma_f64 v[7:8], v[29:30], -v[35:36], v[7:8]
	s_cbranch_scc1 .LBB75_67
.LBB75_65:                              ;   Parent Loop BB75_10 Depth=1
                                        ;     Parent Loop BB75_58 Depth=2
                                        ; =>    This Inner Loop Header: Depth=3
	s_and_not1_b32 vcc_lo, exec_lo, s33
	s_mov_b32 s22, s39
	s_cbranch_vccnz .LBB75_64
; %bb.66:                               ;   in Loop: Header=BB75_65 Depth=3
	s_add_i32 s22, s3, s27
	s_branch .LBB75_64
.LBB75_67:                              ;   in Loop: Header=BB75_58 Depth=2
	s_set_inst_prefetch_distance 0x2
	v_mul_f64 v[16:17], v[12:13], v[12:13]
	s_waitcnt lgkmcnt(0)
	s_delay_alu instid0(VALU_DEP_2) | instskip(NEXT) | instid1(VALU_DEP_4)
	v_add_f64 v[3:4], v[3:4], -v[7:8]
	v_add_f64 v[1:2], v[1:2], -v[5:6]
	v_add_nc_u32_e32 v15, 0x4200, v15
	s_delay_alu instid0(VALU_DEP_4) | instskip(NEXT) | instid1(VALU_DEP_4)
	v_fma_f64 v[16:17], v[10:11], v[10:11], v[16:17]
	v_mul_f64 v[5:6], v[12:13], v[3:4]
	s_delay_alu instid0(VALU_DEP_4) | instskip(NEXT) | instid1(VALU_DEP_3)
	v_mul_f64 v[12:13], v[12:13], -v[1:2]
	v_div_scale_f64 v[29:30], null, v[16:17], v[16:17], 1.0
	v_div_scale_f64 v[35:36], vcc_lo, 1.0, v[16:17], 1.0
	s_delay_alu instid0(VALU_DEP_4) | instskip(NEXT) | instid1(VALU_DEP_4)
	v_fma_f64 v[1:2], v[1:2], v[10:11], v[5:6]
	v_fma_f64 v[3:4], v[3:4], v[10:11], v[12:13]
	s_delay_alu instid0(VALU_DEP_4) | instskip(SKIP_2) | instid1(VALU_DEP_1)
	v_rcp_f64_e32 v[31:32], v[29:30]
	s_waitcnt_depctr 0xfff
	v_fma_f64 v[33:34], -v[29:30], v[31:32], 1.0
	v_fma_f64 v[31:32], v[31:32], v[33:34], v[31:32]
	s_delay_alu instid0(VALU_DEP_1) | instskip(NEXT) | instid1(VALU_DEP_1)
	v_fma_f64 v[33:34], -v[29:30], v[31:32], 1.0
	v_fma_f64 v[31:32], v[31:32], v[33:34], v[31:32]
	s_delay_alu instid0(VALU_DEP_1) | instskip(NEXT) | instid1(VALU_DEP_1)
	v_mul_f64 v[33:34], v[35:36], v[31:32]
	v_fma_f64 v[7:8], -v[29:30], v[33:34], v[35:36]
	s_delay_alu instid0(VALU_DEP_1) | instskip(NEXT) | instid1(VALU_DEP_1)
	v_div_fmas_f64 v[7:8], v[7:8], v[31:32], v[33:34]
	v_div_fixup_f64 v[5:6], v[7:8], v[16:17], 1.0
	s_delay_alu instid0(VALU_DEP_1)
	v_mul_f64 v[1:2], v[5:6], v[1:2]
	v_mul_f64 v[3:4], v[5:6], v[3:4]
	ds_store_b128 v15, v[1:4]
	s_waitcnt lgkmcnt(0)
	s_waitcnt_vscnt null, 0x0
	buffer_gl0_inv
	s_and_saveexec_b32 s3, s0
	s_cbranch_execz .LBB75_57
; %bb.68:                               ;   in Loop: Header=BB75_58 Depth=2
	v_dual_mov_b32 v5, v27 :: v_dual_mov_b32 v6, v14
	v_mov_b32_e32 v7, v18
	s_mov_b32 s22, 0
	.p2align	6
.LBB75_69:                              ;   Parent Loop BB75_10 Depth=1
                                        ;     Parent Loop BB75_58 Depth=2
                                        ; =>    This Inner Loop Header: Depth=3
	ds_load_b128 v[10:13], v6
	ds_load_b128 v[29:32], v5
	v_add_nc_u32_e32 v7, 2, v7
	v_add_nc_u32_e32 v6, 0x420, v6
	s_delay_alu instid0(VALU_DEP_2) | instskip(SKIP_4) | instid1(VALU_DEP_2)
	v_cmp_le_i32_e32 vcc_lo, s29, v7
	s_or_b32 s22, vcc_lo, s22
	s_waitcnt lgkmcnt(0)
	v_fma_f64 v[15:16], v[1:2], v[10:11], v[29:30]
	v_fma_f64 v[29:30], v[3:4], v[10:11], v[31:32]
	;; [unrolled: 1-line block ×3, first 2 shown]
	s_delay_alu instid0(VALU_DEP_2)
	v_fma_f64 v[12:13], v[1:2], -v[12:13], v[29:30]
	ds_store_b128 v5, v[10:13]
	v_add_nc_u32_e32 v5, 32, v5
	s_and_not1_b32 exec_lo, exec_lo, s22
	s_cbranch_execnz .LBB75_69
	s_branch .LBB75_57
.LBB75_70:                              ;   in Loop: Header=BB75_10 Depth=1
	s_and_saveexec_b32 s3, s0
	s_cbranch_execz .LBB75_9
; %bb.71:                               ;   in Loop: Header=BB75_10 Depth=1
	v_dual_mov_b32 v3, v28 :: v_dual_mov_b32 v4, v18
	s_mov_b32 s22, 0
	s_set_inst_prefetch_distance 0x1
	s_branch .LBB75_74
	.p2align	6
.LBB75_72:                              ;   in Loop: Header=BB75_74 Depth=2
	ds_load_2addr_b64 v[5:8], v3 offset1:1
	v_ashrrev_i32_e32 v2, 31, v1
	s_delay_alu instid0(VALU_DEP_1) | instskip(NEXT) | instid1(VALU_DEP_1)
	v_lshlrev_b64 v[1:2], 4, v[1:2]
	v_add_co_u32 v1, vcc_lo, s18, v1
	s_delay_alu instid0(VALU_DEP_2)
	v_add_co_ci_u32_e32 v2, vcc_lo, s19, v2, vcc_lo
	s_waitcnt lgkmcnt(0)
	global_store_b128 v[1:2], v[5:8], off
.LBB75_73:                              ;   in Loop: Header=BB75_74 Depth=2
	s_or_b32 exec_lo, exec_lo, s23
	v_add_nc_u32_e32 v4, 2, v4
	v_add_nc_u32_e32 v3, 32, v3
	s_delay_alu instid0(VALU_DEP_2) | instskip(SKIP_1) | instid1(SALU_CYCLE_1)
	v_cmp_le_i32_e32 vcc_lo, s29, v4
	s_or_b32 s22, vcc_lo, s22
	s_and_not1_b32 exec_lo, exec_lo, s22
	s_cbranch_execz .LBB75_9
.LBB75_74:                              ;   Parent Loop BB75_10 Depth=1
                                        ; =>  This Inner Loop Header: Depth=2
	s_and_saveexec_b32 s23, s1
	s_cbranch_execz .LBB75_73
; %bb.75:                               ;   in Loop: Header=BB75_74 Depth=2
	s_and_b32 vcc_lo, exec_lo, s34
	s_cbranch_vccz .LBB75_77
; %bb.76:                               ;   in Loop: Header=BB75_74 Depth=2
	v_add_nc_u32_e32 v5, s21, v4
	s_delay_alu instid0(VALU_DEP_1)
	v_mad_u64_u32 v[1:2], null, v5, s29, v[9:10]
	s_cbranch_execnz .LBB75_72
	s_branch .LBB75_78
	.p2align	6
.LBB75_77:                              ;   in Loop: Header=BB75_74 Depth=2
                                        ; implicit-def: $vgpr1
.LBB75_78:                              ;   in Loop: Header=BB75_74 Depth=2
	v_add_nc_u32_e32 v1, v25, v4
	s_branch .LBB75_72
.LBB75_79:                              ;   in Loop: Header=BB75_10 Depth=1
                                        ; implicit-def: $sgpr20
                                        ; implicit-def: $vgpr25
	s_cbranch_execz .LBB75_10
.LBB75_80:
	v_cmp_gt_i32_e64 s0, s29, v18
	s_delay_alu instid0(VALU_DEP_1)
	s_and_saveexec_b32 s4, s0
	s_cbranch_execz .LBB75_93
; %bb.81:
	s_mul_i32 s5, s28, s29
	v_cmp_gt_i32_e64 s1, s29, v9
	v_add_nc_u32_e32 v0, s5, v9
	v_add3_u32 v7, v19, v20, 0x4200
	v_mov_b32_e32 v8, v18
	s_cmp_lg_u32 s30, 0
	s_mov_b32 s12, 0
	v_mul_lo_u32 v6, v0, s29
	s_cselect_b32 s13, -1, 0
	s_branch .LBB75_83
.LBB75_82:                              ;   in Loop: Header=BB75_83 Depth=1
	s_or_b32 exec_lo, exec_lo, s2
	v_add_nc_u32_e32 v8, 2, v8
	s_waitcnt vmcnt(0)
	ds_store_b128 v7, v[0:3]
	v_add_nc_u32_e32 v7, 32, v7
	v_cmp_le_i32_e32 vcc_lo, s29, v8
	s_or_b32 s12, vcc_lo, s12
	s_delay_alu instid0(SALU_CYCLE_1)
	s_and_not1_b32 exec_lo, exec_lo, s12
	s_cbranch_execz .LBB75_93
.LBB75_83:                              ; =>This Inner Loop Header: Depth=1
	s_and_b32 vcc_lo, exec_lo, s13
	s_cbranch_vccz .LBB75_87
; %bb.84:                               ;   in Loop: Header=BB75_83 Depth=1
	s_mov_b32 s15, 0
	s_mov_b32 s14, 0
                                        ; implicit-def: $vgpr4
	s_and_saveexec_b32 s2, s1
	s_delay_alu instid0(SALU_CYCLE_1)
	s_xor_b32 s2, exec_lo, s2
; %bb.85:                               ;   in Loop: Header=BB75_83 Depth=1
	v_add_nc_u32_e32 v0, s5, v8
	s_mov_b32 s14, exec_lo
	s_delay_alu instid0(VALU_DEP_1)
	v_mad_u64_u32 v[4:5], null, v0, s29, v[9:10]
; %bb.86:                               ;   in Loop: Header=BB75_83 Depth=1
	s_or_b32 exec_lo, exec_lo, s2
	s_mov_b64 s[2:3], 0
	s_and_b32 vcc_lo, exec_lo, s15
	s_cbranch_vccnz .LBB75_88
	s_branch .LBB75_91
.LBB75_87:                              ;   in Loop: Header=BB75_83 Depth=1
	s_mov_b32 s14, 0
                                        ; implicit-def: $vgpr4
                                        ; implicit-def: $sgpr2_sgpr3
	s_cbranch_execz .LBB75_91
.LBB75_88:                              ;   in Loop: Header=BB75_83 Depth=1
                                        ; implicit-def: $vgpr4
	s_and_saveexec_b32 s2, s1
; %bb.89:                               ;   in Loop: Header=BB75_83 Depth=1
	v_add_nc_u32_e32 v4, v6, v8
	s_or_b32 s14, s14, exec_lo
; %bb.90:                               ;   in Loop: Header=BB75_83 Depth=1
	s_or_b32 exec_lo, exec_lo, s2
	s_mov_b64 s[2:3], 0
.LBB75_91:                              ;   in Loop: Header=BB75_83 Depth=1
	s_delay_alu instid0(SALU_CYCLE_1)
	v_dual_mov_b32 v0, s2 :: v_dual_mov_b32 v1, s3
	v_dual_mov_b32 v2, s2 :: v_dual_mov_b32 v3, s3
	s_and_saveexec_b32 s2, s14
	s_cbranch_execz .LBB75_82
; %bb.92:                               ;   in Loop: Header=BB75_83 Depth=1
	v_ashrrev_i32_e32 v5, 31, v4
	s_delay_alu instid0(VALU_DEP_1) | instskip(NEXT) | instid1(VALU_DEP_1)
	v_lshlrev_b64 v[0:1], 4, v[4:5]
	v_add_co_u32 v0, vcc_lo, s18, v0
	s_delay_alu instid0(VALU_DEP_2)
	v_add_co_ci_u32_e32 v1, vcc_lo, s19, v1, vcc_lo
	global_load_b128 v[0:3], v[0:1], off
	s_branch .LBB75_82
.LBB75_93:
	s_or_b32 exec_lo, exec_lo, s4
; %bb.94:
	s_cmp_lt_i32 s29, 1
	s_waitcnt lgkmcnt(0)
	buffer_gl0_inv
	s_cbranch_scc1 .LBB75_113
; %bb.95:
	v_lshlrev_b32_e32 v0, 4, v9
	v_or_b32_e32 v1, v18, v9
	s_movk_i32 s1, 0x4200
	v_add3_u32 v10, v19, v20, 0x8400
	v_mad_u32_u24 v11, 0x210, v18, s1
	v_mad_u32_u24 v0, 0x210, v9, v0
	v_cmp_ne_u32_e64 s1, 0, v1
	s_mov_b32 s3, 0
	s_add_i32 s4, s16, s17
	v_mov_b32_e32 v2, 0
	v_add_nc_u32_e32 v12, 0x4200, v0
	v_add_nc_u32_e32 v13, 0x8400, v0
	s_branch .LBB75_97
.LBB75_96:                              ;   in Loop: Header=BB75_97 Depth=1
	s_or_b32 exec_lo, exec_lo, s2
	v_add_nc_u32_e32 v11, 16, v11
	s_add_i32 s3, s3, 1
	s_waitcnt lgkmcnt(0)
	s_waitcnt_vscnt null, 0x0
	buffer_gl0_inv
	s_cmp_eq_u32 s3, s29
	s_cbranch_scc1 .LBB75_113
.LBB75_97:                              ; =>This Loop Header: Depth=1
                                        ;     Child Loop BB75_112 Depth 2
	s_mov_b32 s5, exec_lo
	v_cmpx_eq_u32_e64 s3, v9
	s_cbranch_execz .LBB75_105
; %bb.98:                               ;   in Loop: Header=BB75_97 Depth=1
	ds_load_b128 v[3:6], v13
	ds_load_b128 v[14:17], v12
	s_waitcnt lgkmcnt(0)
	v_add_f64 v[0:1], v[14:15], -v[3:4]
	v_add_f64 v[7:8], v[16:17], -v[5:6]
                                        ; implicit-def: $vgpr5_vgpr6
	s_delay_alu instid0(VALU_DEP_2) | instskip(NEXT) | instid1(VALU_DEP_2)
	v_cmp_gt_f64_e32 vcc_lo, 0, v[0:1]
	v_cmp_gt_f64_e64 s2, 0, v[7:8]
	v_xor_b32_e32 v3, 0x80000000, v1
	v_xor_b32_e32 v4, 0x80000000, v8
	s_delay_alu instid0(VALU_DEP_2) | instskip(NEXT) | instid1(VALU_DEP_2)
	v_dual_cndmask_b32 v1, v1, v3 :: v_dual_cndmask_b32 v0, v0, v0
	v_cndmask_b32_e64 v4, v8, v4, s2
	v_cndmask_b32_e64 v3, v7, v7, s2
	s_mov_b32 s2, exec_lo
	s_delay_alu instid0(VALU_DEP_1)
	v_cmpx_ngt_f64_e32 v[0:1], v[3:4]
	s_xor_b32 s2, exec_lo, s2
	s_cbranch_execz .LBB75_102
; %bb.99:                               ;   in Loop: Header=BB75_97 Depth=1
	v_mov_b32_e32 v5, 0
	v_mov_b32_e32 v6, 0
	s_mov_b32 s12, exec_lo
	v_cmpx_neq_f64_e32 0, v[7:8]
	s_cbranch_execz .LBB75_101
; %bb.100:                              ;   in Loop: Header=BB75_97 Depth=1
	v_div_scale_f64 v[5:6], null, v[3:4], v[3:4], v[0:1]
	v_div_scale_f64 v[16:17], vcc_lo, v[0:1], v[3:4], v[0:1]
	s_delay_alu instid0(VALU_DEP_2) | instskip(SKIP_2) | instid1(VALU_DEP_1)
	v_rcp_f64_e32 v[7:8], v[5:6]
	s_waitcnt_depctr 0xfff
	v_fma_f64 v[14:15], -v[5:6], v[7:8], 1.0
	v_fma_f64 v[7:8], v[7:8], v[14:15], v[7:8]
	s_delay_alu instid0(VALU_DEP_1) | instskip(NEXT) | instid1(VALU_DEP_1)
	v_fma_f64 v[14:15], -v[5:6], v[7:8], 1.0
	v_fma_f64 v[7:8], v[7:8], v[14:15], v[7:8]
	s_delay_alu instid0(VALU_DEP_1) | instskip(NEXT) | instid1(VALU_DEP_1)
	v_mul_f64 v[14:15], v[16:17], v[7:8]
	v_fma_f64 v[5:6], -v[5:6], v[14:15], v[16:17]
	s_delay_alu instid0(VALU_DEP_1) | instskip(NEXT) | instid1(VALU_DEP_1)
	v_div_fmas_f64 v[5:6], v[5:6], v[7:8], v[14:15]
	v_div_fixup_f64 v[0:1], v[5:6], v[3:4], v[0:1]
	s_delay_alu instid0(VALU_DEP_1) | instskip(NEXT) | instid1(VALU_DEP_1)
	v_fma_f64 v[0:1], v[0:1], v[0:1], 1.0
	v_cmp_gt_f64_e32 vcc_lo, 0x10000000, v[0:1]
	v_cndmask_b32_e64 v5, 0, 1, vcc_lo
	s_delay_alu instid0(VALU_DEP_1) | instskip(NEXT) | instid1(VALU_DEP_1)
	v_lshlrev_b32_e32 v5, 8, v5
	v_ldexp_f64 v[0:1], v[0:1], v5
	s_delay_alu instid0(VALU_DEP_1) | instskip(SKIP_3) | instid1(VALU_DEP_1)
	v_rsq_f64_e32 v[5:6], v[0:1]
	s_waitcnt_depctr 0xfff
	v_mul_f64 v[7:8], v[0:1], v[5:6]
	v_mul_f64 v[5:6], v[5:6], 0.5
	v_fma_f64 v[14:15], -v[5:6], v[7:8], 0.5
	s_delay_alu instid0(VALU_DEP_1) | instskip(SKIP_1) | instid1(VALU_DEP_2)
	v_fma_f64 v[7:8], v[7:8], v[14:15], v[7:8]
	v_fma_f64 v[5:6], v[5:6], v[14:15], v[5:6]
	v_fma_f64 v[14:15], -v[7:8], v[7:8], v[0:1]
	s_delay_alu instid0(VALU_DEP_1) | instskip(NEXT) | instid1(VALU_DEP_1)
	v_fma_f64 v[7:8], v[14:15], v[5:6], v[7:8]
	v_fma_f64 v[14:15], -v[7:8], v[7:8], v[0:1]
	s_delay_alu instid0(VALU_DEP_1) | instskip(SKIP_2) | instid1(VALU_DEP_2)
	v_fma_f64 v[5:6], v[14:15], v[5:6], v[7:8]
	v_cndmask_b32_e64 v7, 0, 0xffffff80, vcc_lo
	v_cmp_class_f64_e64 vcc_lo, v[0:1], 0x260
	v_ldexp_f64 v[5:6], v[5:6], v7
	s_delay_alu instid0(VALU_DEP_1) | instskip(NEXT) | instid1(VALU_DEP_1)
	v_dual_cndmask_b32 v1, v6, v1 :: v_dual_cndmask_b32 v0, v5, v0
	v_mul_f64 v[5:6], v[3:4], v[0:1]
.LBB75_101:                             ;   in Loop: Header=BB75_97 Depth=1
	s_or_b32 exec_lo, exec_lo, s12
                                        ; implicit-def: $vgpr0_vgpr1
                                        ; implicit-def: $vgpr3_vgpr4
.LBB75_102:                             ;   in Loop: Header=BB75_97 Depth=1
	s_and_not1_saveexec_b32 s2, s2
	s_cbranch_execz .LBB75_104
; %bb.103:                              ;   in Loop: Header=BB75_97 Depth=1
	v_div_scale_f64 v[5:6], null, v[0:1], v[0:1], v[3:4]
	v_div_scale_f64 v[16:17], vcc_lo, v[3:4], v[0:1], v[3:4]
	s_delay_alu instid0(VALU_DEP_2) | instskip(SKIP_2) | instid1(VALU_DEP_1)
	v_rcp_f64_e32 v[7:8], v[5:6]
	s_waitcnt_depctr 0xfff
	v_fma_f64 v[14:15], -v[5:6], v[7:8], 1.0
	v_fma_f64 v[7:8], v[7:8], v[14:15], v[7:8]
	s_delay_alu instid0(VALU_DEP_1) | instskip(NEXT) | instid1(VALU_DEP_1)
	v_fma_f64 v[14:15], -v[5:6], v[7:8], 1.0
	v_fma_f64 v[7:8], v[7:8], v[14:15], v[7:8]
	s_delay_alu instid0(VALU_DEP_1) | instskip(NEXT) | instid1(VALU_DEP_1)
	v_mul_f64 v[14:15], v[16:17], v[7:8]
	v_fma_f64 v[5:6], -v[5:6], v[14:15], v[16:17]
	s_delay_alu instid0(VALU_DEP_1) | instskip(NEXT) | instid1(VALU_DEP_1)
	v_div_fmas_f64 v[5:6], v[5:6], v[7:8], v[14:15]
	v_div_fixup_f64 v[3:4], v[5:6], v[0:1], v[3:4]
	s_delay_alu instid0(VALU_DEP_1) | instskip(NEXT) | instid1(VALU_DEP_1)
	v_fma_f64 v[3:4], v[3:4], v[3:4], 1.0
	v_cmp_gt_f64_e32 vcc_lo, 0x10000000, v[3:4]
	v_cndmask_b32_e64 v5, 0, 1, vcc_lo
	s_delay_alu instid0(VALU_DEP_1) | instskip(NEXT) | instid1(VALU_DEP_1)
	v_lshlrev_b32_e32 v5, 8, v5
	v_ldexp_f64 v[3:4], v[3:4], v5
	s_delay_alu instid0(VALU_DEP_1) | instskip(SKIP_3) | instid1(VALU_DEP_1)
	v_rsq_f64_e32 v[5:6], v[3:4]
	s_waitcnt_depctr 0xfff
	v_mul_f64 v[7:8], v[3:4], v[5:6]
	v_mul_f64 v[5:6], v[5:6], 0.5
	v_fma_f64 v[14:15], -v[5:6], v[7:8], 0.5
	s_delay_alu instid0(VALU_DEP_1) | instskip(SKIP_1) | instid1(VALU_DEP_2)
	v_fma_f64 v[7:8], v[7:8], v[14:15], v[7:8]
	v_fma_f64 v[5:6], v[5:6], v[14:15], v[5:6]
	v_fma_f64 v[14:15], -v[7:8], v[7:8], v[3:4]
	s_delay_alu instid0(VALU_DEP_1) | instskip(NEXT) | instid1(VALU_DEP_1)
	v_fma_f64 v[7:8], v[14:15], v[5:6], v[7:8]
	v_fma_f64 v[14:15], -v[7:8], v[7:8], v[3:4]
	s_delay_alu instid0(VALU_DEP_1) | instskip(SKIP_2) | instid1(VALU_DEP_2)
	v_fma_f64 v[5:6], v[14:15], v[5:6], v[7:8]
	v_cndmask_b32_e64 v7, 0, 0xffffff80, vcc_lo
	v_cmp_class_f64_e64 vcc_lo, v[3:4], 0x260
	v_ldexp_f64 v[5:6], v[5:6], v7
	s_delay_alu instid0(VALU_DEP_1) | instskip(NEXT) | instid1(VALU_DEP_1)
	v_dual_cndmask_b32 v4, v6, v4 :: v_dual_cndmask_b32 v3, v5, v3
	v_mul_f64 v[5:6], v[0:1], v[3:4]
.LBB75_104:                             ;   in Loop: Header=BB75_97 Depth=1
	s_or_b32 exec_lo, exec_lo, s2
	s_delay_alu instid0(VALU_DEP_1) | instskip(SKIP_1) | instid1(VALU_DEP_1)
	v_cmp_gt_f64_e32 vcc_lo, 0x10000000, v[5:6]
	v_cndmask_b32_e64 v0, 0, 1, vcc_lo
	v_lshlrev_b32_e32 v0, 8, v0
	s_delay_alu instid0(VALU_DEP_1) | instskip(NEXT) | instid1(VALU_DEP_1)
	v_ldexp_f64 v[0:1], v[5:6], v0
	v_rsq_f64_e32 v[3:4], v[0:1]
	s_waitcnt_depctr 0xfff
	v_mul_f64 v[5:6], v[0:1], v[3:4]
	v_mul_f64 v[3:4], v[3:4], 0.5
	s_delay_alu instid0(VALU_DEP_1) | instskip(NEXT) | instid1(VALU_DEP_1)
	v_fma_f64 v[7:8], -v[3:4], v[5:6], 0.5
	v_fma_f64 v[5:6], v[5:6], v[7:8], v[5:6]
	v_fma_f64 v[3:4], v[3:4], v[7:8], v[3:4]
	s_delay_alu instid0(VALU_DEP_2) | instskip(NEXT) | instid1(VALU_DEP_1)
	v_fma_f64 v[7:8], -v[5:6], v[5:6], v[0:1]
	v_fma_f64 v[5:6], v[7:8], v[3:4], v[5:6]
	s_delay_alu instid0(VALU_DEP_1) | instskip(NEXT) | instid1(VALU_DEP_1)
	v_fma_f64 v[7:8], -v[5:6], v[5:6], v[0:1]
	v_fma_f64 v[3:4], v[7:8], v[3:4], v[5:6]
	v_cndmask_b32_e64 v5, 0, 0xffffff80, vcc_lo
	v_cmp_class_f64_e64 vcc_lo, v[0:1], 0x260
	s_delay_alu instid0(VALU_DEP_2) | instskip(NEXT) | instid1(VALU_DEP_1)
	v_ldexp_f64 v[3:4], v[3:4], v5
	v_dual_cndmask_b32 v1, v4, v1 :: v_dual_cndmask_b32 v0, v3, v0
	v_mov_b32_e32 v3, v2
	ds_store_b128 v12, v[0:3]
.LBB75_105:                             ;   in Loop: Header=BB75_97 Depth=1
	s_or_b32 exec_lo, exec_lo, s5
	s_lshl_b32 s5, s3, 4
	s_mul_i32 s2, s3, 0x210
	s_waitcnt lgkmcnt(0)
	buffer_gl0_inv
	s_add_i32 s2, s2, s5
	v_mad_u32_u24 v14, 0x210, v9, s5
	v_mov_b32_e32 v0, s2
	ds_load_b128 v[3:6], v14 offset:16896
	ds_load_b128 v[21:24], v0 offset:16896
	s_waitcnt lgkmcnt(0)
	v_cmp_neq_f64_e32 vcc_lo, 0, v[21:22]
	v_cmp_neq_f64_e64 s2, 0, v[23:24]
	s_delay_alu instid0(VALU_DEP_1) | instskip(SKIP_4) | instid1(SALU_CYCLE_1)
	s_or_b32 vcc_lo, vcc_lo, s2
	v_dual_cndmask_b32 v1, 0, v24 :: v_dual_cndmask_b32 v0, 0, v23
	v_cndmask_b32_e32 v7, 0, v21, vcc_lo
	v_cndmask_b32_e32 v8, 0x3ff00000, v22, vcc_lo
	s_or_b32 s2, vcc_lo, s1
	s_xor_b32 s5, s2, -1
	s_delay_alu instid0(SALU_CYCLE_1)
	s_and_saveexec_b32 s2, s5
	s_cbranch_execz .LBB75_109
; %bb.106:                              ;   in Loop: Header=BB75_97 Depth=1
	v_mbcnt_lo_u32_b32 v0, exec_lo, 0
	s_mov_b32 s5, exec_lo
	s_delay_alu instid0(VALU_DEP_1)
	v_cmpx_eq_u32_e32 0, v0
	s_cbranch_execz .LBB75_108
; %bb.107:                              ;   in Loop: Header=BB75_97 Depth=1
	v_mov_b32_e32 v0, s4
	global_atomic_min_i32 v2, v0, s[10:11]
.LBB75_108:                             ;   in Loop: Header=BB75_97 Depth=1
	s_or_b32 exec_lo, exec_lo, s5
	v_dual_mov_b32 v0, 0 :: v_dual_mov_b32 v7, 0
	v_dual_mov_b32 v1, 0 :: v_dual_mov_b32 v8, 0x3ff00000
.LBB75_109:                             ;   in Loop: Header=BB75_97 Depth=1
	s_or_b32 exec_lo, exec_lo, s2
	s_delay_alu instid0(SALU_CYCLE_1)
	s_mov_b32 s2, exec_lo
	v_cmpx_lt_u32_e64 s3, v9
	s_cbranch_execz .LBB75_96
; %bb.110:                              ;   in Loop: Header=BB75_97 Depth=1
	v_mul_f64 v[15:16], v[0:1], v[0:1]
	v_lshl_add_u32 v17, s3, 4, v19
	s_delay_alu instid0(VALU_DEP_2) | instskip(NEXT) | instid1(VALU_DEP_1)
	v_fma_f64 v[15:16], v[7:8], v[7:8], v[15:16]
	v_div_scale_f64 v[25:26], null, v[15:16], v[15:16], 1.0
	v_div_scale_f64 v[27:28], vcc_lo, 1.0, v[15:16], 1.0
	s_delay_alu instid0(VALU_DEP_2) | instskip(SKIP_2) | instid1(VALU_DEP_1)
	v_rcp_f64_e32 v[21:22], v[25:26]
	s_waitcnt_depctr 0xfff
	v_fma_f64 v[23:24], -v[25:26], v[21:22], 1.0
	v_fma_f64 v[21:22], v[21:22], v[23:24], v[21:22]
	s_delay_alu instid0(VALU_DEP_1) | instskip(NEXT) | instid1(VALU_DEP_1)
	v_fma_f64 v[23:24], -v[25:26], v[21:22], 1.0
	v_fma_f64 v[29:30], v[21:22], v[23:24], v[21:22]
	ds_load_b128 v[21:24], v17 offset:33792
	s_waitcnt lgkmcnt(0)
	v_add_f64 v[5:6], v[5:6], -v[23:24]
	v_add_f64 v[3:4], v[3:4], -v[21:22]
	v_mul_f64 v[31:32], v[27:28], v[29:30]
	s_delay_alu instid0(VALU_DEP_3) | instskip(NEXT) | instid1(VALU_DEP_3)
	v_mul_f64 v[21:22], v[0:1], v[5:6]
	v_mul_f64 v[0:1], v[0:1], -v[3:4]
	s_delay_alu instid0(VALU_DEP_3) | instskip(NEXT) | instid1(VALU_DEP_3)
	v_fma_f64 v[23:24], -v[25:26], v[31:32], v[27:28]
	v_fma_f64 v[3:4], v[3:4], v[7:8], v[21:22]
	s_delay_alu instid0(VALU_DEP_3) | instskip(NEXT) | instid1(VALU_DEP_3)
	v_fma_f64 v[0:1], v[5:6], v[7:8], v[0:1]
	v_div_fmas_f64 v[23:24], v[23:24], v[29:30], v[31:32]
	s_delay_alu instid0(VALU_DEP_1) | instskip(NEXT) | instid1(VALU_DEP_1)
	v_div_fixup_f64 v[15:16], v[23:24], v[15:16], 1.0
	v_mul_f64 v[3:4], v[15:16], v[3:4]
	s_delay_alu instid0(VALU_DEP_4)
	v_mul_f64 v[5:6], v[15:16], v[0:1]
	v_add_nc_u32_e32 v0, 0x4200, v14
	ds_store_b128 v0, v[3:6]
	s_waitcnt lgkmcnt(0)
	s_waitcnt_vscnt null, 0x0
	buffer_gl0_inv
	s_and_b32 exec_lo, exec_lo, s0
	s_cbranch_execz .LBB75_96
; %bb.111:                              ;   in Loop: Header=BB75_97 Depth=1
	v_dual_mov_b32 v0, v10 :: v_dual_mov_b32 v1, v11
	v_mov_b32_e32 v7, v18
	s_mov_b32 s5, 0
	.p2align	6
.LBB75_112:                             ;   Parent Loop BB75_97 Depth=1
                                        ; =>  This Inner Loop Header: Depth=2
	ds_load_b128 v[14:17], v1
	ds_load_b128 v[21:24], v0
	v_add_nc_u32_e32 v7, 2, v7
	v_add_nc_u32_e32 v1, 0x420, v1
	s_delay_alu instid0(VALU_DEP_2) | instskip(SKIP_4) | instid1(VALU_DEP_2)
	v_cmp_le_i32_e32 vcc_lo, s29, v7
	s_or_b32 s5, vcc_lo, s5
	s_waitcnt lgkmcnt(0)
	v_fma_f64 v[21:22], v[3:4], v[14:15], v[21:22]
	v_fma_f64 v[23:24], v[5:6], v[14:15], v[23:24]
	;; [unrolled: 1-line block ×3, first 2 shown]
	s_delay_alu instid0(VALU_DEP_2)
	v_fma_f64 v[16:17], v[3:4], -v[16:17], v[23:24]
	ds_store_b128 v0, v[14:17]
	v_add_nc_u32_e32 v0, 32, v0
	s_and_not1_b32 exec_lo, exec_lo, s5
	s_cbranch_execnz .LBB75_112
	s_branch .LBB75_96
.LBB75_113:
	s_and_saveexec_b32 s1, s0
	s_cbranch_execz .LBB75_122
; %bb.114:
	s_mul_i32 s28, s28, s29
	v_cmp_gt_i32_e64 s0, s29, v9
	v_add_nc_u32_e32 v0, s28, v9
	v_add3_u32 v3, v19, v20, 0x4200
	v_mov_b32_e32 v4, v18
	s_cmp_lg_u32 s30, 0
	s_mov_b32 s2, 0
	v_mul_lo_u32 v2, v0, s29
	s_cselect_b32 s3, -1, 0
	s_set_inst_prefetch_distance 0x1
	s_branch .LBB75_117
	.p2align	6
.LBB75_115:                             ;   in Loop: Header=BB75_117 Depth=1
	ds_load_2addr_b64 v[5:8], v3 offset1:1
	v_ashrrev_i32_e32 v1, 31, v0
	s_delay_alu instid0(VALU_DEP_1) | instskip(NEXT) | instid1(VALU_DEP_1)
	v_lshlrev_b64 v[0:1], 4, v[0:1]
	v_add_co_u32 v0, vcc_lo, s18, v0
	s_delay_alu instid0(VALU_DEP_2)
	v_add_co_ci_u32_e32 v1, vcc_lo, s19, v1, vcc_lo
	s_waitcnt lgkmcnt(0)
	global_store_b128 v[0:1], v[5:8], off
.LBB75_116:                             ;   in Loop: Header=BB75_117 Depth=1
	s_or_b32 exec_lo, exec_lo, s4
	v_add_nc_u32_e32 v4, 2, v4
	v_add_nc_u32_e32 v3, 32, v3
	s_delay_alu instid0(VALU_DEP_2) | instskip(SKIP_1) | instid1(SALU_CYCLE_1)
	v_cmp_le_i32_e32 vcc_lo, s29, v4
	s_or_b32 s2, vcc_lo, s2
	s_and_not1_b32 exec_lo, exec_lo, s2
	s_cbranch_execz .LBB75_122
.LBB75_117:                             ; =>This Inner Loop Header: Depth=1
	s_and_saveexec_b32 s4, s0
	s_cbranch_execz .LBB75_116
; %bb.118:                              ;   in Loop: Header=BB75_117 Depth=1
	s_and_b32 vcc_lo, exec_lo, s3
	s_cbranch_vccz .LBB75_120
; %bb.119:                              ;   in Loop: Header=BB75_117 Depth=1
	v_add_nc_u32_e32 v5, s28, v4
	s_delay_alu instid0(VALU_DEP_1)
	v_mad_u64_u32 v[0:1], null, v5, s29, v[9:10]
	s_cbranch_execnz .LBB75_115
	s_branch .LBB75_121
.LBB75_120:                             ;   in Loop: Header=BB75_117 Depth=1
                                        ; implicit-def: $vgpr0
.LBB75_121:                             ;   in Loop: Header=BB75_117 Depth=1
	v_add_nc_u32_e32 v0, v2, v4
	s_branch .LBB75_115
.LBB75_122:
	s_set_inst_prefetch_distance 0x2
	s_or_b32 exec_lo, exec_lo, s1
	v_or_b32_e32 v0, v18, v9
	s_delay_alu instid0(VALU_DEP_1)
	v_cmp_eq_u32_e64 s3, 0, v0
.LBB75_123:
	s_delay_alu instid0(VALU_DEP_1)
	s_and_saveexec_b32 s0, s3
	s_cbranch_execnz .LBB75_131
.LBB75_124:
	s_nop 0
	s_sendmsg sendmsg(MSG_DEALLOC_VGPRS)
	s_endpgm
.LBB75_125:
	s_cbranch_execz .LBB75_123
; %bb.126:
	v_or_b32_e32 v0, v18, v9
	s_mov_b32 s0, exec_lo
	s_delay_alu instid0(VALU_DEP_1)
	v_cmpx_eq_u32_e32 0, v0
	s_cbranch_execz .LBB75_130
; %bb.127:
	v_mbcnt_lo_u32_b32 v0, exec_lo, 0
	s_mov_b32 s1, exec_lo
	s_delay_alu instid0(VALU_DEP_1)
	v_cmpx_eq_u32_e32 0, v0
	s_cbranch_execz .LBB75_129
; %bb.128:
	s_add_i32 s2, s16, s17
	s_delay_alu instid0(SALU_CYCLE_1)
	v_dual_mov_b32 v0, 0 :: v_dual_mov_b32 v1, s2
	global_atomic_min_i32 v0, v1, s[10:11]
.LBB75_129:
	s_or_b32 exec_lo, exec_lo, s1
	s_delay_alu instid0(SALU_CYCLE_1)
	s_or_b32 s3, s3, exec_lo
.LBB75_130:
	s_or_b32 exec_lo, exec_lo, s0
	s_and_saveexec_b32 s0, s3
	s_cbranch_execz .LBB75_124
.LBB75_131:
	v_dual_mov_b32 v0, 0 :: v_dual_mov_b32 v1, 1
	s_add_u32 s0, s6, s8
	s_addc_u32 s1, s7, s9
	s_waitcnt_vscnt null, 0x0
	global_store_b32 v0, v1, s[0:1]
	s_nop 0
	s_sendmsg sendmsg(MSG_DEALLOC_VGPRS)
	s_endpgm
	.section	.rodata,"a",@progbits
	.p2align	6, 0x0
	.amdhsa_kernel _ZN9rocsparseL19bsric0_17_32_kernelILi64ELi128ELi32E21rocsparse_complex_numIdEEEv20rocsparse_direction_iiPKiS5_PT2_S5_PiS5_S8_21rocsparse_index_base_
		.amdhsa_group_segment_fixed_size 52224
		.amdhsa_private_segment_fixed_size 0
		.amdhsa_kernarg_size 76
		.amdhsa_user_sgpr_count 15
		.amdhsa_user_sgpr_dispatch_ptr 0
		.amdhsa_user_sgpr_queue_ptr 0
		.amdhsa_user_sgpr_kernarg_segment_ptr 1
		.amdhsa_user_sgpr_dispatch_id 0
		.amdhsa_user_sgpr_private_segment_size 0
		.amdhsa_wavefront_size32 1
		.amdhsa_uses_dynamic_stack 0
		.amdhsa_enable_private_segment 0
		.amdhsa_system_sgpr_workgroup_id_x 1
		.amdhsa_system_sgpr_workgroup_id_y 0
		.amdhsa_system_sgpr_workgroup_id_z 0
		.amdhsa_system_sgpr_workgroup_info 0
		.amdhsa_system_vgpr_workitem_id 1
		.amdhsa_next_free_vgpr 37
		.amdhsa_next_free_sgpr 45
		.amdhsa_reserve_vcc 1
		.amdhsa_float_round_mode_32 0
		.amdhsa_float_round_mode_16_64 0
		.amdhsa_float_denorm_mode_32 3
		.amdhsa_float_denorm_mode_16_64 3
		.amdhsa_dx10_clamp 1
		.amdhsa_ieee_mode 1
		.amdhsa_fp16_overflow 0
		.amdhsa_workgroup_processor_mode 1
		.amdhsa_memory_ordered 1
		.amdhsa_forward_progress 0
		.amdhsa_shared_vgpr_count 0
		.amdhsa_exception_fp_ieee_invalid_op 0
		.amdhsa_exception_fp_denorm_src 0
		.amdhsa_exception_fp_ieee_div_zero 0
		.amdhsa_exception_fp_ieee_overflow 0
		.amdhsa_exception_fp_ieee_underflow 0
		.amdhsa_exception_fp_ieee_inexact 0
		.amdhsa_exception_int_div_zero 0
	.end_amdhsa_kernel
	.section	.text._ZN9rocsparseL19bsric0_17_32_kernelILi64ELi128ELi32E21rocsparse_complex_numIdEEEv20rocsparse_direction_iiPKiS5_PT2_S5_PiS5_S8_21rocsparse_index_base_,"axG",@progbits,_ZN9rocsparseL19bsric0_17_32_kernelILi64ELi128ELi32E21rocsparse_complex_numIdEEEv20rocsparse_direction_iiPKiS5_PT2_S5_PiS5_S8_21rocsparse_index_base_,comdat
.Lfunc_end75:
	.size	_ZN9rocsparseL19bsric0_17_32_kernelILi64ELi128ELi32E21rocsparse_complex_numIdEEEv20rocsparse_direction_iiPKiS5_PT2_S5_PiS5_S8_21rocsparse_index_base_, .Lfunc_end75-_ZN9rocsparseL19bsric0_17_32_kernelILi64ELi128ELi32E21rocsparse_complex_numIdEEEv20rocsparse_direction_iiPKiS5_PT2_S5_PiS5_S8_21rocsparse_index_base_
                                        ; -- End function
	.section	.AMDGPU.csdata,"",@progbits
; Kernel info:
; codeLenInByte = 5268
; NumSgprs: 47
; NumVgprs: 37
; ScratchSize: 0
; MemoryBound: 1
; FloatMode: 240
; IeeeMode: 1
; LDSByteSize: 52224 bytes/workgroup (compile time only)
; SGPRBlocks: 5
; VGPRBlocks: 4
; NumSGPRsForWavesPerEU: 47
; NumVGPRsForWavesPerEU: 37
; Occupancy: 1
; WaveLimiterHint : 1
; COMPUTE_PGM_RSRC2:SCRATCH_EN: 0
; COMPUTE_PGM_RSRC2:USER_SGPR: 15
; COMPUTE_PGM_RSRC2:TRAP_HANDLER: 0
; COMPUTE_PGM_RSRC2:TGID_X_EN: 1
; COMPUTE_PGM_RSRC2:TGID_Y_EN: 0
; COMPUTE_PGM_RSRC2:TGID_Z_EN: 0
; COMPUTE_PGM_RSRC2:TIDIG_COMP_CNT: 1
	.text
	.p2alignl 7, 3214868480
	.fill 96, 4, 3214868480
	.type	__hip_cuid_2aa7879e40bc8850,@object ; @__hip_cuid_2aa7879e40bc8850
	.section	.bss,"aw",@nobits
	.globl	__hip_cuid_2aa7879e40bc8850
__hip_cuid_2aa7879e40bc8850:
	.byte	0                               ; 0x0
	.size	__hip_cuid_2aa7879e40bc8850, 1

	.ident	"AMD clang version 19.0.0git (https://github.com/RadeonOpenCompute/llvm-project roc-6.4.0 25133 c7fe45cf4b819c5991fe208aaa96edf142730f1d)"
	.section	".note.GNU-stack","",@progbits
	.addrsig
	.addrsig_sym __hip_cuid_2aa7879e40bc8850
	.amdgpu_metadata
---
amdhsa.kernels:
  - .args:
      - .offset:         0
        .size:           4
        .value_kind:     by_value
      - .offset:         4
        .size:           4
        .value_kind:     by_value
      - .offset:         8
        .size:           4
        .value_kind:     by_value
      - .actual_access:  read_only
        .address_space:  global
        .offset:         16
        .size:           8
        .value_kind:     global_buffer
      - .actual_access:  read_only
        .address_space:  global
        .offset:         24
        .size:           8
        .value_kind:     global_buffer
      - .address_space:  global
        .offset:         32
        .size:           8
        .value_kind:     global_buffer
      - .actual_access:  read_only
        .address_space:  global
        .offset:         40
        .size:           8
        .value_kind:     global_buffer
      - .address_space:  global
        .offset:         48
        .size:           8
        .value_kind:     global_buffer
      - .actual_access:  read_only
        .address_space:  global
        .offset:         56
        .size:           8
        .value_kind:     global_buffer
      - .address_space:  global
        .offset:         64
        .size:           8
        .value_kind:     global_buffer
      - .offset:         72
        .size:           4
        .value_kind:     by_value
    .group_segment_fixed_size: 0
    .kernarg_segment_align: 8
    .kernarg_segment_size: 76
    .language:       OpenCL C
    .language_version:
      - 2
      - 0
    .max_flat_workgroup_size: 32
    .name:           _ZN9rocsparseL23bsric0_binsearch_kernelILj32ELj32ELb0EfEEv20rocsparse_direction_iiPKiS3_PT2_S3_PiS3_S6_21rocsparse_index_base_
    .private_segment_fixed_size: 0
    .sgpr_count:     42
    .sgpr_spill_count: 0
    .symbol:         _ZN9rocsparseL23bsric0_binsearch_kernelILj32ELj32ELb0EfEEv20rocsparse_direction_iiPKiS3_PT2_S3_PiS3_S6_21rocsparse_index_base_.kd
    .uniform_work_group_size: 1
    .uses_dynamic_stack: false
    .vgpr_count:     41
    .vgpr_spill_count: 0
    .wavefront_size: 32
    .workgroup_processor_mode: 1
  - .args:
      - .offset:         0
        .size:           4
        .value_kind:     by_value
      - .offset:         4
        .size:           4
        .value_kind:     by_value
      - .offset:         8
        .size:           4
        .value_kind:     by_value
      - .actual_access:  read_only
        .address_space:  global
        .offset:         16
        .size:           8
        .value_kind:     global_buffer
      - .actual_access:  read_only
        .address_space:  global
        .offset:         24
        .size:           8
        .value_kind:     global_buffer
      - .address_space:  global
        .offset:         32
        .size:           8
        .value_kind:     global_buffer
      - .actual_access:  read_only
        .address_space:  global
        .offset:         40
        .size:           8
        .value_kind:     global_buffer
      - .address_space:  global
        .offset:         48
        .size:           8
        .value_kind:     global_buffer
      - .actual_access:  read_only
        .address_space:  global
        .offset:         56
        .size:           8
        .value_kind:     global_buffer
      - .address_space:  global
        .offset:         64
        .size:           8
        .value_kind:     global_buffer
      - .offset:         72
        .size:           4
        .value_kind:     by_value
    .group_segment_fixed_size: 0
    .kernarg_segment_align: 8
    .kernarg_segment_size: 76
    .language:       OpenCL C
    .language_version:
      - 2
      - 0
    .max_flat_workgroup_size: 64
    .name:           _ZN9rocsparseL23bsric0_binsearch_kernelILj64ELj64ELb1EfEEv20rocsparse_direction_iiPKiS3_PT2_S3_PiS3_S6_21rocsparse_index_base_
    .private_segment_fixed_size: 0
    .sgpr_count:     42
    .sgpr_spill_count: 0
    .symbol:         _ZN9rocsparseL23bsric0_binsearch_kernelILj64ELj64ELb1EfEEv20rocsparse_direction_iiPKiS3_PT2_S3_PiS3_S6_21rocsparse_index_base_.kd
    .uniform_work_group_size: 1
    .uses_dynamic_stack: false
    .vgpr_count:     41
    .vgpr_spill_count: 0
    .wavefront_size: 32
    .workgroup_processor_mode: 1
  - .args:
      - .offset:         0
        .size:           4
        .value_kind:     by_value
      - .offset:         4
        .size:           4
        .value_kind:     by_value
      - .offset:         8
        .size:           4
        .value_kind:     by_value
      - .actual_access:  read_only
        .address_space:  global
        .offset:         16
        .size:           8
        .value_kind:     global_buffer
      - .actual_access:  read_only
        .address_space:  global
        .offset:         24
        .size:           8
        .value_kind:     global_buffer
      - .address_space:  global
        .offset:         32
        .size:           8
        .value_kind:     global_buffer
      - .actual_access:  read_only
        .address_space:  global
        .offset:         40
        .size:           8
        .value_kind:     global_buffer
      - .address_space:  global
        .offset:         48
        .size:           8
        .value_kind:     global_buffer
      - .actual_access:  read_only
        .address_space:  global
        .offset:         56
        .size:           8
        .value_kind:     global_buffer
      - .address_space:  global
        .offset:         64
        .size:           8
        .value_kind:     global_buffer
      - .offset:         72
        .size:           4
        .value_kind:     by_value
    .group_segment_fixed_size: 416
    .kernarg_segment_align: 8
    .kernarg_segment_size: 76
    .language:       OpenCL C
    .language_version:
      - 2
      - 0
    .max_flat_workgroup_size: 1
    .name:           _ZN9rocsparseL26bsric0_2_8_unrolled_kernelILi1ELi32ELi1EfEEv20rocsparse_direction_iiPKiS3_PT2_S3_PiS3_S6_21rocsparse_index_base_
    .private_segment_fixed_size: 0
    .sgpr_count:     40
    .sgpr_spill_count: 0
    .symbol:         _ZN9rocsparseL26bsric0_2_8_unrolled_kernelILi1ELi32ELi1EfEEv20rocsparse_direction_iiPKiS3_PT2_S3_PiS3_S6_21rocsparse_index_base_.kd
    .uniform_work_group_size: 1
    .uses_dynamic_stack: false
    .vgpr_count:     40
    .vgpr_spill_count: 0
    .wavefront_size: 32
    .workgroup_processor_mode: 1
  - .args:
      - .offset:         0
        .size:           4
        .value_kind:     by_value
      - .offset:         4
        .size:           4
        .value_kind:     by_value
      - .offset:         8
        .size:           4
        .value_kind:     by_value
      - .actual_access:  read_only
        .address_space:  global
        .offset:         16
        .size:           8
        .value_kind:     global_buffer
      - .actual_access:  read_only
        .address_space:  global
        .offset:         24
        .size:           8
        .value_kind:     global_buffer
      - .address_space:  global
        .offset:         32
        .size:           8
        .value_kind:     global_buffer
      - .actual_access:  read_only
        .address_space:  global
        .offset:         40
        .size:           8
        .value_kind:     global_buffer
      - .address_space:  global
        .offset:         48
        .size:           8
        .value_kind:     global_buffer
      - .actual_access:  read_only
        .address_space:  global
        .offset:         56
        .size:           8
        .value_kind:     global_buffer
      - .address_space:  global
        .offset:         64
        .size:           8
        .value_kind:     global_buffer
      - .offset:         72
        .size:           4
        .value_kind:     by_value
    .group_segment_fixed_size: 504
    .kernarg_segment_align: 8
    .kernarg_segment_size: 76
    .language:       OpenCL C
    .language_version:
      - 2
      - 0
    .max_flat_workgroup_size: 4
    .name:           _ZN9rocsparseL26bsric0_2_8_unrolled_kernelILi4ELi32ELi2EfEEv20rocsparse_direction_iiPKiS3_PT2_S3_PiS3_S6_21rocsparse_index_base_
    .private_segment_fixed_size: 0
    .sgpr_count:     39
    .sgpr_spill_count: 0
    .symbol:         _ZN9rocsparseL26bsric0_2_8_unrolled_kernelILi4ELi32ELi2EfEEv20rocsparse_direction_iiPKiS3_PT2_S3_PiS3_S6_21rocsparse_index_base_.kd
    .uniform_work_group_size: 1
    .uses_dynamic_stack: false
    .vgpr_count:     33
    .vgpr_spill_count: 0
    .wavefront_size: 32
    .workgroup_processor_mode: 1
  - .args:
      - .offset:         0
        .size:           4
        .value_kind:     by_value
      - .offset:         4
        .size:           4
        .value_kind:     by_value
      - .offset:         8
        .size:           4
        .value_kind:     by_value
      - .actual_access:  read_only
        .address_space:  global
        .offset:         16
        .size:           8
        .value_kind:     global_buffer
      - .actual_access:  read_only
        .address_space:  global
        .offset:         24
        .size:           8
        .value_kind:     global_buffer
      - .address_space:  global
        .offset:         32
        .size:           8
        .value_kind:     global_buffer
      - .actual_access:  read_only
        .address_space:  global
        .offset:         40
        .size:           8
        .value_kind:     global_buffer
      - .address_space:  global
        .offset:         48
        .size:           8
        .value_kind:     global_buffer
      - .actual_access:  read_only
        .address_space:  global
        .offset:         56
        .size:           8
        .value_kind:     global_buffer
      - .address_space:  global
        .offset:         64
        .size:           8
        .value_kind:     global_buffer
      - .offset:         72
        .size:           4
        .value_kind:     by_value
    .group_segment_fixed_size: 576
    .kernarg_segment_align: 8
    .kernarg_segment_size: 76
    .language:       OpenCL C
    .language_version:
      - 2
      - 0
    .max_flat_workgroup_size: 9
    .name:           _ZN9rocsparseL26bsric0_2_8_unrolled_kernelILi9ELi32ELi3EfEEv20rocsparse_direction_iiPKiS3_PT2_S3_PiS3_S6_21rocsparse_index_base_
    .private_segment_fixed_size: 0
    .sgpr_count:     39
    .sgpr_spill_count: 0
    .symbol:         _ZN9rocsparseL26bsric0_2_8_unrolled_kernelILi9ELi32ELi3EfEEv20rocsparse_direction_iiPKiS3_PT2_S3_PiS3_S6_21rocsparse_index_base_.kd
    .uniform_work_group_size: 1
    .uses_dynamic_stack: false
    .vgpr_count:     37
    .vgpr_spill_count: 0
    .wavefront_size: 32
    .workgroup_processor_mode: 1
  - .args:
      - .offset:         0
        .size:           4
        .value_kind:     by_value
      - .offset:         4
        .size:           4
        .value_kind:     by_value
      - .offset:         8
        .size:           4
        .value_kind:     by_value
      - .actual_access:  read_only
        .address_space:  global
        .offset:         16
        .size:           8
        .value_kind:     global_buffer
      - .actual_access:  read_only
        .address_space:  global
        .offset:         24
        .size:           8
        .value_kind:     global_buffer
      - .address_space:  global
        .offset:         32
        .size:           8
        .value_kind:     global_buffer
      - .actual_access:  read_only
        .address_space:  global
        .offset:         40
        .size:           8
        .value_kind:     global_buffer
      - .address_space:  global
        .offset:         48
        .size:           8
        .value_kind:     global_buffer
      - .actual_access:  read_only
        .address_space:  global
        .offset:         56
        .size:           8
        .value_kind:     global_buffer
      - .address_space:  global
        .offset:         64
        .size:           8
        .value_kind:     global_buffer
      - .offset:         72
        .size:           4
        .value_kind:     by_value
    .group_segment_fixed_size: 704
    .kernarg_segment_align: 8
    .kernarg_segment_size: 76
    .language:       OpenCL C
    .language_version:
      - 2
      - 0
    .max_flat_workgroup_size: 16
    .name:           _ZN9rocsparseL26bsric0_2_8_unrolled_kernelILi16ELi32ELi4EfEEv20rocsparse_direction_iiPKiS3_PT2_S3_PiS3_S6_21rocsparse_index_base_
    .private_segment_fixed_size: 0
    .sgpr_count:     39
    .sgpr_spill_count: 0
    .symbol:         _ZN9rocsparseL26bsric0_2_8_unrolled_kernelILi16ELi32ELi4EfEEv20rocsparse_direction_iiPKiS3_PT2_S3_PiS3_S6_21rocsparse_index_base_.kd
    .uniform_work_group_size: 1
    .uses_dynamic_stack: false
    .vgpr_count:     39
    .vgpr_spill_count: 0
    .wavefront_size: 32
    .workgroup_processor_mode: 1
  - .args:
      - .offset:         0
        .size:           4
        .value_kind:     by_value
      - .offset:         4
        .size:           4
        .value_kind:     by_value
      - .offset:         8
        .size:           4
        .value_kind:     by_value
      - .actual_access:  read_only
        .address_space:  global
        .offset:         16
        .size:           8
        .value_kind:     global_buffer
      - .actual_access:  read_only
        .address_space:  global
        .offset:         24
        .size:           8
        .value_kind:     global_buffer
      - .address_space:  global
        .offset:         32
        .size:           8
        .value_kind:     global_buffer
      - .actual_access:  read_only
        .address_space:  global
        .offset:         40
        .size:           8
        .value_kind:     global_buffer
      - .address_space:  global
        .offset:         48
        .size:           8
        .value_kind:     global_buffer
      - .actual_access:  read_only
        .address_space:  global
        .offset:         56
        .size:           8
        .value_kind:     global_buffer
      - .address_space:  global
        .offset:         64
        .size:           8
        .value_kind:     global_buffer
      - .offset:         72
        .size:           4
        .value_kind:     by_value
    .group_segment_fixed_size: 888
    .kernarg_segment_align: 8
    .kernarg_segment_size: 76
    .language:       OpenCL C
    .language_version:
      - 2
      - 0
    .max_flat_workgroup_size: 25
    .name:           _ZN9rocsparseL26bsric0_2_8_unrolled_kernelILi25ELi32ELi5EfEEv20rocsparse_direction_iiPKiS3_PT2_S3_PiS3_S6_21rocsparse_index_base_
    .private_segment_fixed_size: 0
    .sgpr_count:     39
    .sgpr_spill_count: 0
    .symbol:         _ZN9rocsparseL26bsric0_2_8_unrolled_kernelILi25ELi32ELi5EfEEv20rocsparse_direction_iiPKiS3_PT2_S3_PiS3_S6_21rocsparse_index_base_.kd
    .uniform_work_group_size: 1
    .uses_dynamic_stack: false
    .vgpr_count:     44
    .vgpr_spill_count: 0
    .wavefront_size: 32
    .workgroup_processor_mode: 1
  - .args:
      - .offset:         0
        .size:           4
        .value_kind:     by_value
      - .offset:         4
        .size:           4
        .value_kind:     by_value
      - .offset:         8
        .size:           4
        .value_kind:     by_value
      - .actual_access:  read_only
        .address_space:  global
        .offset:         16
        .size:           8
        .value_kind:     global_buffer
      - .actual_access:  read_only
        .address_space:  global
        .offset:         24
        .size:           8
        .value_kind:     global_buffer
      - .address_space:  global
        .offset:         32
        .size:           8
        .value_kind:     global_buffer
      - .actual_access:  read_only
        .address_space:  global
        .offset:         40
        .size:           8
        .value_kind:     global_buffer
      - .address_space:  global
        .offset:         48
        .size:           8
        .value_kind:     global_buffer
      - .actual_access:  read_only
        .address_space:  global
        .offset:         56
        .size:           8
        .value_kind:     global_buffer
      - .address_space:  global
        .offset:         64
        .size:           8
        .value_kind:     global_buffer
      - .offset:         72
        .size:           4
        .value_kind:     by_value
    .group_segment_fixed_size: 1088
    .kernarg_segment_align: 8
    .kernarg_segment_size: 76
    .language:       OpenCL C
    .language_version:
      - 2
      - 0
    .max_flat_workgroup_size: 36
    .name:           _ZN9rocsparseL26bsric0_2_8_unrolled_kernelILi36ELi32ELi6EfEEv20rocsparse_direction_iiPKiS3_PT2_S3_PiS3_S6_21rocsparse_index_base_
    .private_segment_fixed_size: 0
    .sgpr_count:     39
    .sgpr_spill_count: 0
    .symbol:         _ZN9rocsparseL26bsric0_2_8_unrolled_kernelILi36ELi32ELi6EfEEv20rocsparse_direction_iiPKiS3_PT2_S3_PiS3_S6_21rocsparse_index_base_.kd
    .uniform_work_group_size: 1
    .uses_dynamic_stack: false
    .vgpr_count:     45
    .vgpr_spill_count: 0
    .wavefront_size: 32
    .workgroup_processor_mode: 1
  - .args:
      - .offset:         0
        .size:           4
        .value_kind:     by_value
      - .offset:         4
        .size:           4
        .value_kind:     by_value
      - .offset:         8
        .size:           4
        .value_kind:     by_value
      - .actual_access:  read_only
        .address_space:  global
        .offset:         16
        .size:           8
        .value_kind:     global_buffer
      - .actual_access:  read_only
        .address_space:  global
        .offset:         24
        .size:           8
        .value_kind:     global_buffer
      - .address_space:  global
        .offset:         32
        .size:           8
        .value_kind:     global_buffer
      - .actual_access:  read_only
        .address_space:  global
        .offset:         40
        .size:           8
        .value_kind:     global_buffer
      - .address_space:  global
        .offset:         48
        .size:           8
        .value_kind:     global_buffer
      - .actual_access:  read_only
        .address_space:  global
        .offset:         56
        .size:           8
        .value_kind:     global_buffer
      - .address_space:  global
        .offset:         64
        .size:           8
        .value_kind:     global_buffer
      - .offset:         72
        .size:           4
        .value_kind:     by_value
    .group_segment_fixed_size: 1280
    .kernarg_segment_align: 8
    .kernarg_segment_size: 76
    .language:       OpenCL C
    .language_version:
      - 2
      - 0
    .max_flat_workgroup_size: 49
    .name:           _ZN9rocsparseL26bsric0_2_8_unrolled_kernelILi49ELi32ELi7EfEEv20rocsparse_direction_iiPKiS3_PT2_S3_PiS3_S6_21rocsparse_index_base_
    .private_segment_fixed_size: 0
    .sgpr_count:     39
    .sgpr_spill_count: 0
    .symbol:         _ZN9rocsparseL26bsric0_2_8_unrolled_kernelILi49ELi32ELi7EfEEv20rocsparse_direction_iiPKiS3_PT2_S3_PiS3_S6_21rocsparse_index_base_.kd
    .uniform_work_group_size: 1
    .uses_dynamic_stack: false
    .vgpr_count:     47
    .vgpr_spill_count: 0
    .wavefront_size: 32
    .workgroup_processor_mode: 1
  - .args:
      - .offset:         0
        .size:           4
        .value_kind:     by_value
      - .offset:         4
        .size:           4
        .value_kind:     by_value
      - .offset:         8
        .size:           4
        .value_kind:     by_value
      - .actual_access:  read_only
        .address_space:  global
        .offset:         16
        .size:           8
        .value_kind:     global_buffer
      - .actual_access:  read_only
        .address_space:  global
        .offset:         24
        .size:           8
        .value_kind:     global_buffer
      - .address_space:  global
        .offset:         32
        .size:           8
        .value_kind:     global_buffer
      - .actual_access:  read_only
        .address_space:  global
        .offset:         40
        .size:           8
        .value_kind:     global_buffer
      - .address_space:  global
        .offset:         48
        .size:           8
        .value_kind:     global_buffer
      - .actual_access:  read_only
        .address_space:  global
        .offset:         56
        .size:           8
        .value_kind:     global_buffer
      - .address_space:  global
        .offset:         64
        .size:           8
        .value_kind:     global_buffer
      - .offset:         72
        .size:           4
        .value_kind:     by_value
    .group_segment_fixed_size: 1536
    .kernarg_segment_align: 8
    .kernarg_segment_size: 76
    .language:       OpenCL C
    .language_version:
      - 2
      - 0
    .max_flat_workgroup_size: 64
    .name:           _ZN9rocsparseL26bsric0_2_8_unrolled_kernelILi64ELi32ELi8EfEEv20rocsparse_direction_iiPKiS3_PT2_S3_PiS3_S6_21rocsparse_index_base_
    .private_segment_fixed_size: 0
    .sgpr_count:     39
    .sgpr_spill_count: 0
    .symbol:         _ZN9rocsparseL26bsric0_2_8_unrolled_kernelILi64ELi32ELi8EfEEv20rocsparse_direction_iiPKiS3_PT2_S3_PiS3_S6_21rocsparse_index_base_.kd
    .uniform_work_group_size: 1
    .uses_dynamic_stack: false
    .vgpr_count:     51
    .vgpr_spill_count: 0
    .wavefront_size: 32
    .workgroup_processor_mode: 1
  - .args:
      - .offset:         0
        .size:           4
        .value_kind:     by_value
      - .offset:         4
        .size:           4
        .value_kind:     by_value
      - .offset:         8
        .size:           4
        .value_kind:     by_value
      - .actual_access:  read_only
        .address_space:  global
        .offset:         16
        .size:           8
        .value_kind:     global_buffer
      - .actual_access:  read_only
        .address_space:  global
        .offset:         24
        .size:           8
        .value_kind:     global_buffer
      - .address_space:  global
        .offset:         32
        .size:           8
        .value_kind:     global_buffer
      - .actual_access:  read_only
        .address_space:  global
        .offset:         40
        .size:           8
        .value_kind:     global_buffer
      - .address_space:  global
        .offset:         48
        .size:           8
        .value_kind:     global_buffer
      - .actual_access:  read_only
        .address_space:  global
        .offset:         56
        .size:           8
        .value_kind:     global_buffer
      - .address_space:  global
        .offset:         64
        .size:           8
        .value_kind:     global_buffer
      - .offset:         72
        .size:           4
        .value_kind:     by_value
    .group_segment_fixed_size: 4736
    .kernarg_segment_align: 8
    .kernarg_segment_size: 76
    .language:       OpenCL C
    .language_version:
      - 2
      - 0
    .max_flat_workgroup_size: 64
    .name:           _ZN9rocsparseL18bsric0_9_16_kernelILi64ELi32ELi16EfEEv20rocsparse_direction_iiPKiS3_PT2_S3_PiS3_S6_21rocsparse_index_base_
    .private_segment_fixed_size: 0
    .sgpr_count:     46
    .sgpr_spill_count: 0
    .symbol:         _ZN9rocsparseL18bsric0_9_16_kernelILi64ELi32ELi16EfEEv20rocsparse_direction_iiPKiS3_PT2_S3_PiS3_S6_21rocsparse_index_base_.kd
    .uniform_work_group_size: 1
    .uses_dynamic_stack: false
    .vgpr_count:     27
    .vgpr_spill_count: 0
    .wavefront_size: 32
    .workgroup_processor_mode: 1
  - .args:
      - .offset:         0
        .size:           4
        .value_kind:     by_value
      - .offset:         4
        .size:           4
        .value_kind:     by_value
      - .offset:         8
        .size:           4
        .value_kind:     by_value
      - .actual_access:  read_only
        .address_space:  global
        .offset:         16
        .size:           8
        .value_kind:     global_buffer
      - .actual_access:  read_only
        .address_space:  global
        .offset:         24
        .size:           8
        .value_kind:     global_buffer
      - .address_space:  global
        .offset:         32
        .size:           8
        .value_kind:     global_buffer
      - .actual_access:  read_only
        .address_space:  global
        .offset:         40
        .size:           8
        .value_kind:     global_buffer
      - .address_space:  global
        .offset:         48
        .size:           8
        .value_kind:     global_buffer
      - .actual_access:  read_only
        .address_space:  global
        .offset:         56
        .size:           8
        .value_kind:     global_buffer
      - .address_space:  global
        .offset:         64
        .size:           8
        .value_kind:     global_buffer
      - .offset:         72
        .size:           4
        .value_kind:     by_value
    .group_segment_fixed_size: 13056
    .kernarg_segment_align: 8
    .kernarg_segment_size: 76
    .language:       OpenCL C
    .language_version:
      - 2
      - 0
    .max_flat_workgroup_size: 64
    .name:           _ZN9rocsparseL19bsric0_17_32_kernelILi64ELi32ELi32EfEEv20rocsparse_direction_iiPKiS3_PT2_S3_PiS3_S6_21rocsparse_index_base_
    .private_segment_fixed_size: 0
    .sgpr_count:     47
    .sgpr_spill_count: 0
    .symbol:         _ZN9rocsparseL19bsric0_17_32_kernelILi64ELi32ELi32EfEEv20rocsparse_direction_iiPKiS3_PT2_S3_PiS3_S6_21rocsparse_index_base_.kd
    .uniform_work_group_size: 1
    .uses_dynamic_stack: false
    .vgpr_count:     25
    .vgpr_spill_count: 0
    .wavefront_size: 32
    .workgroup_processor_mode: 1
  - .args:
      - .offset:         0
        .size:           4
        .value_kind:     by_value
      - .offset:         4
        .size:           4
        .value_kind:     by_value
      - .offset:         8
        .size:           4
        .value_kind:     by_value
      - .actual_access:  read_only
        .address_space:  global
        .offset:         16
        .size:           8
        .value_kind:     global_buffer
      - .actual_access:  read_only
        .address_space:  global
        .offset:         24
        .size:           8
        .value_kind:     global_buffer
      - .address_space:  global
        .offset:         32
        .size:           8
        .value_kind:     global_buffer
      - .actual_access:  read_only
        .address_space:  global
        .offset:         40
        .size:           8
        .value_kind:     global_buffer
      - .address_space:  global
        .offset:         48
        .size:           8
        .value_kind:     global_buffer
      - .actual_access:  read_only
        .address_space:  global
        .offset:         56
        .size:           8
        .value_kind:     global_buffer
      - .address_space:  global
        .offset:         64
        .size:           8
        .value_kind:     global_buffer
      - .offset:         72
        .size:           4
        .value_kind:     by_value
    .group_segment_fixed_size: 0
    .kernarg_segment_align: 8
    .kernarg_segment_size: 76
    .language:       OpenCL C
    .language_version:
      - 2
      - 0
    .max_flat_workgroup_size: 64
    .name:           _ZN9rocsparseL23bsric0_binsearch_kernelILj64ELj64ELb0EfEEv20rocsparse_direction_iiPKiS3_PT2_S3_PiS3_S6_21rocsparse_index_base_
    .private_segment_fixed_size: 0
    .sgpr_count:     42
    .sgpr_spill_count: 0
    .symbol:         _ZN9rocsparseL23bsric0_binsearch_kernelILj64ELj64ELb0EfEEv20rocsparse_direction_iiPKiS3_PT2_S3_PiS3_S6_21rocsparse_index_base_.kd
    .uniform_work_group_size: 1
    .uses_dynamic_stack: false
    .vgpr_count:     41
    .vgpr_spill_count: 0
    .wavefront_size: 32
    .workgroup_processor_mode: 1
  - .args:
      - .offset:         0
        .size:           4
        .value_kind:     by_value
      - .offset:         4
        .size:           4
        .value_kind:     by_value
      - .offset:         8
        .size:           4
        .value_kind:     by_value
      - .actual_access:  read_only
        .address_space:  global
        .offset:         16
        .size:           8
        .value_kind:     global_buffer
      - .actual_access:  read_only
        .address_space:  global
        .offset:         24
        .size:           8
        .value_kind:     global_buffer
      - .address_space:  global
        .offset:         32
        .size:           8
        .value_kind:     global_buffer
      - .actual_access:  read_only
        .address_space:  global
        .offset:         40
        .size:           8
        .value_kind:     global_buffer
      - .address_space:  global
        .offset:         48
        .size:           8
        .value_kind:     global_buffer
      - .actual_access:  read_only
        .address_space:  global
        .offset:         56
        .size:           8
        .value_kind:     global_buffer
      - .address_space:  global
        .offset:         64
        .size:           8
        .value_kind:     global_buffer
      - .offset:         72
        .size:           4
        .value_kind:     by_value
    .group_segment_fixed_size: 1920
    .kernarg_segment_align: 8
    .kernarg_segment_size: 76
    .language:       OpenCL C
    .language_version:
      - 2
      - 0
    .max_flat_workgroup_size: 64
    .name:           _ZN9rocsparseL17bsric0_2_8_kernelILi64ELi64ELi8EfEEv20rocsparse_direction_iiPKiS3_PT2_S3_PiS3_S6_21rocsparse_index_base_
    .private_segment_fixed_size: 0
    .sgpr_count:     48
    .sgpr_spill_count: 0
    .symbol:         _ZN9rocsparseL17bsric0_2_8_kernelILi64ELi64ELi8EfEEv20rocsparse_direction_iiPKiS3_PT2_S3_PiS3_S6_21rocsparse_index_base_.kd
    .uniform_work_group_size: 1
    .uses_dynamic_stack: false
    .vgpr_count:     24
    .vgpr_spill_count: 0
    .wavefront_size: 32
    .workgroup_processor_mode: 1
  - .args:
      - .offset:         0
        .size:           4
        .value_kind:     by_value
      - .offset:         4
        .size:           4
        .value_kind:     by_value
      - .offset:         8
        .size:           4
        .value_kind:     by_value
      - .actual_access:  read_only
        .address_space:  global
        .offset:         16
        .size:           8
        .value_kind:     global_buffer
      - .actual_access:  read_only
        .address_space:  global
        .offset:         24
        .size:           8
        .value_kind:     global_buffer
      - .address_space:  global
        .offset:         32
        .size:           8
        .value_kind:     global_buffer
      - .actual_access:  read_only
        .address_space:  global
        .offset:         40
        .size:           8
        .value_kind:     global_buffer
      - .address_space:  global
        .offset:         48
        .size:           8
        .value_kind:     global_buffer
      - .actual_access:  read_only
        .address_space:  global
        .offset:         56
        .size:           8
        .value_kind:     global_buffer
      - .address_space:  global
        .offset:         64
        .size:           8
        .value_kind:     global_buffer
      - .offset:         72
        .size:           4
        .value_kind:     by_value
    .group_segment_fixed_size: 5120
    .kernarg_segment_align: 8
    .kernarg_segment_size: 76
    .language:       OpenCL C
    .language_version:
      - 2
      - 0
    .max_flat_workgroup_size: 64
    .name:           _ZN9rocsparseL18bsric0_9_16_kernelILi64ELi64ELi16EfEEv20rocsparse_direction_iiPKiS3_PT2_S3_PiS3_S6_21rocsparse_index_base_
    .private_segment_fixed_size: 0
    .sgpr_count:     46
    .sgpr_spill_count: 0
    .symbol:         _ZN9rocsparseL18bsric0_9_16_kernelILi64ELi64ELi16EfEEv20rocsparse_direction_iiPKiS3_PT2_S3_PiS3_S6_21rocsparse_index_base_.kd
    .uniform_work_group_size: 1
    .uses_dynamic_stack: false
    .vgpr_count:     27
    .vgpr_spill_count: 0
    .wavefront_size: 32
    .workgroup_processor_mode: 1
  - .args:
      - .offset:         0
        .size:           4
        .value_kind:     by_value
      - .offset:         4
        .size:           4
        .value_kind:     by_value
      - .offset:         8
        .size:           4
        .value_kind:     by_value
      - .actual_access:  read_only
        .address_space:  global
        .offset:         16
        .size:           8
        .value_kind:     global_buffer
      - .actual_access:  read_only
        .address_space:  global
        .offset:         24
        .size:           8
        .value_kind:     global_buffer
      - .address_space:  global
        .offset:         32
        .size:           8
        .value_kind:     global_buffer
      - .actual_access:  read_only
        .address_space:  global
        .offset:         40
        .size:           8
        .value_kind:     global_buffer
      - .address_space:  global
        .offset:         48
        .size:           8
        .value_kind:     global_buffer
      - .actual_access:  read_only
        .address_space:  global
        .offset:         56
        .size:           8
        .value_kind:     global_buffer
      - .address_space:  global
        .offset:         64
        .size:           8
        .value_kind:     global_buffer
      - .offset:         72
        .size:           4
        .value_kind:     by_value
    .group_segment_fixed_size: 13440
    .kernarg_segment_align: 8
    .kernarg_segment_size: 76
    .language:       OpenCL C
    .language_version:
      - 2
      - 0
    .max_flat_workgroup_size: 64
    .name:           _ZN9rocsparseL19bsric0_17_32_kernelILi64ELi64ELi32EfEEv20rocsparse_direction_iiPKiS3_PT2_S3_PiS3_S6_21rocsparse_index_base_
    .private_segment_fixed_size: 0
    .sgpr_count:     47
    .sgpr_spill_count: 0
    .symbol:         _ZN9rocsparseL19bsric0_17_32_kernelILi64ELi64ELi32EfEEv20rocsparse_direction_iiPKiS3_PT2_S3_PiS3_S6_21rocsparse_index_base_.kd
    .uniform_work_group_size: 1
    .uses_dynamic_stack: false
    .vgpr_count:     25
    .vgpr_spill_count: 0
    .wavefront_size: 32
    .workgroup_processor_mode: 1
  - .args:
      - .offset:         0
        .size:           4
        .value_kind:     by_value
      - .offset:         4
        .size:           4
        .value_kind:     by_value
      - .offset:         8
        .size:           4
        .value_kind:     by_value
      - .actual_access:  read_only
        .address_space:  global
        .offset:         16
        .size:           8
        .value_kind:     global_buffer
      - .actual_access:  read_only
        .address_space:  global
        .offset:         24
        .size:           8
        .value_kind:     global_buffer
      - .address_space:  global
        .offset:         32
        .size:           8
        .value_kind:     global_buffer
      - .actual_access:  read_only
        .address_space:  global
        .offset:         40
        .size:           8
        .value_kind:     global_buffer
      - .address_space:  global
        .offset:         48
        .size:           8
        .value_kind:     global_buffer
      - .actual_access:  read_only
        .address_space:  global
        .offset:         56
        .size:           8
        .value_kind:     global_buffer
      - .address_space:  global
        .offset:         64
        .size:           8
        .value_kind:     global_buffer
      - .offset:         72
        .size:           4
        .value_kind:     by_value
    .group_segment_fixed_size: 2688
    .kernarg_segment_align: 8
    .kernarg_segment_size: 76
    .language:       OpenCL C
    .language_version:
      - 2
      - 0
    .max_flat_workgroup_size: 64
    .name:           _ZN9rocsparseL17bsric0_2_8_kernelILi64ELi128ELi8EfEEv20rocsparse_direction_iiPKiS3_PT2_S3_PiS3_S6_21rocsparse_index_base_
    .private_segment_fixed_size: 0
    .sgpr_count:     48
    .sgpr_spill_count: 0
    .symbol:         _ZN9rocsparseL17bsric0_2_8_kernelILi64ELi128ELi8EfEEv20rocsparse_direction_iiPKiS3_PT2_S3_PiS3_S6_21rocsparse_index_base_.kd
    .uniform_work_group_size: 1
    .uses_dynamic_stack: false
    .vgpr_count:     25
    .vgpr_spill_count: 0
    .wavefront_size: 32
    .workgroup_processor_mode: 1
  - .args:
      - .offset:         0
        .size:           4
        .value_kind:     by_value
      - .offset:         4
        .size:           4
        .value_kind:     by_value
      - .offset:         8
        .size:           4
        .value_kind:     by_value
      - .actual_access:  read_only
        .address_space:  global
        .offset:         16
        .size:           8
        .value_kind:     global_buffer
      - .actual_access:  read_only
        .address_space:  global
        .offset:         24
        .size:           8
        .value_kind:     global_buffer
      - .address_space:  global
        .offset:         32
        .size:           8
        .value_kind:     global_buffer
      - .actual_access:  read_only
        .address_space:  global
        .offset:         40
        .size:           8
        .value_kind:     global_buffer
      - .address_space:  global
        .offset:         48
        .size:           8
        .value_kind:     global_buffer
      - .actual_access:  read_only
        .address_space:  global
        .offset:         56
        .size:           8
        .value_kind:     global_buffer
      - .address_space:  global
        .offset:         64
        .size:           8
        .value_kind:     global_buffer
      - .offset:         72
        .size:           4
        .value_kind:     by_value
    .group_segment_fixed_size: 5888
    .kernarg_segment_align: 8
    .kernarg_segment_size: 76
    .language:       OpenCL C
    .language_version:
      - 2
      - 0
    .max_flat_workgroup_size: 64
    .name:           _ZN9rocsparseL18bsric0_9_16_kernelILi64ELi128ELi16EfEEv20rocsparse_direction_iiPKiS3_PT2_S3_PiS3_S6_21rocsparse_index_base_
    .private_segment_fixed_size: 0
    .sgpr_count:     46
    .sgpr_spill_count: 0
    .symbol:         _ZN9rocsparseL18bsric0_9_16_kernelILi64ELi128ELi16EfEEv20rocsparse_direction_iiPKiS3_PT2_S3_PiS3_S6_21rocsparse_index_base_.kd
    .uniform_work_group_size: 1
    .uses_dynamic_stack: false
    .vgpr_count:     27
    .vgpr_spill_count: 0
    .wavefront_size: 32
    .workgroup_processor_mode: 1
  - .args:
      - .offset:         0
        .size:           4
        .value_kind:     by_value
      - .offset:         4
        .size:           4
        .value_kind:     by_value
      - .offset:         8
        .size:           4
        .value_kind:     by_value
      - .actual_access:  read_only
        .address_space:  global
        .offset:         16
        .size:           8
        .value_kind:     global_buffer
      - .actual_access:  read_only
        .address_space:  global
        .offset:         24
        .size:           8
        .value_kind:     global_buffer
      - .address_space:  global
        .offset:         32
        .size:           8
        .value_kind:     global_buffer
      - .actual_access:  read_only
        .address_space:  global
        .offset:         40
        .size:           8
        .value_kind:     global_buffer
      - .address_space:  global
        .offset:         48
        .size:           8
        .value_kind:     global_buffer
      - .actual_access:  read_only
        .address_space:  global
        .offset:         56
        .size:           8
        .value_kind:     global_buffer
      - .address_space:  global
        .offset:         64
        .size:           8
        .value_kind:     global_buffer
      - .offset:         72
        .size:           4
        .value_kind:     by_value
    .group_segment_fixed_size: 14208
    .kernarg_segment_align: 8
    .kernarg_segment_size: 76
    .language:       OpenCL C
    .language_version:
      - 2
      - 0
    .max_flat_workgroup_size: 64
    .name:           _ZN9rocsparseL19bsric0_17_32_kernelILi64ELi128ELi32EfEEv20rocsparse_direction_iiPKiS3_PT2_S3_PiS3_S6_21rocsparse_index_base_
    .private_segment_fixed_size: 0
    .sgpr_count:     47
    .sgpr_spill_count: 0
    .symbol:         _ZN9rocsparseL19bsric0_17_32_kernelILi64ELi128ELi32EfEEv20rocsparse_direction_iiPKiS3_PT2_S3_PiS3_S6_21rocsparse_index_base_.kd
    .uniform_work_group_size: 1
    .uses_dynamic_stack: false
    .vgpr_count:     25
    .vgpr_spill_count: 0
    .wavefront_size: 32
    .workgroup_processor_mode: 1
  - .args:
      - .offset:         0
        .size:           4
        .value_kind:     by_value
      - .offset:         4
        .size:           4
        .value_kind:     by_value
      - .offset:         8
        .size:           4
        .value_kind:     by_value
      - .actual_access:  read_only
        .address_space:  global
        .offset:         16
        .size:           8
        .value_kind:     global_buffer
      - .actual_access:  read_only
        .address_space:  global
        .offset:         24
        .size:           8
        .value_kind:     global_buffer
      - .address_space:  global
        .offset:         32
        .size:           8
        .value_kind:     global_buffer
      - .actual_access:  read_only
        .address_space:  global
        .offset:         40
        .size:           8
        .value_kind:     global_buffer
      - .address_space:  global
        .offset:         48
        .size:           8
        .value_kind:     global_buffer
      - .actual_access:  read_only
        .address_space:  global
        .offset:         56
        .size:           8
        .value_kind:     global_buffer
      - .address_space:  global
        .offset:         64
        .size:           8
        .value_kind:     global_buffer
      - .offset:         72
        .size:           4
        .value_kind:     by_value
    .group_segment_fixed_size: 0
    .kernarg_segment_align: 8
    .kernarg_segment_size: 76
    .language:       OpenCL C
    .language_version:
      - 2
      - 0
    .max_flat_workgroup_size: 32
    .name:           _ZN9rocsparseL23bsric0_binsearch_kernelILj32ELj32ELb0EdEEv20rocsparse_direction_iiPKiS3_PT2_S3_PiS3_S6_21rocsparse_index_base_
    .private_segment_fixed_size: 0
    .sgpr_count:     42
    .sgpr_spill_count: 0
    .symbol:         _ZN9rocsparseL23bsric0_binsearch_kernelILj32ELj32ELb0EdEEv20rocsparse_direction_iiPKiS3_PT2_S3_PiS3_S6_21rocsparse_index_base_.kd
    .uniform_work_group_size: 1
    .uses_dynamic_stack: false
    .vgpr_count:     45
    .vgpr_spill_count: 0
    .wavefront_size: 32
    .workgroup_processor_mode: 1
  - .args:
      - .offset:         0
        .size:           4
        .value_kind:     by_value
      - .offset:         4
        .size:           4
        .value_kind:     by_value
      - .offset:         8
        .size:           4
        .value_kind:     by_value
      - .actual_access:  read_only
        .address_space:  global
        .offset:         16
        .size:           8
        .value_kind:     global_buffer
      - .actual_access:  read_only
        .address_space:  global
        .offset:         24
        .size:           8
        .value_kind:     global_buffer
      - .address_space:  global
        .offset:         32
        .size:           8
        .value_kind:     global_buffer
      - .actual_access:  read_only
        .address_space:  global
        .offset:         40
        .size:           8
        .value_kind:     global_buffer
      - .address_space:  global
        .offset:         48
        .size:           8
        .value_kind:     global_buffer
      - .actual_access:  read_only
        .address_space:  global
        .offset:         56
        .size:           8
        .value_kind:     global_buffer
      - .address_space:  global
        .offset:         64
        .size:           8
        .value_kind:     global_buffer
      - .offset:         72
        .size:           4
        .value_kind:     by_value
    .group_segment_fixed_size: 0
    .kernarg_segment_align: 8
    .kernarg_segment_size: 76
    .language:       OpenCL C
    .language_version:
      - 2
      - 0
    .max_flat_workgroup_size: 64
    .name:           _ZN9rocsparseL23bsric0_binsearch_kernelILj64ELj64ELb1EdEEv20rocsparse_direction_iiPKiS3_PT2_S3_PiS3_S6_21rocsparse_index_base_
    .private_segment_fixed_size: 0
    .sgpr_count:     42
    .sgpr_spill_count: 0
    .symbol:         _ZN9rocsparseL23bsric0_binsearch_kernelILj64ELj64ELb1EdEEv20rocsparse_direction_iiPKiS3_PT2_S3_PiS3_S6_21rocsparse_index_base_.kd
    .uniform_work_group_size: 1
    .uses_dynamic_stack: false
    .vgpr_count:     45
    .vgpr_spill_count: 0
    .wavefront_size: 32
    .workgroup_processor_mode: 1
  - .args:
      - .offset:         0
        .size:           4
        .value_kind:     by_value
      - .offset:         4
        .size:           4
        .value_kind:     by_value
      - .offset:         8
        .size:           4
        .value_kind:     by_value
      - .actual_access:  read_only
        .address_space:  global
        .offset:         16
        .size:           8
        .value_kind:     global_buffer
      - .actual_access:  read_only
        .address_space:  global
        .offset:         24
        .size:           8
        .value_kind:     global_buffer
      - .address_space:  global
        .offset:         32
        .size:           8
        .value_kind:     global_buffer
      - .actual_access:  read_only
        .address_space:  global
        .offset:         40
        .size:           8
        .value_kind:     global_buffer
      - .address_space:  global
        .offset:         48
        .size:           8
        .value_kind:     global_buffer
      - .actual_access:  read_only
        .address_space:  global
        .offset:         56
        .size:           8
        .value_kind:     global_buffer
      - .address_space:  global
        .offset:         64
        .size:           8
        .value_kind:     global_buffer
      - .offset:         72
        .size:           4
        .value_kind:     by_value
    .group_segment_fixed_size: 448
    .kernarg_segment_align: 8
    .kernarg_segment_size: 76
    .language:       OpenCL C
    .language_version:
      - 2
      - 0
    .max_flat_workgroup_size: 1
    .name:           _ZN9rocsparseL26bsric0_2_8_unrolled_kernelILi1ELi32ELi1EdEEv20rocsparse_direction_iiPKiS3_PT2_S3_PiS3_S6_21rocsparse_index_base_
    .private_segment_fixed_size: 0
    .sgpr_count:     40
    .sgpr_spill_count: 0
    .symbol:         _ZN9rocsparseL26bsric0_2_8_unrolled_kernelILi1ELi32ELi1EdEEv20rocsparse_direction_iiPKiS3_PT2_S3_PiS3_S6_21rocsparse_index_base_.kd
    .uniform_work_group_size: 1
    .uses_dynamic_stack: false
    .vgpr_count:     41
    .vgpr_spill_count: 0
    .wavefront_size: 32
    .workgroup_processor_mode: 1
  - .args:
      - .offset:         0
        .size:           4
        .value_kind:     by_value
      - .offset:         4
        .size:           4
        .value_kind:     by_value
      - .offset:         8
        .size:           4
        .value_kind:     by_value
      - .actual_access:  read_only
        .address_space:  global
        .offset:         16
        .size:           8
        .value_kind:     global_buffer
      - .actual_access:  read_only
        .address_space:  global
        .offset:         24
        .size:           8
        .value_kind:     global_buffer
      - .address_space:  global
        .offset:         32
        .size:           8
        .value_kind:     global_buffer
      - .actual_access:  read_only
        .address_space:  global
        .offset:         40
        .size:           8
        .value_kind:     global_buffer
      - .address_space:  global
        .offset:         48
        .size:           8
        .value_kind:     global_buffer
      - .actual_access:  read_only
        .address_space:  global
        .offset:         56
        .size:           8
        .value_kind:     global_buffer
      - .address_space:  global
        .offset:         64
        .size:           8
        .value_kind:     global_buffer
      - .offset:         72
        .size:           4
        .value_kind:     by_value
    .group_segment_fixed_size: 576
    .kernarg_segment_align: 8
    .kernarg_segment_size: 76
    .language:       OpenCL C
    .language_version:
      - 2
      - 0
    .max_flat_workgroup_size: 4
    .name:           _ZN9rocsparseL26bsric0_2_8_unrolled_kernelILi4ELi32ELi2EdEEv20rocsparse_direction_iiPKiS3_PT2_S3_PiS3_S6_21rocsparse_index_base_
    .private_segment_fixed_size: 0
    .sgpr_count:     39
    .sgpr_spill_count: 0
    .symbol:         _ZN9rocsparseL26bsric0_2_8_unrolled_kernelILi4ELi32ELi2EdEEv20rocsparse_direction_iiPKiS3_PT2_S3_PiS3_S6_21rocsparse_index_base_.kd
    .uniform_work_group_size: 1
    .uses_dynamic_stack: false
    .vgpr_count:     35
    .vgpr_spill_count: 0
    .wavefront_size: 32
    .workgroup_processor_mode: 1
  - .args:
      - .offset:         0
        .size:           4
        .value_kind:     by_value
      - .offset:         4
        .size:           4
        .value_kind:     by_value
      - .offset:         8
        .size:           4
        .value_kind:     by_value
      - .actual_access:  read_only
        .address_space:  global
        .offset:         16
        .size:           8
        .value_kind:     global_buffer
      - .actual_access:  read_only
        .address_space:  global
        .offset:         24
        .size:           8
        .value_kind:     global_buffer
      - .address_space:  global
        .offset:         32
        .size:           8
        .value_kind:     global_buffer
      - .actual_access:  read_only
        .address_space:  global
        .offset:         40
        .size:           8
        .value_kind:     global_buffer
      - .address_space:  global
        .offset:         48
        .size:           8
        .value_kind:     global_buffer
      - .actual_access:  read_only
        .address_space:  global
        .offset:         56
        .size:           8
        .value_kind:     global_buffer
      - .address_space:  global
        .offset:         64
        .size:           8
        .value_kind:     global_buffer
      - .offset:         72
        .size:           4
        .value_kind:     by_value
    .group_segment_fixed_size: 768
    .kernarg_segment_align: 8
    .kernarg_segment_size: 76
    .language:       OpenCL C
    .language_version:
      - 2
      - 0
    .max_flat_workgroup_size: 9
    .name:           _ZN9rocsparseL26bsric0_2_8_unrolled_kernelILi9ELi32ELi3EdEEv20rocsparse_direction_iiPKiS3_PT2_S3_PiS3_S6_21rocsparse_index_base_
    .private_segment_fixed_size: 0
    .sgpr_count:     39
    .sgpr_spill_count: 0
    .symbol:         _ZN9rocsparseL26bsric0_2_8_unrolled_kernelILi9ELi32ELi3EdEEv20rocsparse_direction_iiPKiS3_PT2_S3_PiS3_S6_21rocsparse_index_base_.kd
    .uniform_work_group_size: 1
    .uses_dynamic_stack: false
    .vgpr_count:     38
    .vgpr_spill_count: 0
    .wavefront_size: 32
    .workgroup_processor_mode: 1
  - .args:
      - .offset:         0
        .size:           4
        .value_kind:     by_value
      - .offset:         4
        .size:           4
        .value_kind:     by_value
      - .offset:         8
        .size:           4
        .value_kind:     by_value
      - .actual_access:  read_only
        .address_space:  global
        .offset:         16
        .size:           8
        .value_kind:     global_buffer
      - .actual_access:  read_only
        .address_space:  global
        .offset:         24
        .size:           8
        .value_kind:     global_buffer
      - .address_space:  global
        .offset:         32
        .size:           8
        .value_kind:     global_buffer
      - .actual_access:  read_only
        .address_space:  global
        .offset:         40
        .size:           8
        .value_kind:     global_buffer
      - .address_space:  global
        .offset:         48
        .size:           8
        .value_kind:     global_buffer
      - .actual_access:  read_only
        .address_space:  global
        .offset:         56
        .size:           8
        .value_kind:     global_buffer
      - .address_space:  global
        .offset:         64
        .size:           8
        .value_kind:     global_buffer
      - .offset:         72
        .size:           4
        .value_kind:     by_value
    .group_segment_fixed_size: 1024
    .kernarg_segment_align: 8
    .kernarg_segment_size: 76
    .language:       OpenCL C
    .language_version:
      - 2
      - 0
    .max_flat_workgroup_size: 16
    .name:           _ZN9rocsparseL26bsric0_2_8_unrolled_kernelILi16ELi32ELi4EdEEv20rocsparse_direction_iiPKiS3_PT2_S3_PiS3_S6_21rocsparse_index_base_
    .private_segment_fixed_size: 0
    .sgpr_count:     39
    .sgpr_spill_count: 0
    .symbol:         _ZN9rocsparseL26bsric0_2_8_unrolled_kernelILi16ELi32ELi4EdEEv20rocsparse_direction_iiPKiS3_PT2_S3_PiS3_S6_21rocsparse_index_base_.kd
    .uniform_work_group_size: 1
    .uses_dynamic_stack: false
    .vgpr_count:     39
    .vgpr_spill_count: 0
    .wavefront_size: 32
    .workgroup_processor_mode: 1
  - .args:
      - .offset:         0
        .size:           4
        .value_kind:     by_value
      - .offset:         4
        .size:           4
        .value_kind:     by_value
      - .offset:         8
        .size:           4
        .value_kind:     by_value
      - .actual_access:  read_only
        .address_space:  global
        .offset:         16
        .size:           8
        .value_kind:     global_buffer
      - .actual_access:  read_only
        .address_space:  global
        .offset:         24
        .size:           8
        .value_kind:     global_buffer
      - .address_space:  global
        .offset:         32
        .size:           8
        .value_kind:     global_buffer
      - .actual_access:  read_only
        .address_space:  global
        .offset:         40
        .size:           8
        .value_kind:     global_buffer
      - .address_space:  global
        .offset:         48
        .size:           8
        .value_kind:     global_buffer
      - .actual_access:  read_only
        .address_space:  global
        .offset:         56
        .size:           8
        .value_kind:     global_buffer
      - .address_space:  global
        .offset:         64
        .size:           8
        .value_kind:     global_buffer
      - .offset:         72
        .size:           4
        .value_kind:     by_value
    .group_segment_fixed_size: 1344
    .kernarg_segment_align: 8
    .kernarg_segment_size: 76
    .language:       OpenCL C
    .language_version:
      - 2
      - 0
    .max_flat_workgroup_size: 25
    .name:           _ZN9rocsparseL26bsric0_2_8_unrolled_kernelILi25ELi32ELi5EdEEv20rocsparse_direction_iiPKiS3_PT2_S3_PiS3_S6_21rocsparse_index_base_
    .private_segment_fixed_size: 0
    .sgpr_count:     39
    .sgpr_spill_count: 0
    .symbol:         _ZN9rocsparseL26bsric0_2_8_unrolled_kernelILi25ELi32ELi5EdEEv20rocsparse_direction_iiPKiS3_PT2_S3_PiS3_S6_21rocsparse_index_base_.kd
    .uniform_work_group_size: 1
    .uses_dynamic_stack: false
    .vgpr_count:     42
    .vgpr_spill_count: 0
    .wavefront_size: 32
    .workgroup_processor_mode: 1
  - .args:
      - .offset:         0
        .size:           4
        .value_kind:     by_value
      - .offset:         4
        .size:           4
        .value_kind:     by_value
      - .offset:         8
        .size:           4
        .value_kind:     by_value
      - .actual_access:  read_only
        .address_space:  global
        .offset:         16
        .size:           8
        .value_kind:     global_buffer
      - .actual_access:  read_only
        .address_space:  global
        .offset:         24
        .size:           8
        .value_kind:     global_buffer
      - .address_space:  global
        .offset:         32
        .size:           8
        .value_kind:     global_buffer
      - .actual_access:  read_only
        .address_space:  global
        .offset:         40
        .size:           8
        .value_kind:     global_buffer
      - .address_space:  global
        .offset:         48
        .size:           8
        .value_kind:     global_buffer
      - .actual_access:  read_only
        .address_space:  global
        .offset:         56
        .size:           8
        .value_kind:     global_buffer
      - .address_space:  global
        .offset:         64
        .size:           8
        .value_kind:     global_buffer
      - .offset:         72
        .size:           4
        .value_kind:     by_value
    .group_segment_fixed_size: 1728
    .kernarg_segment_align: 8
    .kernarg_segment_size: 76
    .language:       OpenCL C
    .language_version:
      - 2
      - 0
    .max_flat_workgroup_size: 36
    .name:           _ZN9rocsparseL26bsric0_2_8_unrolled_kernelILi36ELi32ELi6EdEEv20rocsparse_direction_iiPKiS3_PT2_S3_PiS3_S6_21rocsparse_index_base_
    .private_segment_fixed_size: 0
    .sgpr_count:     39
    .sgpr_spill_count: 0
    .symbol:         _ZN9rocsparseL26bsric0_2_8_unrolled_kernelILi36ELi32ELi6EdEEv20rocsparse_direction_iiPKiS3_PT2_S3_PiS3_S6_21rocsparse_index_base_.kd
    .uniform_work_group_size: 1
    .uses_dynamic_stack: false
    .vgpr_count:     46
    .vgpr_spill_count: 0
    .wavefront_size: 32
    .workgroup_processor_mode: 1
  - .args:
      - .offset:         0
        .size:           4
        .value_kind:     by_value
      - .offset:         4
        .size:           4
        .value_kind:     by_value
      - .offset:         8
        .size:           4
        .value_kind:     by_value
      - .actual_access:  read_only
        .address_space:  global
        .offset:         16
        .size:           8
        .value_kind:     global_buffer
      - .actual_access:  read_only
        .address_space:  global
        .offset:         24
        .size:           8
        .value_kind:     global_buffer
      - .address_space:  global
        .offset:         32
        .size:           8
        .value_kind:     global_buffer
      - .actual_access:  read_only
        .address_space:  global
        .offset:         40
        .size:           8
        .value_kind:     global_buffer
      - .address_space:  global
        .offset:         48
        .size:           8
        .value_kind:     global_buffer
      - .actual_access:  read_only
        .address_space:  global
        .offset:         56
        .size:           8
        .value_kind:     global_buffer
      - .address_space:  global
        .offset:         64
        .size:           8
        .value_kind:     global_buffer
      - .offset:         72
        .size:           4
        .value_kind:     by_value
    .group_segment_fixed_size: 2176
    .kernarg_segment_align: 8
    .kernarg_segment_size: 76
    .language:       OpenCL C
    .language_version:
      - 2
      - 0
    .max_flat_workgroup_size: 49
    .name:           _ZN9rocsparseL26bsric0_2_8_unrolled_kernelILi49ELi32ELi7EdEEv20rocsparse_direction_iiPKiS3_PT2_S3_PiS3_S6_21rocsparse_index_base_
    .private_segment_fixed_size: 0
    .sgpr_count:     39
    .sgpr_spill_count: 0
    .symbol:         _ZN9rocsparseL26bsric0_2_8_unrolled_kernelILi49ELi32ELi7EdEEv20rocsparse_direction_iiPKiS3_PT2_S3_PiS3_S6_21rocsparse_index_base_.kd
    .uniform_work_group_size: 1
    .uses_dynamic_stack: false
    .vgpr_count:     51
    .vgpr_spill_count: 0
    .wavefront_size: 32
    .workgroup_processor_mode: 1
  - .args:
      - .offset:         0
        .size:           4
        .value_kind:     by_value
      - .offset:         4
        .size:           4
        .value_kind:     by_value
      - .offset:         8
        .size:           4
        .value_kind:     by_value
      - .actual_access:  read_only
        .address_space:  global
        .offset:         16
        .size:           8
        .value_kind:     global_buffer
      - .actual_access:  read_only
        .address_space:  global
        .offset:         24
        .size:           8
        .value_kind:     global_buffer
      - .address_space:  global
        .offset:         32
        .size:           8
        .value_kind:     global_buffer
      - .actual_access:  read_only
        .address_space:  global
        .offset:         40
        .size:           8
        .value_kind:     global_buffer
      - .address_space:  global
        .offset:         48
        .size:           8
        .value_kind:     global_buffer
      - .actual_access:  read_only
        .address_space:  global
        .offset:         56
        .size:           8
        .value_kind:     global_buffer
      - .address_space:  global
        .offset:         64
        .size:           8
        .value_kind:     global_buffer
      - .offset:         72
        .size:           4
        .value_kind:     by_value
    .group_segment_fixed_size: 2688
    .kernarg_segment_align: 8
    .kernarg_segment_size: 76
    .language:       OpenCL C
    .language_version:
      - 2
      - 0
    .max_flat_workgroup_size: 64
    .name:           _ZN9rocsparseL26bsric0_2_8_unrolled_kernelILi64ELi32ELi8EdEEv20rocsparse_direction_iiPKiS3_PT2_S3_PiS3_S6_21rocsparse_index_base_
    .private_segment_fixed_size: 0
    .sgpr_count:     39
    .sgpr_spill_count: 0
    .symbol:         _ZN9rocsparseL26bsric0_2_8_unrolled_kernelILi64ELi32ELi8EdEEv20rocsparse_direction_iiPKiS3_PT2_S3_PiS3_S6_21rocsparse_index_base_.kd
    .uniform_work_group_size: 1
    .uses_dynamic_stack: false
    .vgpr_count:     55
    .vgpr_spill_count: 0
    .wavefront_size: 32
    .workgroup_processor_mode: 1
  - .args:
      - .offset:         0
        .size:           4
        .value_kind:     by_value
      - .offset:         4
        .size:           4
        .value_kind:     by_value
      - .offset:         8
        .size:           4
        .value_kind:     by_value
      - .actual_access:  read_only
        .address_space:  global
        .offset:         16
        .size:           8
        .value_kind:     global_buffer
      - .actual_access:  read_only
        .address_space:  global
        .offset:         24
        .size:           8
        .value_kind:     global_buffer
      - .address_space:  global
        .offset:         32
        .size:           8
        .value_kind:     global_buffer
      - .actual_access:  read_only
        .address_space:  global
        .offset:         40
        .size:           8
        .value_kind:     global_buffer
      - .address_space:  global
        .offset:         48
        .size:           8
        .value_kind:     global_buffer
      - .actual_access:  read_only
        .address_space:  global
        .offset:         56
        .size:           8
        .value_kind:     global_buffer
      - .address_space:  global
        .offset:         64
        .size:           8
        .value_kind:     global_buffer
      - .offset:         72
        .size:           4
        .value_kind:     by_value
    .group_segment_fixed_size: 9088
    .kernarg_segment_align: 8
    .kernarg_segment_size: 76
    .language:       OpenCL C
    .language_version:
      - 2
      - 0
    .max_flat_workgroup_size: 64
    .name:           _ZN9rocsparseL18bsric0_9_16_kernelILi64ELi32ELi16EdEEv20rocsparse_direction_iiPKiS3_PT2_S3_PiS3_S6_21rocsparse_index_base_
    .private_segment_fixed_size: 0
    .sgpr_count:     46
    .sgpr_spill_count: 0
    .symbol:         _ZN9rocsparseL18bsric0_9_16_kernelILi64ELi32ELi16EdEEv20rocsparse_direction_iiPKiS3_PT2_S3_PiS3_S6_21rocsparse_index_base_.kd
    .uniform_work_group_size: 1
    .uses_dynamic_stack: false
    .vgpr_count:     29
    .vgpr_spill_count: 0
    .wavefront_size: 32
    .workgroup_processor_mode: 1
  - .args:
      - .offset:         0
        .size:           4
        .value_kind:     by_value
      - .offset:         4
        .size:           4
        .value_kind:     by_value
      - .offset:         8
        .size:           4
        .value_kind:     by_value
      - .actual_access:  read_only
        .address_space:  global
        .offset:         16
        .size:           8
        .value_kind:     global_buffer
      - .actual_access:  read_only
        .address_space:  global
        .offset:         24
        .size:           8
        .value_kind:     global_buffer
      - .address_space:  global
        .offset:         32
        .size:           8
        .value_kind:     global_buffer
      - .actual_access:  read_only
        .address_space:  global
        .offset:         40
        .size:           8
        .value_kind:     global_buffer
      - .address_space:  global
        .offset:         48
        .size:           8
        .value_kind:     global_buffer
      - .actual_access:  read_only
        .address_space:  global
        .offset:         56
        .size:           8
        .value_kind:     global_buffer
      - .address_space:  global
        .offset:         64
        .size:           8
        .value_kind:     global_buffer
      - .offset:         72
        .size:           4
        .value_kind:     by_value
    .group_segment_fixed_size: 25728
    .kernarg_segment_align: 8
    .kernarg_segment_size: 76
    .language:       OpenCL C
    .language_version:
      - 2
      - 0
    .max_flat_workgroup_size: 64
    .name:           _ZN9rocsparseL19bsric0_17_32_kernelILi64ELi32ELi32EdEEv20rocsparse_direction_iiPKiS3_PT2_S3_PiS3_S6_21rocsparse_index_base_
    .private_segment_fixed_size: 0
    .sgpr_count:     47
    .sgpr_spill_count: 0
    .symbol:         _ZN9rocsparseL19bsric0_17_32_kernelILi64ELi32ELi32EdEEv20rocsparse_direction_iiPKiS3_PT2_S3_PiS3_S6_21rocsparse_index_base_.kd
    .uniform_work_group_size: 1
    .uses_dynamic_stack: false
    .vgpr_count:     29
    .vgpr_spill_count: 0
    .wavefront_size: 32
    .workgroup_processor_mode: 1
  - .args:
      - .offset:         0
        .size:           4
        .value_kind:     by_value
      - .offset:         4
        .size:           4
        .value_kind:     by_value
      - .offset:         8
        .size:           4
        .value_kind:     by_value
      - .actual_access:  read_only
        .address_space:  global
        .offset:         16
        .size:           8
        .value_kind:     global_buffer
      - .actual_access:  read_only
        .address_space:  global
        .offset:         24
        .size:           8
        .value_kind:     global_buffer
      - .address_space:  global
        .offset:         32
        .size:           8
        .value_kind:     global_buffer
      - .actual_access:  read_only
        .address_space:  global
        .offset:         40
        .size:           8
        .value_kind:     global_buffer
      - .address_space:  global
        .offset:         48
        .size:           8
        .value_kind:     global_buffer
      - .actual_access:  read_only
        .address_space:  global
        .offset:         56
        .size:           8
        .value_kind:     global_buffer
      - .address_space:  global
        .offset:         64
        .size:           8
        .value_kind:     global_buffer
      - .offset:         72
        .size:           4
        .value_kind:     by_value
    .group_segment_fixed_size: 0
    .kernarg_segment_align: 8
    .kernarg_segment_size: 76
    .language:       OpenCL C
    .language_version:
      - 2
      - 0
    .max_flat_workgroup_size: 64
    .name:           _ZN9rocsparseL23bsric0_binsearch_kernelILj64ELj64ELb0EdEEv20rocsparse_direction_iiPKiS3_PT2_S3_PiS3_S6_21rocsparse_index_base_
    .private_segment_fixed_size: 0
    .sgpr_count:     42
    .sgpr_spill_count: 0
    .symbol:         _ZN9rocsparseL23bsric0_binsearch_kernelILj64ELj64ELb0EdEEv20rocsparse_direction_iiPKiS3_PT2_S3_PiS3_S6_21rocsparse_index_base_.kd
    .uniform_work_group_size: 1
    .uses_dynamic_stack: false
    .vgpr_count:     45
    .vgpr_spill_count: 0
    .wavefront_size: 32
    .workgroup_processor_mode: 1
  - .args:
      - .offset:         0
        .size:           4
        .value_kind:     by_value
      - .offset:         4
        .size:           4
        .value_kind:     by_value
      - .offset:         8
        .size:           4
        .value_kind:     by_value
      - .actual_access:  read_only
        .address_space:  global
        .offset:         16
        .size:           8
        .value_kind:     global_buffer
      - .actual_access:  read_only
        .address_space:  global
        .offset:         24
        .size:           8
        .value_kind:     global_buffer
      - .address_space:  global
        .offset:         32
        .size:           8
        .value_kind:     global_buffer
      - .actual_access:  read_only
        .address_space:  global
        .offset:         40
        .size:           8
        .value_kind:     global_buffer
      - .address_space:  global
        .offset:         48
        .size:           8
        .value_kind:     global_buffer
      - .actual_access:  read_only
        .address_space:  global
        .offset:         56
        .size:           8
        .value_kind:     global_buffer
      - .address_space:  global
        .offset:         64
        .size:           8
        .value_kind:     global_buffer
      - .offset:         72
        .size:           4
        .value_kind:     by_value
    .group_segment_fixed_size: 3072
    .kernarg_segment_align: 8
    .kernarg_segment_size: 76
    .language:       OpenCL C
    .language_version:
      - 2
      - 0
    .max_flat_workgroup_size: 64
    .name:           _ZN9rocsparseL17bsric0_2_8_kernelILi64ELi64ELi8EdEEv20rocsparse_direction_iiPKiS3_PT2_S3_PiS3_S6_21rocsparse_index_base_
    .private_segment_fixed_size: 0
    .sgpr_count:     48
    .sgpr_spill_count: 0
    .symbol:         _ZN9rocsparseL17bsric0_2_8_kernelILi64ELi64ELi8EdEEv20rocsparse_direction_iiPKiS3_PT2_S3_PiS3_S6_21rocsparse_index_base_.kd
    .uniform_work_group_size: 1
    .uses_dynamic_stack: false
    .vgpr_count:     27
    .vgpr_spill_count: 0
    .wavefront_size: 32
    .workgroup_processor_mode: 1
  - .args:
      - .offset:         0
        .size:           4
        .value_kind:     by_value
      - .offset:         4
        .size:           4
        .value_kind:     by_value
      - .offset:         8
        .size:           4
        .value_kind:     by_value
      - .actual_access:  read_only
        .address_space:  global
        .offset:         16
        .size:           8
        .value_kind:     global_buffer
      - .actual_access:  read_only
        .address_space:  global
        .offset:         24
        .size:           8
        .value_kind:     global_buffer
      - .address_space:  global
        .offset:         32
        .size:           8
        .value_kind:     global_buffer
      - .actual_access:  read_only
        .address_space:  global
        .offset:         40
        .size:           8
        .value_kind:     global_buffer
      - .address_space:  global
        .offset:         48
        .size:           8
        .value_kind:     global_buffer
      - .actual_access:  read_only
        .address_space:  global
        .offset:         56
        .size:           8
        .value_kind:     global_buffer
      - .address_space:  global
        .offset:         64
        .size:           8
        .value_kind:     global_buffer
      - .offset:         72
        .size:           4
        .value_kind:     by_value
    .group_segment_fixed_size: 9472
    .kernarg_segment_align: 8
    .kernarg_segment_size: 76
    .language:       OpenCL C
    .language_version:
      - 2
      - 0
    .max_flat_workgroup_size: 64
    .name:           _ZN9rocsparseL18bsric0_9_16_kernelILi64ELi64ELi16EdEEv20rocsparse_direction_iiPKiS3_PT2_S3_PiS3_S6_21rocsparse_index_base_
    .private_segment_fixed_size: 0
    .sgpr_count:     46
    .sgpr_spill_count: 0
    .symbol:         _ZN9rocsparseL18bsric0_9_16_kernelILi64ELi64ELi16EdEEv20rocsparse_direction_iiPKiS3_PT2_S3_PiS3_S6_21rocsparse_index_base_.kd
    .uniform_work_group_size: 1
    .uses_dynamic_stack: false
    .vgpr_count:     29
    .vgpr_spill_count: 0
    .wavefront_size: 32
    .workgroup_processor_mode: 1
  - .args:
      - .offset:         0
        .size:           4
        .value_kind:     by_value
      - .offset:         4
        .size:           4
        .value_kind:     by_value
      - .offset:         8
        .size:           4
        .value_kind:     by_value
      - .actual_access:  read_only
        .address_space:  global
        .offset:         16
        .size:           8
        .value_kind:     global_buffer
      - .actual_access:  read_only
        .address_space:  global
        .offset:         24
        .size:           8
        .value_kind:     global_buffer
      - .address_space:  global
        .offset:         32
        .size:           8
        .value_kind:     global_buffer
      - .actual_access:  read_only
        .address_space:  global
        .offset:         40
        .size:           8
        .value_kind:     global_buffer
      - .address_space:  global
        .offset:         48
        .size:           8
        .value_kind:     global_buffer
      - .actual_access:  read_only
        .address_space:  global
        .offset:         56
        .size:           8
        .value_kind:     global_buffer
      - .address_space:  global
        .offset:         64
        .size:           8
        .value_kind:     global_buffer
      - .offset:         72
        .size:           4
        .value_kind:     by_value
    .group_segment_fixed_size: 26112
    .kernarg_segment_align: 8
    .kernarg_segment_size: 76
    .language:       OpenCL C
    .language_version:
      - 2
      - 0
    .max_flat_workgroup_size: 64
    .name:           _ZN9rocsparseL19bsric0_17_32_kernelILi64ELi64ELi32EdEEv20rocsparse_direction_iiPKiS3_PT2_S3_PiS3_S6_21rocsparse_index_base_
    .private_segment_fixed_size: 0
    .sgpr_count:     47
    .sgpr_spill_count: 0
    .symbol:         _ZN9rocsparseL19bsric0_17_32_kernelILi64ELi64ELi32EdEEv20rocsparse_direction_iiPKiS3_PT2_S3_PiS3_S6_21rocsparse_index_base_.kd
    .uniform_work_group_size: 1
    .uses_dynamic_stack: false
    .vgpr_count:     29
    .vgpr_spill_count: 0
    .wavefront_size: 32
    .workgroup_processor_mode: 1
  - .args:
      - .offset:         0
        .size:           4
        .value_kind:     by_value
      - .offset:         4
        .size:           4
        .value_kind:     by_value
      - .offset:         8
        .size:           4
        .value_kind:     by_value
      - .actual_access:  read_only
        .address_space:  global
        .offset:         16
        .size:           8
        .value_kind:     global_buffer
      - .actual_access:  read_only
        .address_space:  global
        .offset:         24
        .size:           8
        .value_kind:     global_buffer
      - .address_space:  global
        .offset:         32
        .size:           8
        .value_kind:     global_buffer
      - .actual_access:  read_only
        .address_space:  global
        .offset:         40
        .size:           8
        .value_kind:     global_buffer
      - .address_space:  global
        .offset:         48
        .size:           8
        .value_kind:     global_buffer
      - .actual_access:  read_only
        .address_space:  global
        .offset:         56
        .size:           8
        .value_kind:     global_buffer
      - .address_space:  global
        .offset:         64
        .size:           8
        .value_kind:     global_buffer
      - .offset:         72
        .size:           4
        .value_kind:     by_value
    .group_segment_fixed_size: 3840
    .kernarg_segment_align: 8
    .kernarg_segment_size: 76
    .language:       OpenCL C
    .language_version:
      - 2
      - 0
    .max_flat_workgroup_size: 64
    .name:           _ZN9rocsparseL17bsric0_2_8_kernelILi64ELi128ELi8EdEEv20rocsparse_direction_iiPKiS3_PT2_S3_PiS3_S6_21rocsparse_index_base_
    .private_segment_fixed_size: 0
    .sgpr_count:     48
    .sgpr_spill_count: 0
    .symbol:         _ZN9rocsparseL17bsric0_2_8_kernelILi64ELi128ELi8EdEEv20rocsparse_direction_iiPKiS3_PT2_S3_PiS3_S6_21rocsparse_index_base_.kd
    .uniform_work_group_size: 1
    .uses_dynamic_stack: false
    .vgpr_count:     27
    .vgpr_spill_count: 0
    .wavefront_size: 32
    .workgroup_processor_mode: 1
  - .args:
      - .offset:         0
        .size:           4
        .value_kind:     by_value
      - .offset:         4
        .size:           4
        .value_kind:     by_value
      - .offset:         8
        .size:           4
        .value_kind:     by_value
      - .actual_access:  read_only
        .address_space:  global
        .offset:         16
        .size:           8
        .value_kind:     global_buffer
      - .actual_access:  read_only
        .address_space:  global
        .offset:         24
        .size:           8
        .value_kind:     global_buffer
      - .address_space:  global
        .offset:         32
        .size:           8
        .value_kind:     global_buffer
      - .actual_access:  read_only
        .address_space:  global
        .offset:         40
        .size:           8
        .value_kind:     global_buffer
      - .address_space:  global
        .offset:         48
        .size:           8
        .value_kind:     global_buffer
      - .actual_access:  read_only
        .address_space:  global
        .offset:         56
        .size:           8
        .value_kind:     global_buffer
      - .address_space:  global
        .offset:         64
        .size:           8
        .value_kind:     global_buffer
      - .offset:         72
        .size:           4
        .value_kind:     by_value
    .group_segment_fixed_size: 10240
    .kernarg_segment_align: 8
    .kernarg_segment_size: 76
    .language:       OpenCL C
    .language_version:
      - 2
      - 0
    .max_flat_workgroup_size: 64
    .name:           _ZN9rocsparseL18bsric0_9_16_kernelILi64ELi128ELi16EdEEv20rocsparse_direction_iiPKiS3_PT2_S3_PiS3_S6_21rocsparse_index_base_
    .private_segment_fixed_size: 0
    .sgpr_count:     46
    .sgpr_spill_count: 0
    .symbol:         _ZN9rocsparseL18bsric0_9_16_kernelILi64ELi128ELi16EdEEv20rocsparse_direction_iiPKiS3_PT2_S3_PiS3_S6_21rocsparse_index_base_.kd
    .uniform_work_group_size: 1
    .uses_dynamic_stack: false
    .vgpr_count:     29
    .vgpr_spill_count: 0
    .wavefront_size: 32
    .workgroup_processor_mode: 1
  - .args:
      - .offset:         0
        .size:           4
        .value_kind:     by_value
      - .offset:         4
        .size:           4
        .value_kind:     by_value
      - .offset:         8
        .size:           4
        .value_kind:     by_value
      - .actual_access:  read_only
        .address_space:  global
        .offset:         16
        .size:           8
        .value_kind:     global_buffer
      - .actual_access:  read_only
        .address_space:  global
        .offset:         24
        .size:           8
        .value_kind:     global_buffer
      - .address_space:  global
        .offset:         32
        .size:           8
        .value_kind:     global_buffer
      - .actual_access:  read_only
        .address_space:  global
        .offset:         40
        .size:           8
        .value_kind:     global_buffer
      - .address_space:  global
        .offset:         48
        .size:           8
        .value_kind:     global_buffer
      - .actual_access:  read_only
        .address_space:  global
        .offset:         56
        .size:           8
        .value_kind:     global_buffer
      - .address_space:  global
        .offset:         64
        .size:           8
        .value_kind:     global_buffer
      - .offset:         72
        .size:           4
        .value_kind:     by_value
    .group_segment_fixed_size: 26880
    .kernarg_segment_align: 8
    .kernarg_segment_size: 76
    .language:       OpenCL C
    .language_version:
      - 2
      - 0
    .max_flat_workgroup_size: 64
    .name:           _ZN9rocsparseL19bsric0_17_32_kernelILi64ELi128ELi32EdEEv20rocsparse_direction_iiPKiS3_PT2_S3_PiS3_S6_21rocsparse_index_base_
    .private_segment_fixed_size: 0
    .sgpr_count:     47
    .sgpr_spill_count: 0
    .symbol:         _ZN9rocsparseL19bsric0_17_32_kernelILi64ELi128ELi32EdEEv20rocsparse_direction_iiPKiS3_PT2_S3_PiS3_S6_21rocsparse_index_base_.kd
    .uniform_work_group_size: 1
    .uses_dynamic_stack: false
    .vgpr_count:     29
    .vgpr_spill_count: 0
    .wavefront_size: 32
    .workgroup_processor_mode: 1
  - .args:
      - .offset:         0
        .size:           4
        .value_kind:     by_value
      - .offset:         4
        .size:           4
        .value_kind:     by_value
      - .offset:         8
        .size:           4
        .value_kind:     by_value
      - .actual_access:  read_only
        .address_space:  global
        .offset:         16
        .size:           8
        .value_kind:     global_buffer
      - .actual_access:  read_only
        .address_space:  global
        .offset:         24
        .size:           8
        .value_kind:     global_buffer
      - .address_space:  global
        .offset:         32
        .size:           8
        .value_kind:     global_buffer
      - .actual_access:  read_only
        .address_space:  global
        .offset:         40
        .size:           8
        .value_kind:     global_buffer
      - .address_space:  global
        .offset:         48
        .size:           8
        .value_kind:     global_buffer
      - .actual_access:  read_only
        .address_space:  global
        .offset:         56
        .size:           8
        .value_kind:     global_buffer
      - .address_space:  global
        .offset:         64
        .size:           8
        .value_kind:     global_buffer
      - .offset:         72
        .size:           4
        .value_kind:     by_value
    .group_segment_fixed_size: 0
    .kernarg_segment_align: 8
    .kernarg_segment_size: 76
    .language:       OpenCL C
    .language_version:
      - 2
      - 0
    .max_flat_workgroup_size: 32
    .name:           _ZN9rocsparseL23bsric0_binsearch_kernelILj32ELj32ELb0E21rocsparse_complex_numIfEEEv20rocsparse_direction_iiPKiS5_PT2_S5_PiS5_S8_21rocsparse_index_base_
    .private_segment_fixed_size: 0
    .sgpr_count:     42
    .sgpr_spill_count: 0
    .symbol:         _ZN9rocsparseL23bsric0_binsearch_kernelILj32ELj32ELb0E21rocsparse_complex_numIfEEEv20rocsparse_direction_iiPKiS5_PT2_S5_PiS5_S8_21rocsparse_index_base_.kd
    .uniform_work_group_size: 1
    .uses_dynamic_stack: false
    .vgpr_count:     45
    .vgpr_spill_count: 0
    .wavefront_size: 32
    .workgroup_processor_mode: 1
  - .args:
      - .offset:         0
        .size:           4
        .value_kind:     by_value
      - .offset:         4
        .size:           4
        .value_kind:     by_value
      - .offset:         8
        .size:           4
        .value_kind:     by_value
      - .actual_access:  read_only
        .address_space:  global
        .offset:         16
        .size:           8
        .value_kind:     global_buffer
      - .actual_access:  read_only
        .address_space:  global
        .offset:         24
        .size:           8
        .value_kind:     global_buffer
      - .address_space:  global
        .offset:         32
        .size:           8
        .value_kind:     global_buffer
      - .actual_access:  read_only
        .address_space:  global
        .offset:         40
        .size:           8
        .value_kind:     global_buffer
      - .address_space:  global
        .offset:         48
        .size:           8
        .value_kind:     global_buffer
      - .actual_access:  read_only
        .address_space:  global
        .offset:         56
        .size:           8
        .value_kind:     global_buffer
      - .address_space:  global
        .offset:         64
        .size:           8
        .value_kind:     global_buffer
      - .offset:         72
        .size:           4
        .value_kind:     by_value
    .group_segment_fixed_size: 0
    .kernarg_segment_align: 8
    .kernarg_segment_size: 76
    .language:       OpenCL C
    .language_version:
      - 2
      - 0
    .max_flat_workgroup_size: 64
    .name:           _ZN9rocsparseL23bsric0_binsearch_kernelILj64ELj64ELb1E21rocsparse_complex_numIfEEEv20rocsparse_direction_iiPKiS5_PT2_S5_PiS5_S8_21rocsparse_index_base_
    .private_segment_fixed_size: 0
    .sgpr_count:     42
    .sgpr_spill_count: 0
    .symbol:         _ZN9rocsparseL23bsric0_binsearch_kernelILj64ELj64ELb1E21rocsparse_complex_numIfEEEv20rocsparse_direction_iiPKiS5_PT2_S5_PiS5_S8_21rocsparse_index_base_.kd
    .uniform_work_group_size: 1
    .uses_dynamic_stack: false
    .vgpr_count:     45
    .vgpr_spill_count: 0
    .wavefront_size: 32
    .workgroup_processor_mode: 1
  - .args:
      - .offset:         0
        .size:           4
        .value_kind:     by_value
      - .offset:         4
        .size:           4
        .value_kind:     by_value
      - .offset:         8
        .size:           4
        .value_kind:     by_value
      - .actual_access:  read_only
        .address_space:  global
        .offset:         16
        .size:           8
        .value_kind:     global_buffer
      - .actual_access:  read_only
        .address_space:  global
        .offset:         24
        .size:           8
        .value_kind:     global_buffer
      - .address_space:  global
        .offset:         32
        .size:           8
        .value_kind:     global_buffer
      - .actual_access:  read_only
        .address_space:  global
        .offset:         40
        .size:           8
        .value_kind:     global_buffer
      - .address_space:  global
        .offset:         48
        .size:           8
        .value_kind:     global_buffer
      - .actual_access:  read_only
        .address_space:  global
        .offset:         56
        .size:           8
        .value_kind:     global_buffer
      - .address_space:  global
        .offset:         64
        .size:           8
        .value_kind:     global_buffer
      - .offset:         72
        .size:           4
        .value_kind:     by_value
    .group_segment_fixed_size: 448
    .kernarg_segment_align: 8
    .kernarg_segment_size: 76
    .language:       OpenCL C
    .language_version:
      - 2
      - 0
    .max_flat_workgroup_size: 1
    .name:           _ZN9rocsparseL26bsric0_2_8_unrolled_kernelILi1ELi32ELi1E21rocsparse_complex_numIfEEEv20rocsparse_direction_iiPKiS5_PT2_S5_PiS5_S8_21rocsparse_index_base_
    .private_segment_fixed_size: 0
    .sgpr_count:     40
    .sgpr_spill_count: 0
    .symbol:         _ZN9rocsparseL26bsric0_2_8_unrolled_kernelILi1ELi32ELi1E21rocsparse_complex_numIfEEEv20rocsparse_direction_iiPKiS5_PT2_S5_PiS5_S8_21rocsparse_index_base_.kd
    .uniform_work_group_size: 1
    .uses_dynamic_stack: false
    .vgpr_count:     25
    .vgpr_spill_count: 0
    .wavefront_size: 32
    .workgroup_processor_mode: 1
  - .args:
      - .offset:         0
        .size:           4
        .value_kind:     by_value
      - .offset:         4
        .size:           4
        .value_kind:     by_value
      - .offset:         8
        .size:           4
        .value_kind:     by_value
      - .actual_access:  read_only
        .address_space:  global
        .offset:         16
        .size:           8
        .value_kind:     global_buffer
      - .actual_access:  read_only
        .address_space:  global
        .offset:         24
        .size:           8
        .value_kind:     global_buffer
      - .address_space:  global
        .offset:         32
        .size:           8
        .value_kind:     global_buffer
      - .actual_access:  read_only
        .address_space:  global
        .offset:         40
        .size:           8
        .value_kind:     global_buffer
      - .address_space:  global
        .offset:         48
        .size:           8
        .value_kind:     global_buffer
      - .actual_access:  read_only
        .address_space:  global
        .offset:         56
        .size:           8
        .value_kind:     global_buffer
      - .address_space:  global
        .offset:         64
        .size:           8
        .value_kind:     global_buffer
      - .offset:         72
        .size:           4
        .value_kind:     by_value
    .group_segment_fixed_size: 576
    .kernarg_segment_align: 8
    .kernarg_segment_size: 76
    .language:       OpenCL C
    .language_version:
      - 2
      - 0
    .max_flat_workgroup_size: 4
    .name:           _ZN9rocsparseL26bsric0_2_8_unrolled_kernelILi4ELi32ELi2E21rocsparse_complex_numIfEEEv20rocsparse_direction_iiPKiS5_PT2_S5_PiS5_S8_21rocsparse_index_base_
    .private_segment_fixed_size: 0
    .sgpr_count:     39
    .sgpr_spill_count: 0
    .symbol:         _ZN9rocsparseL26bsric0_2_8_unrolled_kernelILi4ELi32ELi2E21rocsparse_complex_numIfEEEv20rocsparse_direction_iiPKiS5_PT2_S5_PiS5_S8_21rocsparse_index_base_.kd
    .uniform_work_group_size: 1
    .uses_dynamic_stack: false
    .vgpr_count:     35
    .vgpr_spill_count: 0
    .wavefront_size: 32
    .workgroup_processor_mode: 1
  - .args:
      - .offset:         0
        .size:           4
        .value_kind:     by_value
      - .offset:         4
        .size:           4
        .value_kind:     by_value
      - .offset:         8
        .size:           4
        .value_kind:     by_value
      - .actual_access:  read_only
        .address_space:  global
        .offset:         16
        .size:           8
        .value_kind:     global_buffer
      - .actual_access:  read_only
        .address_space:  global
        .offset:         24
        .size:           8
        .value_kind:     global_buffer
      - .address_space:  global
        .offset:         32
        .size:           8
        .value_kind:     global_buffer
      - .actual_access:  read_only
        .address_space:  global
        .offset:         40
        .size:           8
        .value_kind:     global_buffer
      - .address_space:  global
        .offset:         48
        .size:           8
        .value_kind:     global_buffer
      - .actual_access:  read_only
        .address_space:  global
        .offset:         56
        .size:           8
        .value_kind:     global_buffer
      - .address_space:  global
        .offset:         64
        .size:           8
        .value_kind:     global_buffer
      - .offset:         72
        .size:           4
        .value_kind:     by_value
    .group_segment_fixed_size: 768
    .kernarg_segment_align: 8
    .kernarg_segment_size: 76
    .language:       OpenCL C
    .language_version:
      - 2
      - 0
    .max_flat_workgroup_size: 9
    .name:           _ZN9rocsparseL26bsric0_2_8_unrolled_kernelILi9ELi32ELi3E21rocsparse_complex_numIfEEEv20rocsparse_direction_iiPKiS5_PT2_S5_PiS5_S8_21rocsparse_index_base_
    .private_segment_fixed_size: 0
    .sgpr_count:     39
    .sgpr_spill_count: 0
    .symbol:         _ZN9rocsparseL26bsric0_2_8_unrolled_kernelILi9ELi32ELi3E21rocsparse_complex_numIfEEEv20rocsparse_direction_iiPKiS5_PT2_S5_PiS5_S8_21rocsparse_index_base_.kd
    .uniform_work_group_size: 1
    .uses_dynamic_stack: false
    .vgpr_count:     37
    .vgpr_spill_count: 0
    .wavefront_size: 32
    .workgroup_processor_mode: 1
  - .args:
      - .offset:         0
        .size:           4
        .value_kind:     by_value
      - .offset:         4
        .size:           4
        .value_kind:     by_value
      - .offset:         8
        .size:           4
        .value_kind:     by_value
      - .actual_access:  read_only
        .address_space:  global
        .offset:         16
        .size:           8
        .value_kind:     global_buffer
      - .actual_access:  read_only
        .address_space:  global
        .offset:         24
        .size:           8
        .value_kind:     global_buffer
      - .address_space:  global
        .offset:         32
        .size:           8
        .value_kind:     global_buffer
      - .actual_access:  read_only
        .address_space:  global
        .offset:         40
        .size:           8
        .value_kind:     global_buffer
      - .address_space:  global
        .offset:         48
        .size:           8
        .value_kind:     global_buffer
      - .actual_access:  read_only
        .address_space:  global
        .offset:         56
        .size:           8
        .value_kind:     global_buffer
      - .address_space:  global
        .offset:         64
        .size:           8
        .value_kind:     global_buffer
      - .offset:         72
        .size:           4
        .value_kind:     by_value
    .group_segment_fixed_size: 1024
    .kernarg_segment_align: 8
    .kernarg_segment_size: 76
    .language:       OpenCL C
    .language_version:
      - 2
      - 0
    .max_flat_workgroup_size: 16
    .name:           _ZN9rocsparseL26bsric0_2_8_unrolled_kernelILi16ELi32ELi4E21rocsparse_complex_numIfEEEv20rocsparse_direction_iiPKiS5_PT2_S5_PiS5_S8_21rocsparse_index_base_
    .private_segment_fixed_size: 0
    .sgpr_count:     39
    .sgpr_spill_count: 0
    .symbol:         _ZN9rocsparseL26bsric0_2_8_unrolled_kernelILi16ELi32ELi4E21rocsparse_complex_numIfEEEv20rocsparse_direction_iiPKiS5_PT2_S5_PiS5_S8_21rocsparse_index_base_.kd
    .uniform_work_group_size: 1
    .uses_dynamic_stack: false
    .vgpr_count:     41
    .vgpr_spill_count: 0
    .wavefront_size: 32
    .workgroup_processor_mode: 1
  - .args:
      - .offset:         0
        .size:           4
        .value_kind:     by_value
      - .offset:         4
        .size:           4
        .value_kind:     by_value
      - .offset:         8
        .size:           4
        .value_kind:     by_value
      - .actual_access:  read_only
        .address_space:  global
        .offset:         16
        .size:           8
        .value_kind:     global_buffer
      - .actual_access:  read_only
        .address_space:  global
        .offset:         24
        .size:           8
        .value_kind:     global_buffer
      - .address_space:  global
        .offset:         32
        .size:           8
        .value_kind:     global_buffer
      - .actual_access:  read_only
        .address_space:  global
        .offset:         40
        .size:           8
        .value_kind:     global_buffer
      - .address_space:  global
        .offset:         48
        .size:           8
        .value_kind:     global_buffer
      - .actual_access:  read_only
        .address_space:  global
        .offset:         56
        .size:           8
        .value_kind:     global_buffer
      - .address_space:  global
        .offset:         64
        .size:           8
        .value_kind:     global_buffer
      - .offset:         72
        .size:           4
        .value_kind:     by_value
    .group_segment_fixed_size: 1344
    .kernarg_segment_align: 8
    .kernarg_segment_size: 76
    .language:       OpenCL C
    .language_version:
      - 2
      - 0
    .max_flat_workgroup_size: 25
    .name:           _ZN9rocsparseL26bsric0_2_8_unrolled_kernelILi25ELi32ELi5E21rocsparse_complex_numIfEEEv20rocsparse_direction_iiPKiS5_PT2_S5_PiS5_S8_21rocsparse_index_base_
    .private_segment_fixed_size: 0
    .sgpr_count:     39
    .sgpr_spill_count: 0
    .symbol:         _ZN9rocsparseL26bsric0_2_8_unrolled_kernelILi25ELi32ELi5E21rocsparse_complex_numIfEEEv20rocsparse_direction_iiPKiS5_PT2_S5_PiS5_S8_21rocsparse_index_base_.kd
    .uniform_work_group_size: 1
    .uses_dynamic_stack: false
    .vgpr_count:     45
    .vgpr_spill_count: 0
    .wavefront_size: 32
    .workgroup_processor_mode: 1
  - .args:
      - .offset:         0
        .size:           4
        .value_kind:     by_value
      - .offset:         4
        .size:           4
        .value_kind:     by_value
      - .offset:         8
        .size:           4
        .value_kind:     by_value
      - .actual_access:  read_only
        .address_space:  global
        .offset:         16
        .size:           8
        .value_kind:     global_buffer
      - .actual_access:  read_only
        .address_space:  global
        .offset:         24
        .size:           8
        .value_kind:     global_buffer
      - .address_space:  global
        .offset:         32
        .size:           8
        .value_kind:     global_buffer
      - .actual_access:  read_only
        .address_space:  global
        .offset:         40
        .size:           8
        .value_kind:     global_buffer
      - .address_space:  global
        .offset:         48
        .size:           8
        .value_kind:     global_buffer
      - .actual_access:  read_only
        .address_space:  global
        .offset:         56
        .size:           8
        .value_kind:     global_buffer
      - .address_space:  global
        .offset:         64
        .size:           8
        .value_kind:     global_buffer
      - .offset:         72
        .size:           4
        .value_kind:     by_value
    .group_segment_fixed_size: 1728
    .kernarg_segment_align: 8
    .kernarg_segment_size: 76
    .language:       OpenCL C
    .language_version:
      - 2
      - 0
    .max_flat_workgroup_size: 36
    .name:           _ZN9rocsparseL26bsric0_2_8_unrolled_kernelILi36ELi32ELi6E21rocsparse_complex_numIfEEEv20rocsparse_direction_iiPKiS5_PT2_S5_PiS5_S8_21rocsparse_index_base_
    .private_segment_fixed_size: 0
    .sgpr_count:     39
    .sgpr_spill_count: 0
    .symbol:         _ZN9rocsparseL26bsric0_2_8_unrolled_kernelILi36ELi32ELi6E21rocsparse_complex_numIfEEEv20rocsparse_direction_iiPKiS5_PT2_S5_PiS5_S8_21rocsparse_index_base_.kd
    .uniform_work_group_size: 1
    .uses_dynamic_stack: false
    .vgpr_count:     49
    .vgpr_spill_count: 0
    .wavefront_size: 32
    .workgroup_processor_mode: 1
  - .args:
      - .offset:         0
        .size:           4
        .value_kind:     by_value
      - .offset:         4
        .size:           4
        .value_kind:     by_value
      - .offset:         8
        .size:           4
        .value_kind:     by_value
      - .actual_access:  read_only
        .address_space:  global
        .offset:         16
        .size:           8
        .value_kind:     global_buffer
      - .actual_access:  read_only
        .address_space:  global
        .offset:         24
        .size:           8
        .value_kind:     global_buffer
      - .address_space:  global
        .offset:         32
        .size:           8
        .value_kind:     global_buffer
      - .actual_access:  read_only
        .address_space:  global
        .offset:         40
        .size:           8
        .value_kind:     global_buffer
      - .address_space:  global
        .offset:         48
        .size:           8
        .value_kind:     global_buffer
      - .actual_access:  read_only
        .address_space:  global
        .offset:         56
        .size:           8
        .value_kind:     global_buffer
      - .address_space:  global
        .offset:         64
        .size:           8
        .value_kind:     global_buffer
      - .offset:         72
        .size:           4
        .value_kind:     by_value
    .group_segment_fixed_size: 2176
    .kernarg_segment_align: 8
    .kernarg_segment_size: 76
    .language:       OpenCL C
    .language_version:
      - 2
      - 0
    .max_flat_workgroup_size: 49
    .name:           _ZN9rocsparseL26bsric0_2_8_unrolled_kernelILi49ELi32ELi7E21rocsparse_complex_numIfEEEv20rocsparse_direction_iiPKiS5_PT2_S5_PiS5_S8_21rocsparse_index_base_
    .private_segment_fixed_size: 0
    .sgpr_count:     39
    .sgpr_spill_count: 0
    .symbol:         _ZN9rocsparseL26bsric0_2_8_unrolled_kernelILi49ELi32ELi7E21rocsparse_complex_numIfEEEv20rocsparse_direction_iiPKiS5_PT2_S5_PiS5_S8_21rocsparse_index_base_.kd
    .uniform_work_group_size: 1
    .uses_dynamic_stack: false
    .vgpr_count:     54
    .vgpr_spill_count: 0
    .wavefront_size: 32
    .workgroup_processor_mode: 1
  - .args:
      - .offset:         0
        .size:           4
        .value_kind:     by_value
      - .offset:         4
        .size:           4
        .value_kind:     by_value
      - .offset:         8
        .size:           4
        .value_kind:     by_value
      - .actual_access:  read_only
        .address_space:  global
        .offset:         16
        .size:           8
        .value_kind:     global_buffer
      - .actual_access:  read_only
        .address_space:  global
        .offset:         24
        .size:           8
        .value_kind:     global_buffer
      - .address_space:  global
        .offset:         32
        .size:           8
        .value_kind:     global_buffer
      - .actual_access:  read_only
        .address_space:  global
        .offset:         40
        .size:           8
        .value_kind:     global_buffer
      - .address_space:  global
        .offset:         48
        .size:           8
        .value_kind:     global_buffer
      - .actual_access:  read_only
        .address_space:  global
        .offset:         56
        .size:           8
        .value_kind:     global_buffer
      - .address_space:  global
        .offset:         64
        .size:           8
        .value_kind:     global_buffer
      - .offset:         72
        .size:           4
        .value_kind:     by_value
    .group_segment_fixed_size: 2688
    .kernarg_segment_align: 8
    .kernarg_segment_size: 76
    .language:       OpenCL C
    .language_version:
      - 2
      - 0
    .max_flat_workgroup_size: 64
    .name:           _ZN9rocsparseL26bsric0_2_8_unrolled_kernelILi64ELi32ELi8E21rocsparse_complex_numIfEEEv20rocsparse_direction_iiPKiS5_PT2_S5_PiS5_S8_21rocsparse_index_base_
    .private_segment_fixed_size: 0
    .sgpr_count:     39
    .sgpr_spill_count: 0
    .symbol:         _ZN9rocsparseL26bsric0_2_8_unrolled_kernelILi64ELi32ELi8E21rocsparse_complex_numIfEEEv20rocsparse_direction_iiPKiS5_PT2_S5_PiS5_S8_21rocsparse_index_base_.kd
    .uniform_work_group_size: 1
    .uses_dynamic_stack: false
    .vgpr_count:     58
    .vgpr_spill_count: 0
    .wavefront_size: 32
    .workgroup_processor_mode: 1
  - .args:
      - .offset:         0
        .size:           4
        .value_kind:     by_value
      - .offset:         4
        .size:           4
        .value_kind:     by_value
      - .offset:         8
        .size:           4
        .value_kind:     by_value
      - .actual_access:  read_only
        .address_space:  global
        .offset:         16
        .size:           8
        .value_kind:     global_buffer
      - .actual_access:  read_only
        .address_space:  global
        .offset:         24
        .size:           8
        .value_kind:     global_buffer
      - .address_space:  global
        .offset:         32
        .size:           8
        .value_kind:     global_buffer
      - .actual_access:  read_only
        .address_space:  global
        .offset:         40
        .size:           8
        .value_kind:     global_buffer
      - .address_space:  global
        .offset:         48
        .size:           8
        .value_kind:     global_buffer
      - .actual_access:  read_only
        .address_space:  global
        .offset:         56
        .size:           8
        .value_kind:     global_buffer
      - .address_space:  global
        .offset:         64
        .size:           8
        .value_kind:     global_buffer
      - .offset:         72
        .size:           4
        .value_kind:     by_value
    .group_segment_fixed_size: 9088
    .kernarg_segment_align: 8
    .kernarg_segment_size: 76
    .language:       OpenCL C
    .language_version:
      - 2
      - 0
    .max_flat_workgroup_size: 64
    .name:           _ZN9rocsparseL18bsric0_9_16_kernelILi64ELi32ELi16E21rocsparse_complex_numIfEEEv20rocsparse_direction_iiPKiS5_PT2_S5_PiS5_S8_21rocsparse_index_base_
    .private_segment_fixed_size: 0
    .sgpr_count:     46
    .sgpr_spill_count: 0
    .symbol:         _ZN9rocsparseL18bsric0_9_16_kernelILi64ELi32ELi16E21rocsparse_complex_numIfEEEv20rocsparse_direction_iiPKiS5_PT2_S5_PiS5_S8_21rocsparse_index_base_.kd
    .uniform_work_group_size: 1
    .uses_dynamic_stack: false
    .vgpr_count:     29
    .vgpr_spill_count: 0
    .wavefront_size: 32
    .workgroup_processor_mode: 1
  - .args:
      - .offset:         0
        .size:           4
        .value_kind:     by_value
      - .offset:         4
        .size:           4
        .value_kind:     by_value
      - .offset:         8
        .size:           4
        .value_kind:     by_value
      - .actual_access:  read_only
        .address_space:  global
        .offset:         16
        .size:           8
        .value_kind:     global_buffer
      - .actual_access:  read_only
        .address_space:  global
        .offset:         24
        .size:           8
        .value_kind:     global_buffer
      - .address_space:  global
        .offset:         32
        .size:           8
        .value_kind:     global_buffer
      - .actual_access:  read_only
        .address_space:  global
        .offset:         40
        .size:           8
        .value_kind:     global_buffer
      - .address_space:  global
        .offset:         48
        .size:           8
        .value_kind:     global_buffer
      - .actual_access:  read_only
        .address_space:  global
        .offset:         56
        .size:           8
        .value_kind:     global_buffer
      - .address_space:  global
        .offset:         64
        .size:           8
        .value_kind:     global_buffer
      - .offset:         72
        .size:           4
        .value_kind:     by_value
    .group_segment_fixed_size: 25728
    .kernarg_segment_align: 8
    .kernarg_segment_size: 76
    .language:       OpenCL C
    .language_version:
      - 2
      - 0
    .max_flat_workgroup_size: 64
    .name:           _ZN9rocsparseL19bsric0_17_32_kernelILi64ELi32ELi32E21rocsparse_complex_numIfEEEv20rocsparse_direction_iiPKiS5_PT2_S5_PiS5_S8_21rocsparse_index_base_
    .private_segment_fixed_size: 0
    .sgpr_count:     47
    .sgpr_spill_count: 0
    .symbol:         _ZN9rocsparseL19bsric0_17_32_kernelILi64ELi32ELi32E21rocsparse_complex_numIfEEEv20rocsparse_direction_iiPKiS5_PT2_S5_PiS5_S8_21rocsparse_index_base_.kd
    .uniform_work_group_size: 1
    .uses_dynamic_stack: false
    .vgpr_count:     29
    .vgpr_spill_count: 0
    .wavefront_size: 32
    .workgroup_processor_mode: 1
  - .args:
      - .offset:         0
        .size:           4
        .value_kind:     by_value
      - .offset:         4
        .size:           4
        .value_kind:     by_value
      - .offset:         8
        .size:           4
        .value_kind:     by_value
      - .actual_access:  read_only
        .address_space:  global
        .offset:         16
        .size:           8
        .value_kind:     global_buffer
      - .actual_access:  read_only
        .address_space:  global
        .offset:         24
        .size:           8
        .value_kind:     global_buffer
      - .address_space:  global
        .offset:         32
        .size:           8
        .value_kind:     global_buffer
      - .actual_access:  read_only
        .address_space:  global
        .offset:         40
        .size:           8
        .value_kind:     global_buffer
      - .address_space:  global
        .offset:         48
        .size:           8
        .value_kind:     global_buffer
      - .actual_access:  read_only
        .address_space:  global
        .offset:         56
        .size:           8
        .value_kind:     global_buffer
      - .address_space:  global
        .offset:         64
        .size:           8
        .value_kind:     global_buffer
      - .offset:         72
        .size:           4
        .value_kind:     by_value
    .group_segment_fixed_size: 0
    .kernarg_segment_align: 8
    .kernarg_segment_size: 76
    .language:       OpenCL C
    .language_version:
      - 2
      - 0
    .max_flat_workgroup_size: 64
    .name:           _ZN9rocsparseL23bsric0_binsearch_kernelILj64ELj64ELb0E21rocsparse_complex_numIfEEEv20rocsparse_direction_iiPKiS5_PT2_S5_PiS5_S8_21rocsparse_index_base_
    .private_segment_fixed_size: 0
    .sgpr_count:     42
    .sgpr_spill_count: 0
    .symbol:         _ZN9rocsparseL23bsric0_binsearch_kernelILj64ELj64ELb0E21rocsparse_complex_numIfEEEv20rocsparse_direction_iiPKiS5_PT2_S5_PiS5_S8_21rocsparse_index_base_.kd
    .uniform_work_group_size: 1
    .uses_dynamic_stack: false
    .vgpr_count:     45
    .vgpr_spill_count: 0
    .wavefront_size: 32
    .workgroup_processor_mode: 1
  - .args:
      - .offset:         0
        .size:           4
        .value_kind:     by_value
      - .offset:         4
        .size:           4
        .value_kind:     by_value
      - .offset:         8
        .size:           4
        .value_kind:     by_value
      - .actual_access:  read_only
        .address_space:  global
        .offset:         16
        .size:           8
        .value_kind:     global_buffer
      - .actual_access:  read_only
        .address_space:  global
        .offset:         24
        .size:           8
        .value_kind:     global_buffer
      - .address_space:  global
        .offset:         32
        .size:           8
        .value_kind:     global_buffer
      - .actual_access:  read_only
        .address_space:  global
        .offset:         40
        .size:           8
        .value_kind:     global_buffer
      - .address_space:  global
        .offset:         48
        .size:           8
        .value_kind:     global_buffer
      - .actual_access:  read_only
        .address_space:  global
        .offset:         56
        .size:           8
        .value_kind:     global_buffer
      - .address_space:  global
        .offset:         64
        .size:           8
        .value_kind:     global_buffer
      - .offset:         72
        .size:           4
        .value_kind:     by_value
    .group_segment_fixed_size: 3072
    .kernarg_segment_align: 8
    .kernarg_segment_size: 76
    .language:       OpenCL C
    .language_version:
      - 2
      - 0
    .max_flat_workgroup_size: 64
    .name:           _ZN9rocsparseL17bsric0_2_8_kernelILi64ELi64ELi8E21rocsparse_complex_numIfEEEv20rocsparse_direction_iiPKiS5_PT2_S5_PiS5_S8_21rocsparse_index_base_
    .private_segment_fixed_size: 0
    .sgpr_count:     45
    .sgpr_spill_count: 0
    .symbol:         _ZN9rocsparseL17bsric0_2_8_kernelILi64ELi64ELi8E21rocsparse_complex_numIfEEEv20rocsparse_direction_iiPKiS5_PT2_S5_PiS5_S8_21rocsparse_index_base_.kd
    .uniform_work_group_size: 1
    .uses_dynamic_stack: false
    .vgpr_count:     27
    .vgpr_spill_count: 0
    .wavefront_size: 32
    .workgroup_processor_mode: 1
  - .args:
      - .offset:         0
        .size:           4
        .value_kind:     by_value
      - .offset:         4
        .size:           4
        .value_kind:     by_value
      - .offset:         8
        .size:           4
        .value_kind:     by_value
      - .actual_access:  read_only
        .address_space:  global
        .offset:         16
        .size:           8
        .value_kind:     global_buffer
      - .actual_access:  read_only
        .address_space:  global
        .offset:         24
        .size:           8
        .value_kind:     global_buffer
      - .address_space:  global
        .offset:         32
        .size:           8
        .value_kind:     global_buffer
      - .actual_access:  read_only
        .address_space:  global
        .offset:         40
        .size:           8
        .value_kind:     global_buffer
      - .address_space:  global
        .offset:         48
        .size:           8
        .value_kind:     global_buffer
      - .actual_access:  read_only
        .address_space:  global
        .offset:         56
        .size:           8
        .value_kind:     global_buffer
      - .address_space:  global
        .offset:         64
        .size:           8
        .value_kind:     global_buffer
      - .offset:         72
        .size:           4
        .value_kind:     by_value
    .group_segment_fixed_size: 9472
    .kernarg_segment_align: 8
    .kernarg_segment_size: 76
    .language:       OpenCL C
    .language_version:
      - 2
      - 0
    .max_flat_workgroup_size: 64
    .name:           _ZN9rocsparseL18bsric0_9_16_kernelILi64ELi64ELi16E21rocsparse_complex_numIfEEEv20rocsparse_direction_iiPKiS5_PT2_S5_PiS5_S8_21rocsparse_index_base_
    .private_segment_fixed_size: 0
    .sgpr_count:     46
    .sgpr_spill_count: 0
    .symbol:         _ZN9rocsparseL18bsric0_9_16_kernelILi64ELi64ELi16E21rocsparse_complex_numIfEEEv20rocsparse_direction_iiPKiS5_PT2_S5_PiS5_S8_21rocsparse_index_base_.kd
    .uniform_work_group_size: 1
    .uses_dynamic_stack: false
    .vgpr_count:     29
    .vgpr_spill_count: 0
    .wavefront_size: 32
    .workgroup_processor_mode: 1
  - .args:
      - .offset:         0
        .size:           4
        .value_kind:     by_value
      - .offset:         4
        .size:           4
        .value_kind:     by_value
      - .offset:         8
        .size:           4
        .value_kind:     by_value
      - .actual_access:  read_only
        .address_space:  global
        .offset:         16
        .size:           8
        .value_kind:     global_buffer
      - .actual_access:  read_only
        .address_space:  global
        .offset:         24
        .size:           8
        .value_kind:     global_buffer
      - .address_space:  global
        .offset:         32
        .size:           8
        .value_kind:     global_buffer
      - .actual_access:  read_only
        .address_space:  global
        .offset:         40
        .size:           8
        .value_kind:     global_buffer
      - .address_space:  global
        .offset:         48
        .size:           8
        .value_kind:     global_buffer
      - .actual_access:  read_only
        .address_space:  global
        .offset:         56
        .size:           8
        .value_kind:     global_buffer
      - .address_space:  global
        .offset:         64
        .size:           8
        .value_kind:     global_buffer
      - .offset:         72
        .size:           4
        .value_kind:     by_value
    .group_segment_fixed_size: 26112
    .kernarg_segment_align: 8
    .kernarg_segment_size: 76
    .language:       OpenCL C
    .language_version:
      - 2
      - 0
    .max_flat_workgroup_size: 64
    .name:           _ZN9rocsparseL19bsric0_17_32_kernelILi64ELi64ELi32E21rocsparse_complex_numIfEEEv20rocsparse_direction_iiPKiS5_PT2_S5_PiS5_S8_21rocsparse_index_base_
    .private_segment_fixed_size: 0
    .sgpr_count:     47
    .sgpr_spill_count: 0
    .symbol:         _ZN9rocsparseL19bsric0_17_32_kernelILi64ELi64ELi32E21rocsparse_complex_numIfEEEv20rocsparse_direction_iiPKiS5_PT2_S5_PiS5_S8_21rocsparse_index_base_.kd
    .uniform_work_group_size: 1
    .uses_dynamic_stack: false
    .vgpr_count:     29
    .vgpr_spill_count: 0
    .wavefront_size: 32
    .workgroup_processor_mode: 1
  - .args:
      - .offset:         0
        .size:           4
        .value_kind:     by_value
      - .offset:         4
        .size:           4
        .value_kind:     by_value
      - .offset:         8
        .size:           4
        .value_kind:     by_value
      - .actual_access:  read_only
        .address_space:  global
        .offset:         16
        .size:           8
        .value_kind:     global_buffer
      - .actual_access:  read_only
        .address_space:  global
        .offset:         24
        .size:           8
        .value_kind:     global_buffer
      - .address_space:  global
        .offset:         32
        .size:           8
        .value_kind:     global_buffer
      - .actual_access:  read_only
        .address_space:  global
        .offset:         40
        .size:           8
        .value_kind:     global_buffer
      - .address_space:  global
        .offset:         48
        .size:           8
        .value_kind:     global_buffer
      - .actual_access:  read_only
        .address_space:  global
        .offset:         56
        .size:           8
        .value_kind:     global_buffer
      - .address_space:  global
        .offset:         64
        .size:           8
        .value_kind:     global_buffer
      - .offset:         72
        .size:           4
        .value_kind:     by_value
    .group_segment_fixed_size: 3840
    .kernarg_segment_align: 8
    .kernarg_segment_size: 76
    .language:       OpenCL C
    .language_version:
      - 2
      - 0
    .max_flat_workgroup_size: 64
    .name:           _ZN9rocsparseL17bsric0_2_8_kernelILi64ELi128ELi8E21rocsparse_complex_numIfEEEv20rocsparse_direction_iiPKiS5_PT2_S5_PiS5_S8_21rocsparse_index_base_
    .private_segment_fixed_size: 0
    .sgpr_count:     45
    .sgpr_spill_count: 0
    .symbol:         _ZN9rocsparseL17bsric0_2_8_kernelILi64ELi128ELi8E21rocsparse_complex_numIfEEEv20rocsparse_direction_iiPKiS5_PT2_S5_PiS5_S8_21rocsparse_index_base_.kd
    .uniform_work_group_size: 1
    .uses_dynamic_stack: false
    .vgpr_count:     27
    .vgpr_spill_count: 0
    .wavefront_size: 32
    .workgroup_processor_mode: 1
  - .args:
      - .offset:         0
        .size:           4
        .value_kind:     by_value
      - .offset:         4
        .size:           4
        .value_kind:     by_value
      - .offset:         8
        .size:           4
        .value_kind:     by_value
      - .actual_access:  read_only
        .address_space:  global
        .offset:         16
        .size:           8
        .value_kind:     global_buffer
      - .actual_access:  read_only
        .address_space:  global
        .offset:         24
        .size:           8
        .value_kind:     global_buffer
      - .address_space:  global
        .offset:         32
        .size:           8
        .value_kind:     global_buffer
      - .actual_access:  read_only
        .address_space:  global
        .offset:         40
        .size:           8
        .value_kind:     global_buffer
      - .address_space:  global
        .offset:         48
        .size:           8
        .value_kind:     global_buffer
      - .actual_access:  read_only
        .address_space:  global
        .offset:         56
        .size:           8
        .value_kind:     global_buffer
      - .address_space:  global
        .offset:         64
        .size:           8
        .value_kind:     global_buffer
      - .offset:         72
        .size:           4
        .value_kind:     by_value
    .group_segment_fixed_size: 10240
    .kernarg_segment_align: 8
    .kernarg_segment_size: 76
    .language:       OpenCL C
    .language_version:
      - 2
      - 0
    .max_flat_workgroup_size: 64
    .name:           _ZN9rocsparseL18bsric0_9_16_kernelILi64ELi128ELi16E21rocsparse_complex_numIfEEEv20rocsparse_direction_iiPKiS5_PT2_S5_PiS5_S8_21rocsparse_index_base_
    .private_segment_fixed_size: 0
    .sgpr_count:     46
    .sgpr_spill_count: 0
    .symbol:         _ZN9rocsparseL18bsric0_9_16_kernelILi64ELi128ELi16E21rocsparse_complex_numIfEEEv20rocsparse_direction_iiPKiS5_PT2_S5_PiS5_S8_21rocsparse_index_base_.kd
    .uniform_work_group_size: 1
    .uses_dynamic_stack: false
    .vgpr_count:     29
    .vgpr_spill_count: 0
    .wavefront_size: 32
    .workgroup_processor_mode: 1
  - .args:
      - .offset:         0
        .size:           4
        .value_kind:     by_value
      - .offset:         4
        .size:           4
        .value_kind:     by_value
      - .offset:         8
        .size:           4
        .value_kind:     by_value
      - .actual_access:  read_only
        .address_space:  global
        .offset:         16
        .size:           8
        .value_kind:     global_buffer
      - .actual_access:  read_only
        .address_space:  global
        .offset:         24
        .size:           8
        .value_kind:     global_buffer
      - .address_space:  global
        .offset:         32
        .size:           8
        .value_kind:     global_buffer
      - .actual_access:  read_only
        .address_space:  global
        .offset:         40
        .size:           8
        .value_kind:     global_buffer
      - .address_space:  global
        .offset:         48
        .size:           8
        .value_kind:     global_buffer
      - .actual_access:  read_only
        .address_space:  global
        .offset:         56
        .size:           8
        .value_kind:     global_buffer
      - .address_space:  global
        .offset:         64
        .size:           8
        .value_kind:     global_buffer
      - .offset:         72
        .size:           4
        .value_kind:     by_value
    .group_segment_fixed_size: 26880
    .kernarg_segment_align: 8
    .kernarg_segment_size: 76
    .language:       OpenCL C
    .language_version:
      - 2
      - 0
    .max_flat_workgroup_size: 64
    .name:           _ZN9rocsparseL19bsric0_17_32_kernelILi64ELi128ELi32E21rocsparse_complex_numIfEEEv20rocsparse_direction_iiPKiS5_PT2_S5_PiS5_S8_21rocsparse_index_base_
    .private_segment_fixed_size: 0
    .sgpr_count:     47
    .sgpr_spill_count: 0
    .symbol:         _ZN9rocsparseL19bsric0_17_32_kernelILi64ELi128ELi32E21rocsparse_complex_numIfEEEv20rocsparse_direction_iiPKiS5_PT2_S5_PiS5_S8_21rocsparse_index_base_.kd
    .uniform_work_group_size: 1
    .uses_dynamic_stack: false
    .vgpr_count:     29
    .vgpr_spill_count: 0
    .wavefront_size: 32
    .workgroup_processor_mode: 1
  - .args:
      - .offset:         0
        .size:           4
        .value_kind:     by_value
      - .offset:         4
        .size:           4
        .value_kind:     by_value
      - .offset:         8
        .size:           4
        .value_kind:     by_value
      - .actual_access:  read_only
        .address_space:  global
        .offset:         16
        .size:           8
        .value_kind:     global_buffer
      - .actual_access:  read_only
        .address_space:  global
        .offset:         24
        .size:           8
        .value_kind:     global_buffer
      - .address_space:  global
        .offset:         32
        .size:           8
        .value_kind:     global_buffer
      - .actual_access:  read_only
        .address_space:  global
        .offset:         40
        .size:           8
        .value_kind:     global_buffer
      - .address_space:  global
        .offset:         48
        .size:           8
        .value_kind:     global_buffer
      - .actual_access:  read_only
        .address_space:  global
        .offset:         56
        .size:           8
        .value_kind:     global_buffer
      - .address_space:  global
        .offset:         64
        .size:           8
        .value_kind:     global_buffer
      - .offset:         72
        .size:           4
        .value_kind:     by_value
    .group_segment_fixed_size: 0
    .kernarg_segment_align: 8
    .kernarg_segment_size: 76
    .language:       OpenCL C
    .language_version:
      - 2
      - 0
    .max_flat_workgroup_size: 32
    .name:           _ZN9rocsparseL23bsric0_binsearch_kernelILj32ELj32ELb0E21rocsparse_complex_numIdEEEv20rocsparse_direction_iiPKiS5_PT2_S5_PiS5_S8_21rocsparse_index_base_
    .private_segment_fixed_size: 0
    .sgpr_count:     42
    .sgpr_spill_count: 0
    .symbol:         _ZN9rocsparseL23bsric0_binsearch_kernelILj32ELj32ELb0E21rocsparse_complex_numIdEEEv20rocsparse_direction_iiPKiS5_PT2_S5_PiS5_S8_21rocsparse_index_base_.kd
    .uniform_work_group_size: 1
    .uses_dynamic_stack: false
    .vgpr_count:     57
    .vgpr_spill_count: 0
    .wavefront_size: 32
    .workgroup_processor_mode: 1
  - .args:
      - .offset:         0
        .size:           4
        .value_kind:     by_value
      - .offset:         4
        .size:           4
        .value_kind:     by_value
      - .offset:         8
        .size:           4
        .value_kind:     by_value
      - .actual_access:  read_only
        .address_space:  global
        .offset:         16
        .size:           8
        .value_kind:     global_buffer
      - .actual_access:  read_only
        .address_space:  global
        .offset:         24
        .size:           8
        .value_kind:     global_buffer
      - .address_space:  global
        .offset:         32
        .size:           8
        .value_kind:     global_buffer
      - .actual_access:  read_only
        .address_space:  global
        .offset:         40
        .size:           8
        .value_kind:     global_buffer
      - .address_space:  global
        .offset:         48
        .size:           8
        .value_kind:     global_buffer
      - .actual_access:  read_only
        .address_space:  global
        .offset:         56
        .size:           8
        .value_kind:     global_buffer
      - .address_space:  global
        .offset:         64
        .size:           8
        .value_kind:     global_buffer
      - .offset:         72
        .size:           4
        .value_kind:     by_value
    .group_segment_fixed_size: 0
    .kernarg_segment_align: 8
    .kernarg_segment_size: 76
    .language:       OpenCL C
    .language_version:
      - 2
      - 0
    .max_flat_workgroup_size: 64
    .name:           _ZN9rocsparseL23bsric0_binsearch_kernelILj64ELj64ELb1E21rocsparse_complex_numIdEEEv20rocsparse_direction_iiPKiS5_PT2_S5_PiS5_S8_21rocsparse_index_base_
    .private_segment_fixed_size: 0
    .sgpr_count:     42
    .sgpr_spill_count: 0
    .symbol:         _ZN9rocsparseL23bsric0_binsearch_kernelILj64ELj64ELb1E21rocsparse_complex_numIdEEEv20rocsparse_direction_iiPKiS5_PT2_S5_PiS5_S8_21rocsparse_index_base_.kd
    .uniform_work_group_size: 1
    .uses_dynamic_stack: false
    .vgpr_count:     57
    .vgpr_spill_count: 0
    .wavefront_size: 32
    .workgroup_processor_mode: 1
  - .args:
      - .offset:         0
        .size:           4
        .value_kind:     by_value
      - .offset:         4
        .size:           4
        .value_kind:     by_value
      - .offset:         8
        .size:           4
        .value_kind:     by_value
      - .actual_access:  read_only
        .address_space:  global
        .offset:         16
        .size:           8
        .value_kind:     global_buffer
      - .actual_access:  read_only
        .address_space:  global
        .offset:         24
        .size:           8
        .value_kind:     global_buffer
      - .address_space:  global
        .offset:         32
        .size:           8
        .value_kind:     global_buffer
      - .actual_access:  read_only
        .address_space:  global
        .offset:         40
        .size:           8
        .value_kind:     global_buffer
      - .address_space:  global
        .offset:         48
        .size:           8
        .value_kind:     global_buffer
      - .actual_access:  read_only
        .address_space:  global
        .offset:         56
        .size:           8
        .value_kind:     global_buffer
      - .address_space:  global
        .offset:         64
        .size:           8
        .value_kind:     global_buffer
      - .offset:         72
        .size:           4
        .value_kind:     by_value
    .group_segment_fixed_size: 512
    .kernarg_segment_align: 8
    .kernarg_segment_size: 76
    .language:       OpenCL C
    .language_version:
      - 2
      - 0
    .max_flat_workgroup_size: 1
    .name:           _ZN9rocsparseL26bsric0_2_8_unrolled_kernelILi1ELi32ELi1E21rocsparse_complex_numIdEEEv20rocsparse_direction_iiPKiS5_PT2_S5_PiS5_S8_21rocsparse_index_base_
    .private_segment_fixed_size: 0
    .sgpr_count:     40
    .sgpr_spill_count: 0
    .symbol:         _ZN9rocsparseL26bsric0_2_8_unrolled_kernelILi1ELi32ELi1E21rocsparse_complex_numIdEEEv20rocsparse_direction_iiPKiS5_PT2_S5_PiS5_S8_21rocsparse_index_base_.kd
    .uniform_work_group_size: 1
    .uses_dynamic_stack: false
    .vgpr_count:     41
    .vgpr_spill_count: 0
    .wavefront_size: 32
    .workgroup_processor_mode: 1
  - .args:
      - .offset:         0
        .size:           4
        .value_kind:     by_value
      - .offset:         4
        .size:           4
        .value_kind:     by_value
      - .offset:         8
        .size:           4
        .value_kind:     by_value
      - .actual_access:  read_only
        .address_space:  global
        .offset:         16
        .size:           8
        .value_kind:     global_buffer
      - .actual_access:  read_only
        .address_space:  global
        .offset:         24
        .size:           8
        .value_kind:     global_buffer
      - .address_space:  global
        .offset:         32
        .size:           8
        .value_kind:     global_buffer
      - .actual_access:  read_only
        .address_space:  global
        .offset:         40
        .size:           8
        .value_kind:     global_buffer
      - .address_space:  global
        .offset:         48
        .size:           8
        .value_kind:     global_buffer
      - .actual_access:  read_only
        .address_space:  global
        .offset:         56
        .size:           8
        .value_kind:     global_buffer
      - .address_space:  global
        .offset:         64
        .size:           8
        .value_kind:     global_buffer
      - .offset:         72
        .size:           4
        .value_kind:     by_value
    .group_segment_fixed_size: 768
    .kernarg_segment_align: 8
    .kernarg_segment_size: 76
    .language:       OpenCL C
    .language_version:
      - 2
      - 0
    .max_flat_workgroup_size: 4
    .name:           _ZN9rocsparseL26bsric0_2_8_unrolled_kernelILi4ELi32ELi2E21rocsparse_complex_numIdEEEv20rocsparse_direction_iiPKiS5_PT2_S5_PiS5_S8_21rocsparse_index_base_
    .private_segment_fixed_size: 0
    .sgpr_count:     39
    .sgpr_spill_count: 0
    .symbol:         _ZN9rocsparseL26bsric0_2_8_unrolled_kernelILi4ELi32ELi2E21rocsparse_complex_numIdEEEv20rocsparse_direction_iiPKiS5_PT2_S5_PiS5_S8_21rocsparse_index_base_.kd
    .uniform_work_group_size: 1
    .uses_dynamic_stack: false
    .vgpr_count:     49
    .vgpr_spill_count: 0
    .wavefront_size: 32
    .workgroup_processor_mode: 1
  - .args:
      - .offset:         0
        .size:           4
        .value_kind:     by_value
      - .offset:         4
        .size:           4
        .value_kind:     by_value
      - .offset:         8
        .size:           4
        .value_kind:     by_value
      - .actual_access:  read_only
        .address_space:  global
        .offset:         16
        .size:           8
        .value_kind:     global_buffer
      - .actual_access:  read_only
        .address_space:  global
        .offset:         24
        .size:           8
        .value_kind:     global_buffer
      - .address_space:  global
        .offset:         32
        .size:           8
        .value_kind:     global_buffer
      - .actual_access:  read_only
        .address_space:  global
        .offset:         40
        .size:           8
        .value_kind:     global_buffer
      - .address_space:  global
        .offset:         48
        .size:           8
        .value_kind:     global_buffer
      - .actual_access:  read_only
        .address_space:  global
        .offset:         56
        .size:           8
        .value_kind:     global_buffer
      - .address_space:  global
        .offset:         64
        .size:           8
        .value_kind:     global_buffer
      - .offset:         72
        .size:           4
        .value_kind:     by_value
    .group_segment_fixed_size: 1152
    .kernarg_segment_align: 8
    .kernarg_segment_size: 76
    .language:       OpenCL C
    .language_version:
      - 2
      - 0
    .max_flat_workgroup_size: 9
    .name:           _ZN9rocsparseL26bsric0_2_8_unrolled_kernelILi9ELi32ELi3E21rocsparse_complex_numIdEEEv20rocsparse_direction_iiPKiS5_PT2_S5_PiS5_S8_21rocsparse_index_base_
    .private_segment_fixed_size: 0
    .sgpr_count:     39
    .sgpr_spill_count: 0
    .symbol:         _ZN9rocsparseL26bsric0_2_8_unrolled_kernelILi9ELi32ELi3E21rocsparse_complex_numIdEEEv20rocsparse_direction_iiPKiS5_PT2_S5_PiS5_S8_21rocsparse_index_base_.kd
    .uniform_work_group_size: 1
    .uses_dynamic_stack: false
    .vgpr_count:     50
    .vgpr_spill_count: 0
    .wavefront_size: 32
    .workgroup_processor_mode: 1
  - .args:
      - .offset:         0
        .size:           4
        .value_kind:     by_value
      - .offset:         4
        .size:           4
        .value_kind:     by_value
      - .offset:         8
        .size:           4
        .value_kind:     by_value
      - .actual_access:  read_only
        .address_space:  global
        .offset:         16
        .size:           8
        .value_kind:     global_buffer
      - .actual_access:  read_only
        .address_space:  global
        .offset:         24
        .size:           8
        .value_kind:     global_buffer
      - .address_space:  global
        .offset:         32
        .size:           8
        .value_kind:     global_buffer
      - .actual_access:  read_only
        .address_space:  global
        .offset:         40
        .size:           8
        .value_kind:     global_buffer
      - .address_space:  global
        .offset:         48
        .size:           8
        .value_kind:     global_buffer
      - .actual_access:  read_only
        .address_space:  global
        .offset:         56
        .size:           8
        .value_kind:     global_buffer
      - .address_space:  global
        .offset:         64
        .size:           8
        .value_kind:     global_buffer
      - .offset:         72
        .size:           4
        .value_kind:     by_value
    .group_segment_fixed_size: 1664
    .kernarg_segment_align: 8
    .kernarg_segment_size: 76
    .language:       OpenCL C
    .language_version:
      - 2
      - 0
    .max_flat_workgroup_size: 16
    .name:           _ZN9rocsparseL26bsric0_2_8_unrolled_kernelILi16ELi32ELi4E21rocsparse_complex_numIdEEEv20rocsparse_direction_iiPKiS5_PT2_S5_PiS5_S8_21rocsparse_index_base_
    .private_segment_fixed_size: 0
    .sgpr_count:     39
    .sgpr_spill_count: 0
    .symbol:         _ZN9rocsparseL26bsric0_2_8_unrolled_kernelILi16ELi32ELi4E21rocsparse_complex_numIdEEEv20rocsparse_direction_iiPKiS5_PT2_S5_PiS5_S8_21rocsparse_index_base_.kd
    .uniform_work_group_size: 1
    .uses_dynamic_stack: false
    .vgpr_count:     58
    .vgpr_spill_count: 0
    .wavefront_size: 32
    .workgroup_processor_mode: 1
  - .args:
      - .offset:         0
        .size:           4
        .value_kind:     by_value
      - .offset:         4
        .size:           4
        .value_kind:     by_value
      - .offset:         8
        .size:           4
        .value_kind:     by_value
      - .actual_access:  read_only
        .address_space:  global
        .offset:         16
        .size:           8
        .value_kind:     global_buffer
      - .actual_access:  read_only
        .address_space:  global
        .offset:         24
        .size:           8
        .value_kind:     global_buffer
      - .address_space:  global
        .offset:         32
        .size:           8
        .value_kind:     global_buffer
      - .actual_access:  read_only
        .address_space:  global
        .offset:         40
        .size:           8
        .value_kind:     global_buffer
      - .address_space:  global
        .offset:         48
        .size:           8
        .value_kind:     global_buffer
      - .actual_access:  read_only
        .address_space:  global
        .offset:         56
        .size:           8
        .value_kind:     global_buffer
      - .address_space:  global
        .offset:         64
        .size:           8
        .value_kind:     global_buffer
      - .offset:         72
        .size:           4
        .value_kind:     by_value
    .group_segment_fixed_size: 2304
    .kernarg_segment_align: 8
    .kernarg_segment_size: 76
    .language:       OpenCL C
    .language_version:
      - 2
      - 0
    .max_flat_workgroup_size: 25
    .name:           _ZN9rocsparseL26bsric0_2_8_unrolled_kernelILi25ELi32ELi5E21rocsparse_complex_numIdEEEv20rocsparse_direction_iiPKiS5_PT2_S5_PiS5_S8_21rocsparse_index_base_
    .private_segment_fixed_size: 0
    .sgpr_count:     39
    .sgpr_spill_count: 0
    .symbol:         _ZN9rocsparseL26bsric0_2_8_unrolled_kernelILi25ELi32ELi5E21rocsparse_complex_numIdEEEv20rocsparse_direction_iiPKiS5_PT2_S5_PiS5_S8_21rocsparse_index_base_.kd
    .uniform_work_group_size: 1
    .uses_dynamic_stack: false
    .vgpr_count:     65
    .vgpr_spill_count: 0
    .wavefront_size: 32
    .workgroup_processor_mode: 1
  - .args:
      - .offset:         0
        .size:           4
        .value_kind:     by_value
      - .offset:         4
        .size:           4
        .value_kind:     by_value
      - .offset:         8
        .size:           4
        .value_kind:     by_value
      - .actual_access:  read_only
        .address_space:  global
        .offset:         16
        .size:           8
        .value_kind:     global_buffer
      - .actual_access:  read_only
        .address_space:  global
        .offset:         24
        .size:           8
        .value_kind:     global_buffer
      - .address_space:  global
        .offset:         32
        .size:           8
        .value_kind:     global_buffer
      - .actual_access:  read_only
        .address_space:  global
        .offset:         40
        .size:           8
        .value_kind:     global_buffer
      - .address_space:  global
        .offset:         48
        .size:           8
        .value_kind:     global_buffer
      - .actual_access:  read_only
        .address_space:  global
        .offset:         56
        .size:           8
        .value_kind:     global_buffer
      - .address_space:  global
        .offset:         64
        .size:           8
        .value_kind:     global_buffer
      - .offset:         72
        .size:           4
        .value_kind:     by_value
    .group_segment_fixed_size: 3072
    .kernarg_segment_align: 8
    .kernarg_segment_size: 76
    .language:       OpenCL C
    .language_version:
      - 2
      - 0
    .max_flat_workgroup_size: 36
    .name:           _ZN9rocsparseL26bsric0_2_8_unrolled_kernelILi36ELi32ELi6E21rocsparse_complex_numIdEEEv20rocsparse_direction_iiPKiS5_PT2_S5_PiS5_S8_21rocsparse_index_base_
    .private_segment_fixed_size: 0
    .sgpr_count:     39
    .sgpr_spill_count: 0
    .symbol:         _ZN9rocsparseL26bsric0_2_8_unrolled_kernelILi36ELi32ELi6E21rocsparse_complex_numIdEEEv20rocsparse_direction_iiPKiS5_PT2_S5_PiS5_S8_21rocsparse_index_base_.kd
    .uniform_work_group_size: 1
    .uses_dynamic_stack: false
    .vgpr_count:     71
    .vgpr_spill_count: 0
    .wavefront_size: 32
    .workgroup_processor_mode: 1
  - .args:
      - .offset:         0
        .size:           4
        .value_kind:     by_value
      - .offset:         4
        .size:           4
        .value_kind:     by_value
      - .offset:         8
        .size:           4
        .value_kind:     by_value
      - .actual_access:  read_only
        .address_space:  global
        .offset:         16
        .size:           8
        .value_kind:     global_buffer
      - .actual_access:  read_only
        .address_space:  global
        .offset:         24
        .size:           8
        .value_kind:     global_buffer
      - .address_space:  global
        .offset:         32
        .size:           8
        .value_kind:     global_buffer
      - .actual_access:  read_only
        .address_space:  global
        .offset:         40
        .size:           8
        .value_kind:     global_buffer
      - .address_space:  global
        .offset:         48
        .size:           8
        .value_kind:     global_buffer
      - .actual_access:  read_only
        .address_space:  global
        .offset:         56
        .size:           8
        .value_kind:     global_buffer
      - .address_space:  global
        .offset:         64
        .size:           8
        .value_kind:     global_buffer
      - .offset:         72
        .size:           4
        .value_kind:     by_value
    .group_segment_fixed_size: 3968
    .kernarg_segment_align: 8
    .kernarg_segment_size: 76
    .language:       OpenCL C
    .language_version:
      - 2
      - 0
    .max_flat_workgroup_size: 49
    .name:           _ZN9rocsparseL26bsric0_2_8_unrolled_kernelILi49ELi32ELi7E21rocsparse_complex_numIdEEEv20rocsparse_direction_iiPKiS5_PT2_S5_PiS5_S8_21rocsparse_index_base_
    .private_segment_fixed_size: 0
    .sgpr_count:     39
    .sgpr_spill_count: 0
    .symbol:         _ZN9rocsparseL26bsric0_2_8_unrolled_kernelILi49ELi32ELi7E21rocsparse_complex_numIdEEEv20rocsparse_direction_iiPKiS5_PT2_S5_PiS5_S8_21rocsparse_index_base_.kd
    .uniform_work_group_size: 1
    .uses_dynamic_stack: false
    .vgpr_count:     75
    .vgpr_spill_count: 0
    .wavefront_size: 32
    .workgroup_processor_mode: 1
  - .args:
      - .offset:         0
        .size:           4
        .value_kind:     by_value
      - .offset:         4
        .size:           4
        .value_kind:     by_value
      - .offset:         8
        .size:           4
        .value_kind:     by_value
      - .actual_access:  read_only
        .address_space:  global
        .offset:         16
        .size:           8
        .value_kind:     global_buffer
      - .actual_access:  read_only
        .address_space:  global
        .offset:         24
        .size:           8
        .value_kind:     global_buffer
      - .address_space:  global
        .offset:         32
        .size:           8
        .value_kind:     global_buffer
      - .actual_access:  read_only
        .address_space:  global
        .offset:         40
        .size:           8
        .value_kind:     global_buffer
      - .address_space:  global
        .offset:         48
        .size:           8
        .value_kind:     global_buffer
      - .actual_access:  read_only
        .address_space:  global
        .offset:         56
        .size:           8
        .value_kind:     global_buffer
      - .address_space:  global
        .offset:         64
        .size:           8
        .value_kind:     global_buffer
      - .offset:         72
        .size:           4
        .value_kind:     by_value
    .group_segment_fixed_size: 4992
    .kernarg_segment_align: 8
    .kernarg_segment_size: 76
    .language:       OpenCL C
    .language_version:
      - 2
      - 0
    .max_flat_workgroup_size: 64
    .name:           _ZN9rocsparseL26bsric0_2_8_unrolled_kernelILi64ELi32ELi8E21rocsparse_complex_numIdEEEv20rocsparse_direction_iiPKiS5_PT2_S5_PiS5_S8_21rocsparse_index_base_
    .private_segment_fixed_size: 0
    .sgpr_count:     39
    .sgpr_spill_count: 0
    .symbol:         _ZN9rocsparseL26bsric0_2_8_unrolled_kernelILi64ELi32ELi8E21rocsparse_complex_numIdEEEv20rocsparse_direction_iiPKiS5_PT2_S5_PiS5_S8_21rocsparse_index_base_.kd
    .uniform_work_group_size: 1
    .uses_dynamic_stack: false
    .vgpr_count:     76
    .vgpr_spill_count: 0
    .wavefront_size: 32
    .workgroup_processor_mode: 1
  - .args:
      - .offset:         0
        .size:           4
        .value_kind:     by_value
      - .offset:         4
        .size:           4
        .value_kind:     by_value
      - .offset:         8
        .size:           4
        .value_kind:     by_value
      - .actual_access:  read_only
        .address_space:  global
        .offset:         16
        .size:           8
        .value_kind:     global_buffer
      - .actual_access:  read_only
        .address_space:  global
        .offset:         24
        .size:           8
        .value_kind:     global_buffer
      - .address_space:  global
        .offset:         32
        .size:           8
        .value_kind:     global_buffer
      - .actual_access:  read_only
        .address_space:  global
        .offset:         40
        .size:           8
        .value_kind:     global_buffer
      - .address_space:  global
        .offset:         48
        .size:           8
        .value_kind:     global_buffer
      - .actual_access:  read_only
        .address_space:  global
        .offset:         56
        .size:           8
        .value_kind:     global_buffer
      - .address_space:  global
        .offset:         64
        .size:           8
        .value_kind:     global_buffer
      - .offset:         72
        .size:           4
        .value_kind:     by_value
    .group_segment_fixed_size: 17792
    .kernarg_segment_align: 8
    .kernarg_segment_size: 76
    .language:       OpenCL C
    .language_version:
      - 2
      - 0
    .max_flat_workgroup_size: 64
    .name:           _ZN9rocsparseL18bsric0_9_16_kernelILi64ELi32ELi16E21rocsparse_complex_numIdEEEv20rocsparse_direction_iiPKiS5_PT2_S5_PiS5_S8_21rocsparse_index_base_
    .private_segment_fixed_size: 0
    .sgpr_count:     46
    .sgpr_spill_count: 0
    .symbol:         _ZN9rocsparseL18bsric0_9_16_kernelILi64ELi32ELi16E21rocsparse_complex_numIdEEEv20rocsparse_direction_iiPKiS5_PT2_S5_PiS5_S8_21rocsparse_index_base_.kd
    .uniform_work_group_size: 1
    .uses_dynamic_stack: false
    .vgpr_count:     39
    .vgpr_spill_count: 0
    .wavefront_size: 32
    .workgroup_processor_mode: 1
  - .args:
      - .offset:         0
        .size:           4
        .value_kind:     by_value
      - .offset:         4
        .size:           4
        .value_kind:     by_value
      - .offset:         8
        .size:           4
        .value_kind:     by_value
      - .actual_access:  read_only
        .address_space:  global
        .offset:         16
        .size:           8
        .value_kind:     global_buffer
      - .actual_access:  read_only
        .address_space:  global
        .offset:         24
        .size:           8
        .value_kind:     global_buffer
      - .address_space:  global
        .offset:         32
        .size:           8
        .value_kind:     global_buffer
      - .actual_access:  read_only
        .address_space:  global
        .offset:         40
        .size:           8
        .value_kind:     global_buffer
      - .address_space:  global
        .offset:         48
        .size:           8
        .value_kind:     global_buffer
      - .actual_access:  read_only
        .address_space:  global
        .offset:         56
        .size:           8
        .value_kind:     global_buffer
      - .address_space:  global
        .offset:         64
        .size:           8
        .value_kind:     global_buffer
      - .offset:         72
        .size:           4
        .value_kind:     by_value
    .group_segment_fixed_size: 51072
    .kernarg_segment_align: 8
    .kernarg_segment_size: 76
    .language:       OpenCL C
    .language_version:
      - 2
      - 0
    .max_flat_workgroup_size: 64
    .name:           _ZN9rocsparseL19bsric0_17_32_kernelILi64ELi32ELi32E21rocsparse_complex_numIdEEEv20rocsparse_direction_iiPKiS5_PT2_S5_PiS5_S8_21rocsparse_index_base_
    .private_segment_fixed_size: 0
    .sgpr_count:     47
    .sgpr_spill_count: 0
    .symbol:         _ZN9rocsparseL19bsric0_17_32_kernelILi64ELi32ELi32E21rocsparse_complex_numIdEEEv20rocsparse_direction_iiPKiS5_PT2_S5_PiS5_S8_21rocsparse_index_base_.kd
    .uniform_work_group_size: 1
    .uses_dynamic_stack: false
    .vgpr_count:     37
    .vgpr_spill_count: 0
    .wavefront_size: 32
    .workgroup_processor_mode: 1
  - .args:
      - .offset:         0
        .size:           4
        .value_kind:     by_value
      - .offset:         4
        .size:           4
        .value_kind:     by_value
      - .offset:         8
        .size:           4
        .value_kind:     by_value
      - .actual_access:  read_only
        .address_space:  global
        .offset:         16
        .size:           8
        .value_kind:     global_buffer
      - .actual_access:  read_only
        .address_space:  global
        .offset:         24
        .size:           8
        .value_kind:     global_buffer
      - .address_space:  global
        .offset:         32
        .size:           8
        .value_kind:     global_buffer
      - .actual_access:  read_only
        .address_space:  global
        .offset:         40
        .size:           8
        .value_kind:     global_buffer
      - .address_space:  global
        .offset:         48
        .size:           8
        .value_kind:     global_buffer
      - .actual_access:  read_only
        .address_space:  global
        .offset:         56
        .size:           8
        .value_kind:     global_buffer
      - .address_space:  global
        .offset:         64
        .size:           8
        .value_kind:     global_buffer
      - .offset:         72
        .size:           4
        .value_kind:     by_value
    .group_segment_fixed_size: 0
    .kernarg_segment_align: 8
    .kernarg_segment_size: 76
    .language:       OpenCL C
    .language_version:
      - 2
      - 0
    .max_flat_workgroup_size: 64
    .name:           _ZN9rocsparseL23bsric0_binsearch_kernelILj64ELj64ELb0E21rocsparse_complex_numIdEEEv20rocsparse_direction_iiPKiS5_PT2_S5_PiS5_S8_21rocsparse_index_base_
    .private_segment_fixed_size: 0
    .sgpr_count:     42
    .sgpr_spill_count: 0
    .symbol:         _ZN9rocsparseL23bsric0_binsearch_kernelILj64ELj64ELb0E21rocsparse_complex_numIdEEEv20rocsparse_direction_iiPKiS5_PT2_S5_PiS5_S8_21rocsparse_index_base_.kd
    .uniform_work_group_size: 1
    .uses_dynamic_stack: false
    .vgpr_count:     57
    .vgpr_spill_count: 0
    .wavefront_size: 32
    .workgroup_processor_mode: 1
  - .args:
      - .offset:         0
        .size:           4
        .value_kind:     by_value
      - .offset:         4
        .size:           4
        .value_kind:     by_value
      - .offset:         8
        .size:           4
        .value_kind:     by_value
      - .actual_access:  read_only
        .address_space:  global
        .offset:         16
        .size:           8
        .value_kind:     global_buffer
      - .actual_access:  read_only
        .address_space:  global
        .offset:         24
        .size:           8
        .value_kind:     global_buffer
      - .address_space:  global
        .offset:         32
        .size:           8
        .value_kind:     global_buffer
      - .actual_access:  read_only
        .address_space:  global
        .offset:         40
        .size:           8
        .value_kind:     global_buffer
      - .address_space:  global
        .offset:         48
        .size:           8
        .value_kind:     global_buffer
      - .actual_access:  read_only
        .address_space:  global
        .offset:         56
        .size:           8
        .value_kind:     global_buffer
      - .address_space:  global
        .offset:         64
        .size:           8
        .value_kind:     global_buffer
      - .offset:         72
        .size:           4
        .value_kind:     by_value
    .group_segment_fixed_size: 5376
    .kernarg_segment_align: 8
    .kernarg_segment_size: 76
    .language:       OpenCL C
    .language_version:
      - 2
      - 0
    .max_flat_workgroup_size: 64
    .name:           _ZN9rocsparseL17bsric0_2_8_kernelILi64ELi64ELi8E21rocsparse_complex_numIdEEEv20rocsparse_direction_iiPKiS5_PT2_S5_PiS5_S8_21rocsparse_index_base_
    .private_segment_fixed_size: 0
    .sgpr_count:     45
    .sgpr_spill_count: 0
    .symbol:         _ZN9rocsparseL17bsric0_2_8_kernelILi64ELi64ELi8E21rocsparse_complex_numIdEEEv20rocsparse_direction_iiPKiS5_PT2_S5_PiS5_S8_21rocsparse_index_base_.kd
    .uniform_work_group_size: 1
    .uses_dynamic_stack: false
    .vgpr_count:     36
    .vgpr_spill_count: 0
    .wavefront_size: 32
    .workgroup_processor_mode: 1
  - .args:
      - .offset:         0
        .size:           4
        .value_kind:     by_value
      - .offset:         4
        .size:           4
        .value_kind:     by_value
      - .offset:         8
        .size:           4
        .value_kind:     by_value
      - .actual_access:  read_only
        .address_space:  global
        .offset:         16
        .size:           8
        .value_kind:     global_buffer
      - .actual_access:  read_only
        .address_space:  global
        .offset:         24
        .size:           8
        .value_kind:     global_buffer
      - .address_space:  global
        .offset:         32
        .size:           8
        .value_kind:     global_buffer
      - .actual_access:  read_only
        .address_space:  global
        .offset:         40
        .size:           8
        .value_kind:     global_buffer
      - .address_space:  global
        .offset:         48
        .size:           8
        .value_kind:     global_buffer
      - .actual_access:  read_only
        .address_space:  global
        .offset:         56
        .size:           8
        .value_kind:     global_buffer
      - .address_space:  global
        .offset:         64
        .size:           8
        .value_kind:     global_buffer
      - .offset:         72
        .size:           4
        .value_kind:     by_value
    .group_segment_fixed_size: 18176
    .kernarg_segment_align: 8
    .kernarg_segment_size: 76
    .language:       OpenCL C
    .language_version:
      - 2
      - 0
    .max_flat_workgroup_size: 64
    .name:           _ZN9rocsparseL18bsric0_9_16_kernelILi64ELi64ELi16E21rocsparse_complex_numIdEEEv20rocsparse_direction_iiPKiS5_PT2_S5_PiS5_S8_21rocsparse_index_base_
    .private_segment_fixed_size: 0
    .sgpr_count:     46
    .sgpr_spill_count: 0
    .symbol:         _ZN9rocsparseL18bsric0_9_16_kernelILi64ELi64ELi16E21rocsparse_complex_numIdEEEv20rocsparse_direction_iiPKiS5_PT2_S5_PiS5_S8_21rocsparse_index_base_.kd
    .uniform_work_group_size: 1
    .uses_dynamic_stack: false
    .vgpr_count:     39
    .vgpr_spill_count: 0
    .wavefront_size: 32
    .workgroup_processor_mode: 1
  - .args:
      - .offset:         0
        .size:           4
        .value_kind:     by_value
      - .offset:         4
        .size:           4
        .value_kind:     by_value
      - .offset:         8
        .size:           4
        .value_kind:     by_value
      - .actual_access:  read_only
        .address_space:  global
        .offset:         16
        .size:           8
        .value_kind:     global_buffer
      - .actual_access:  read_only
        .address_space:  global
        .offset:         24
        .size:           8
        .value_kind:     global_buffer
      - .address_space:  global
        .offset:         32
        .size:           8
        .value_kind:     global_buffer
      - .actual_access:  read_only
        .address_space:  global
        .offset:         40
        .size:           8
        .value_kind:     global_buffer
      - .address_space:  global
        .offset:         48
        .size:           8
        .value_kind:     global_buffer
      - .actual_access:  read_only
        .address_space:  global
        .offset:         56
        .size:           8
        .value_kind:     global_buffer
      - .address_space:  global
        .offset:         64
        .size:           8
        .value_kind:     global_buffer
      - .offset:         72
        .size:           4
        .value_kind:     by_value
    .group_segment_fixed_size: 51456
    .kernarg_segment_align: 8
    .kernarg_segment_size: 76
    .language:       OpenCL C
    .language_version:
      - 2
      - 0
    .max_flat_workgroup_size: 64
    .name:           _ZN9rocsparseL19bsric0_17_32_kernelILi64ELi64ELi32E21rocsparse_complex_numIdEEEv20rocsparse_direction_iiPKiS5_PT2_S5_PiS5_S8_21rocsparse_index_base_
    .private_segment_fixed_size: 0
    .sgpr_count:     47
    .sgpr_spill_count: 0
    .symbol:         _ZN9rocsparseL19bsric0_17_32_kernelILi64ELi64ELi32E21rocsparse_complex_numIdEEEv20rocsparse_direction_iiPKiS5_PT2_S5_PiS5_S8_21rocsparse_index_base_.kd
    .uniform_work_group_size: 1
    .uses_dynamic_stack: false
    .vgpr_count:     37
    .vgpr_spill_count: 0
    .wavefront_size: 32
    .workgroup_processor_mode: 1
  - .args:
      - .offset:         0
        .size:           4
        .value_kind:     by_value
      - .offset:         4
        .size:           4
        .value_kind:     by_value
      - .offset:         8
        .size:           4
        .value_kind:     by_value
      - .actual_access:  read_only
        .address_space:  global
        .offset:         16
        .size:           8
        .value_kind:     global_buffer
      - .actual_access:  read_only
        .address_space:  global
        .offset:         24
        .size:           8
        .value_kind:     global_buffer
      - .address_space:  global
        .offset:         32
        .size:           8
        .value_kind:     global_buffer
      - .actual_access:  read_only
        .address_space:  global
        .offset:         40
        .size:           8
        .value_kind:     global_buffer
      - .address_space:  global
        .offset:         48
        .size:           8
        .value_kind:     global_buffer
      - .actual_access:  read_only
        .address_space:  global
        .offset:         56
        .size:           8
        .value_kind:     global_buffer
      - .address_space:  global
        .offset:         64
        .size:           8
        .value_kind:     global_buffer
      - .offset:         72
        .size:           4
        .value_kind:     by_value
    .group_segment_fixed_size: 6144
    .kernarg_segment_align: 8
    .kernarg_segment_size: 76
    .language:       OpenCL C
    .language_version:
      - 2
      - 0
    .max_flat_workgroup_size: 64
    .name:           _ZN9rocsparseL17bsric0_2_8_kernelILi64ELi128ELi8E21rocsparse_complex_numIdEEEv20rocsparse_direction_iiPKiS5_PT2_S5_PiS5_S8_21rocsparse_index_base_
    .private_segment_fixed_size: 0
    .sgpr_count:     45
    .sgpr_spill_count: 0
    .symbol:         _ZN9rocsparseL17bsric0_2_8_kernelILi64ELi128ELi8E21rocsparse_complex_numIdEEEv20rocsparse_direction_iiPKiS5_PT2_S5_PiS5_S8_21rocsparse_index_base_.kd
    .uniform_work_group_size: 1
    .uses_dynamic_stack: false
    .vgpr_count:     36
    .vgpr_spill_count: 0
    .wavefront_size: 32
    .workgroup_processor_mode: 1
  - .args:
      - .offset:         0
        .size:           4
        .value_kind:     by_value
      - .offset:         4
        .size:           4
        .value_kind:     by_value
      - .offset:         8
        .size:           4
        .value_kind:     by_value
      - .actual_access:  read_only
        .address_space:  global
        .offset:         16
        .size:           8
        .value_kind:     global_buffer
      - .actual_access:  read_only
        .address_space:  global
        .offset:         24
        .size:           8
        .value_kind:     global_buffer
      - .address_space:  global
        .offset:         32
        .size:           8
        .value_kind:     global_buffer
      - .actual_access:  read_only
        .address_space:  global
        .offset:         40
        .size:           8
        .value_kind:     global_buffer
      - .address_space:  global
        .offset:         48
        .size:           8
        .value_kind:     global_buffer
      - .actual_access:  read_only
        .address_space:  global
        .offset:         56
        .size:           8
        .value_kind:     global_buffer
      - .address_space:  global
        .offset:         64
        .size:           8
        .value_kind:     global_buffer
      - .offset:         72
        .size:           4
        .value_kind:     by_value
    .group_segment_fixed_size: 18944
    .kernarg_segment_align: 8
    .kernarg_segment_size: 76
    .language:       OpenCL C
    .language_version:
      - 2
      - 0
    .max_flat_workgroup_size: 64
    .name:           _ZN9rocsparseL18bsric0_9_16_kernelILi64ELi128ELi16E21rocsparse_complex_numIdEEEv20rocsparse_direction_iiPKiS5_PT2_S5_PiS5_S8_21rocsparse_index_base_
    .private_segment_fixed_size: 0
    .sgpr_count:     46
    .sgpr_spill_count: 0
    .symbol:         _ZN9rocsparseL18bsric0_9_16_kernelILi64ELi128ELi16E21rocsparse_complex_numIdEEEv20rocsparse_direction_iiPKiS5_PT2_S5_PiS5_S8_21rocsparse_index_base_.kd
    .uniform_work_group_size: 1
    .uses_dynamic_stack: false
    .vgpr_count:     39
    .vgpr_spill_count: 0
    .wavefront_size: 32
    .workgroup_processor_mode: 1
  - .args:
      - .offset:         0
        .size:           4
        .value_kind:     by_value
      - .offset:         4
        .size:           4
        .value_kind:     by_value
      - .offset:         8
        .size:           4
        .value_kind:     by_value
      - .actual_access:  read_only
        .address_space:  global
        .offset:         16
        .size:           8
        .value_kind:     global_buffer
      - .actual_access:  read_only
        .address_space:  global
        .offset:         24
        .size:           8
        .value_kind:     global_buffer
      - .address_space:  global
        .offset:         32
        .size:           8
        .value_kind:     global_buffer
      - .actual_access:  read_only
        .address_space:  global
        .offset:         40
        .size:           8
        .value_kind:     global_buffer
      - .address_space:  global
        .offset:         48
        .size:           8
        .value_kind:     global_buffer
      - .actual_access:  read_only
        .address_space:  global
        .offset:         56
        .size:           8
        .value_kind:     global_buffer
      - .address_space:  global
        .offset:         64
        .size:           8
        .value_kind:     global_buffer
      - .offset:         72
        .size:           4
        .value_kind:     by_value
    .group_segment_fixed_size: 52224
    .kernarg_segment_align: 8
    .kernarg_segment_size: 76
    .language:       OpenCL C
    .language_version:
      - 2
      - 0
    .max_flat_workgroup_size: 64
    .name:           _ZN9rocsparseL19bsric0_17_32_kernelILi64ELi128ELi32E21rocsparse_complex_numIdEEEv20rocsparse_direction_iiPKiS5_PT2_S5_PiS5_S8_21rocsparse_index_base_
    .private_segment_fixed_size: 0
    .sgpr_count:     47
    .sgpr_spill_count: 0
    .symbol:         _ZN9rocsparseL19bsric0_17_32_kernelILi64ELi128ELi32E21rocsparse_complex_numIdEEEv20rocsparse_direction_iiPKiS5_PT2_S5_PiS5_S8_21rocsparse_index_base_.kd
    .uniform_work_group_size: 1
    .uses_dynamic_stack: false
    .vgpr_count:     37
    .vgpr_spill_count: 0
    .wavefront_size: 32
    .workgroup_processor_mode: 1
amdhsa.target:   amdgcn-amd-amdhsa--gfx1100
amdhsa.version:
  - 1
  - 2
...

	.end_amdgpu_metadata
